;; amdgpu-corpus repo=ROCm/rocSOLVER kind=compiled arch=gfx1100 opt=O3
	.text
	.amdgcn_target "amdgcn-amd-amdhsa--gfx1100"
	.amdhsa_code_object_version 6
	.section	.text._ZN9rocsolver6v33100L6iota_nIfEEvPT_jS2_,"axG",@progbits,_ZN9rocsolver6v33100L6iota_nIfEEvPT_jS2_,comdat
	.globl	_ZN9rocsolver6v33100L6iota_nIfEEvPT_jS2_ ; -- Begin function _ZN9rocsolver6v33100L6iota_nIfEEvPT_jS2_
	.p2align	8
	.type	_ZN9rocsolver6v33100L6iota_nIfEEvPT_jS2_,@function
_ZN9rocsolver6v33100L6iota_nIfEEvPT_jS2_: ; @_ZN9rocsolver6v33100L6iota_nIfEEvPT_jS2_
; %bb.0:
	s_load_b64 s[2:3], s[0:1], 0x8
	s_waitcnt lgkmcnt(0)
	v_cmp_gt_u32_e32 vcc_lo, s2, v0
	s_and_saveexec_b32 s2, vcc_lo
	s_cbranch_execz .LBB0_2
; %bb.1:
	s_load_b64 s[0:1], s[0:1], 0x0
	v_cvt_f32_ubyte0_e32 v1, v0
	s_delay_alu instid0(VALU_DEP_1)
	v_dual_add_f32 v1, s3, v1 :: v_dual_lshlrev_b32 v0, 2, v0
	s_waitcnt lgkmcnt(0)
	global_store_b32 v0, v1, s[0:1]
.LBB0_2:
	s_nop 0
	s_sendmsg sendmsg(MSG_DEALLOC_VGPRS)
	s_endpgm
	.section	.rodata,"a",@progbits
	.p2align	6, 0x0
	.amdhsa_kernel _ZN9rocsolver6v33100L6iota_nIfEEvPT_jS2_
		.amdhsa_group_segment_fixed_size 0
		.amdhsa_private_segment_fixed_size 0
		.amdhsa_kernarg_size 16
		.amdhsa_user_sgpr_count 15
		.amdhsa_user_sgpr_dispatch_ptr 0
		.amdhsa_user_sgpr_queue_ptr 0
		.amdhsa_user_sgpr_kernarg_segment_ptr 1
		.amdhsa_user_sgpr_dispatch_id 0
		.amdhsa_user_sgpr_private_segment_size 0
		.amdhsa_wavefront_size32 1
		.amdhsa_uses_dynamic_stack 0
		.amdhsa_enable_private_segment 0
		.amdhsa_system_sgpr_workgroup_id_x 1
		.amdhsa_system_sgpr_workgroup_id_y 0
		.amdhsa_system_sgpr_workgroup_id_z 0
		.amdhsa_system_sgpr_workgroup_info 0
		.amdhsa_system_vgpr_workitem_id 0
		.amdhsa_next_free_vgpr 2
		.amdhsa_next_free_sgpr 4
		.amdhsa_reserve_vcc 1
		.amdhsa_float_round_mode_32 0
		.amdhsa_float_round_mode_16_64 0
		.amdhsa_float_denorm_mode_32 3
		.amdhsa_float_denorm_mode_16_64 3
		.amdhsa_dx10_clamp 1
		.amdhsa_ieee_mode 1
		.amdhsa_fp16_overflow 0
		.amdhsa_workgroup_processor_mode 1
		.amdhsa_memory_ordered 1
		.amdhsa_forward_progress 0
		.amdhsa_shared_vgpr_count 0
		.amdhsa_exception_fp_ieee_invalid_op 0
		.amdhsa_exception_fp_denorm_src 0
		.amdhsa_exception_fp_ieee_div_zero 0
		.amdhsa_exception_fp_ieee_overflow 0
		.amdhsa_exception_fp_ieee_underflow 0
		.amdhsa_exception_fp_ieee_inexact 0
		.amdhsa_exception_int_div_zero 0
	.end_amdhsa_kernel
	.section	.text._ZN9rocsolver6v33100L6iota_nIfEEvPT_jS2_,"axG",@progbits,_ZN9rocsolver6v33100L6iota_nIfEEvPT_jS2_,comdat
.Lfunc_end0:
	.size	_ZN9rocsolver6v33100L6iota_nIfEEvPT_jS2_, .Lfunc_end0-_ZN9rocsolver6v33100L6iota_nIfEEvPT_jS2_
                                        ; -- End function
	.section	.AMDGPU.csdata,"",@progbits
; Kernel info:
; codeLenInByte = 72
; NumSgprs: 6
; NumVgprs: 2
; ScratchSize: 0
; MemoryBound: 0
; FloatMode: 240
; IeeeMode: 1
; LDSByteSize: 0 bytes/workgroup (compile time only)
; SGPRBlocks: 0
; VGPRBlocks: 0
; NumSGPRsForWavesPerEU: 6
; NumVGPRsForWavesPerEU: 2
; Occupancy: 16
; WaveLimiterHint : 0
; COMPUTE_PGM_RSRC2:SCRATCH_EN: 0
; COMPUTE_PGM_RSRC2:USER_SGPR: 15
; COMPUTE_PGM_RSRC2:TRAP_HANDLER: 0
; COMPUTE_PGM_RSRC2:TGID_X_EN: 1
; COMPUTE_PGM_RSRC2:TGID_Y_EN: 0
; COMPUTE_PGM_RSRC2:TGID_Z_EN: 0
; COMPUTE_PGM_RSRC2:TIDIG_COMP_CNT: 0
	.section	.text._ZN9rocsolver6v33100L10reset_infoIfiiEEvPT_T0_T1_S4_,"axG",@progbits,_ZN9rocsolver6v33100L10reset_infoIfiiEEvPT_T0_T1_S4_,comdat
	.globl	_ZN9rocsolver6v33100L10reset_infoIfiiEEvPT_T0_T1_S4_ ; -- Begin function _ZN9rocsolver6v33100L10reset_infoIfiiEEvPT_T0_T1_S4_
	.p2align	8
	.type	_ZN9rocsolver6v33100L10reset_infoIfiiEEvPT_T0_T1_S4_,@function
_ZN9rocsolver6v33100L10reset_infoIfiiEEvPT_T0_T1_S4_: ; @_ZN9rocsolver6v33100L10reset_infoIfiiEEvPT_T0_T1_S4_
; %bb.0:
	s_clause 0x1
	s_load_b32 s2, s[0:1], 0x24
	s_load_b128 s[4:7], s[0:1], 0x8
	s_waitcnt lgkmcnt(0)
	s_and_b32 s2, s2, 0xffff
	s_delay_alu instid0(SALU_CYCLE_1) | instskip(SKIP_1) | instid1(VALU_DEP_1)
	v_mad_u64_u32 v[1:2], null, s15, s2, v[0:1]
	s_mov_b32 s2, exec_lo
	v_cmpx_gt_i32_e64 s4, v1
	s_cbranch_execz .LBB1_2
; %bb.1:
	s_load_b64 s[0:1], s[0:1], 0x0
	v_mul_lo_u32 v0, v1, s6
	v_ashrrev_i32_e32 v2, 31, v1
	v_cvt_f32_i32_e32 v3, s5
	s_delay_alu instid0(VALU_DEP_3) | instskip(NEXT) | instid1(VALU_DEP_3)
	v_cvt_f32_i32_e32 v4, v0
	v_lshlrev_b64 v[0:1], 2, v[1:2]
	s_delay_alu instid0(VALU_DEP_2) | instskip(SKIP_1) | instid1(VALU_DEP_2)
	v_add_f32_e32 v2, v3, v4
	s_waitcnt lgkmcnt(0)
	v_add_co_u32 v0, vcc_lo, s0, v0
	s_delay_alu instid0(VALU_DEP_3)
	v_add_co_ci_u32_e32 v1, vcc_lo, s1, v1, vcc_lo
	global_store_b32 v[0:1], v2, off
.LBB1_2:
	s_nop 0
	s_sendmsg sendmsg(MSG_DEALLOC_VGPRS)
	s_endpgm
	.section	.rodata,"a",@progbits
	.p2align	6, 0x0
	.amdhsa_kernel _ZN9rocsolver6v33100L10reset_infoIfiiEEvPT_T0_T1_S4_
		.amdhsa_group_segment_fixed_size 0
		.amdhsa_private_segment_fixed_size 0
		.amdhsa_kernarg_size 280
		.amdhsa_user_sgpr_count 15
		.amdhsa_user_sgpr_dispatch_ptr 0
		.amdhsa_user_sgpr_queue_ptr 0
		.amdhsa_user_sgpr_kernarg_segment_ptr 1
		.amdhsa_user_sgpr_dispatch_id 0
		.amdhsa_user_sgpr_private_segment_size 0
		.amdhsa_wavefront_size32 1
		.amdhsa_uses_dynamic_stack 0
		.amdhsa_enable_private_segment 0
		.amdhsa_system_sgpr_workgroup_id_x 1
		.amdhsa_system_sgpr_workgroup_id_y 0
		.amdhsa_system_sgpr_workgroup_id_z 0
		.amdhsa_system_sgpr_workgroup_info 0
		.amdhsa_system_vgpr_workitem_id 0
		.amdhsa_next_free_vgpr 5
		.amdhsa_next_free_sgpr 16
		.amdhsa_reserve_vcc 1
		.amdhsa_float_round_mode_32 0
		.amdhsa_float_round_mode_16_64 0
		.amdhsa_float_denorm_mode_32 3
		.amdhsa_float_denorm_mode_16_64 3
		.amdhsa_dx10_clamp 1
		.amdhsa_ieee_mode 1
		.amdhsa_fp16_overflow 0
		.amdhsa_workgroup_processor_mode 1
		.amdhsa_memory_ordered 1
		.amdhsa_forward_progress 0
		.amdhsa_shared_vgpr_count 0
		.amdhsa_exception_fp_ieee_invalid_op 0
		.amdhsa_exception_fp_denorm_src 0
		.amdhsa_exception_fp_ieee_div_zero 0
		.amdhsa_exception_fp_ieee_overflow 0
		.amdhsa_exception_fp_ieee_underflow 0
		.amdhsa_exception_fp_ieee_inexact 0
		.amdhsa_exception_int_div_zero 0
	.end_amdhsa_kernel
	.section	.text._ZN9rocsolver6v33100L10reset_infoIfiiEEvPT_T0_T1_S4_,"axG",@progbits,_ZN9rocsolver6v33100L10reset_infoIfiiEEvPT_T0_T1_S4_,comdat
.Lfunc_end1:
	.size	_ZN9rocsolver6v33100L10reset_infoIfiiEEvPT_T0_T1_S4_, .Lfunc_end1-_ZN9rocsolver6v33100L10reset_infoIfiiEEvPT_T0_T1_S4_
                                        ; -- End function
	.section	.AMDGPU.csdata,"",@progbits
; Kernel info:
; codeLenInByte = 148
; NumSgprs: 18
; NumVgprs: 5
; ScratchSize: 0
; MemoryBound: 0
; FloatMode: 240
; IeeeMode: 1
; LDSByteSize: 0 bytes/workgroup (compile time only)
; SGPRBlocks: 2
; VGPRBlocks: 0
; NumSGPRsForWavesPerEU: 18
; NumVGPRsForWavesPerEU: 5
; Occupancy: 16
; WaveLimiterHint : 0
; COMPUTE_PGM_RSRC2:SCRATCH_EN: 0
; COMPUTE_PGM_RSRC2:USER_SGPR: 15
; COMPUTE_PGM_RSRC2:TRAP_HANDLER: 0
; COMPUTE_PGM_RSRC2:TGID_X_EN: 1
; COMPUTE_PGM_RSRC2:TGID_Y_EN: 0
; COMPUTE_PGM_RSRC2:TGID_Z_EN: 0
; COMPUTE_PGM_RSRC2:TIDIG_COMP_CNT: 0
	.section	.text._ZN9rocsolver6v33100L10reset_infoIiiiEEvPT_T0_T1_S4_,"axG",@progbits,_ZN9rocsolver6v33100L10reset_infoIiiiEEvPT_T0_T1_S4_,comdat
	.globl	_ZN9rocsolver6v33100L10reset_infoIiiiEEvPT_T0_T1_S4_ ; -- Begin function _ZN9rocsolver6v33100L10reset_infoIiiiEEvPT_T0_T1_S4_
	.p2align	8
	.type	_ZN9rocsolver6v33100L10reset_infoIiiiEEvPT_T0_T1_S4_,@function
_ZN9rocsolver6v33100L10reset_infoIiiiEEvPT_T0_T1_S4_: ; @_ZN9rocsolver6v33100L10reset_infoIiiiEEvPT_T0_T1_S4_
; %bb.0:
	s_clause 0x1
	s_load_b32 s2, s[0:1], 0x24
	s_load_b128 s[4:7], s[0:1], 0x8
	s_waitcnt lgkmcnt(0)
	s_and_b32 s2, s2, 0xffff
	s_delay_alu instid0(SALU_CYCLE_1) | instskip(SKIP_1) | instid1(VALU_DEP_1)
	v_mad_u64_u32 v[1:2], null, s15, s2, v[0:1]
	s_mov_b32 s2, exec_lo
	v_cmpx_gt_i32_e64 s4, v1
	s_cbranch_execz .LBB2_2
; %bb.1:
	s_load_b64 s[0:1], s[0:1], 0x0
	v_ashrrev_i32_e32 v2, 31, v1
	s_mov_b32 s2, s5
	s_delay_alu instid0(SALU_CYCLE_1) | instskip(NEXT) | instid1(VALU_DEP_2)
	v_mad_u64_u32 v[4:5], null, v1, s6, s[2:3]
	v_lshlrev_b64 v[2:3], 2, v[1:2]
	s_waitcnt lgkmcnt(0)
	s_delay_alu instid0(VALU_DEP_1) | instskip(NEXT) | instid1(VALU_DEP_2)
	v_add_co_u32 v0, vcc_lo, s0, v2
	v_add_co_ci_u32_e32 v1, vcc_lo, s1, v3, vcc_lo
	global_store_b32 v[0:1], v4, off
.LBB2_2:
	s_nop 0
	s_sendmsg sendmsg(MSG_DEALLOC_VGPRS)
	s_endpgm
	.section	.rodata,"a",@progbits
	.p2align	6, 0x0
	.amdhsa_kernel _ZN9rocsolver6v33100L10reset_infoIiiiEEvPT_T0_T1_S4_
		.amdhsa_group_segment_fixed_size 0
		.amdhsa_private_segment_fixed_size 0
		.amdhsa_kernarg_size 280
		.amdhsa_user_sgpr_count 15
		.amdhsa_user_sgpr_dispatch_ptr 0
		.amdhsa_user_sgpr_queue_ptr 0
		.amdhsa_user_sgpr_kernarg_segment_ptr 1
		.amdhsa_user_sgpr_dispatch_id 0
		.amdhsa_user_sgpr_private_segment_size 0
		.amdhsa_wavefront_size32 1
		.amdhsa_uses_dynamic_stack 0
		.amdhsa_enable_private_segment 0
		.amdhsa_system_sgpr_workgroup_id_x 1
		.amdhsa_system_sgpr_workgroup_id_y 0
		.amdhsa_system_sgpr_workgroup_id_z 0
		.amdhsa_system_sgpr_workgroup_info 0
		.amdhsa_system_vgpr_workitem_id 0
		.amdhsa_next_free_vgpr 6
		.amdhsa_next_free_sgpr 16
		.amdhsa_reserve_vcc 1
		.amdhsa_float_round_mode_32 0
		.amdhsa_float_round_mode_16_64 0
		.amdhsa_float_denorm_mode_32 3
		.amdhsa_float_denorm_mode_16_64 3
		.amdhsa_dx10_clamp 1
		.amdhsa_ieee_mode 1
		.amdhsa_fp16_overflow 0
		.amdhsa_workgroup_processor_mode 1
		.amdhsa_memory_ordered 1
		.amdhsa_forward_progress 0
		.amdhsa_shared_vgpr_count 0
		.amdhsa_exception_fp_ieee_invalid_op 0
		.amdhsa_exception_fp_denorm_src 0
		.amdhsa_exception_fp_ieee_div_zero 0
		.amdhsa_exception_fp_ieee_overflow 0
		.amdhsa_exception_fp_ieee_underflow 0
		.amdhsa_exception_fp_ieee_inexact 0
		.amdhsa_exception_int_div_zero 0
	.end_amdhsa_kernel
	.section	.text._ZN9rocsolver6v33100L10reset_infoIiiiEEvPT_T0_T1_S4_,"axG",@progbits,_ZN9rocsolver6v33100L10reset_infoIiiiEEvPT_T0_T1_S4_,comdat
.Lfunc_end2:
	.size	_ZN9rocsolver6v33100L10reset_infoIiiiEEvPT_T0_T1_S4_, .Lfunc_end2-_ZN9rocsolver6v33100L10reset_infoIiiiEEvPT_T0_T1_S4_
                                        ; -- End function
	.section	.AMDGPU.csdata,"",@progbits
; Kernel info:
; codeLenInByte = 136
; NumSgprs: 18
; NumVgprs: 6
; ScratchSize: 0
; MemoryBound: 0
; FloatMode: 240
; IeeeMode: 1
; LDSByteSize: 0 bytes/workgroup (compile time only)
; SGPRBlocks: 2
; VGPRBlocks: 0
; NumSGPRsForWavesPerEU: 18
; NumVGPRsForWavesPerEU: 6
; Occupancy: 16
; WaveLimiterHint : 0
; COMPUTE_PGM_RSRC2:SCRATCH_EN: 0
; COMPUTE_PGM_RSRC2:USER_SGPR: 15
; COMPUTE_PGM_RSRC2:TRAP_HANDLER: 0
; COMPUTE_PGM_RSRC2:TGID_X_EN: 1
; COMPUTE_PGM_RSRC2:TGID_Y_EN: 0
; COMPUTE_PGM_RSRC2:TGID_Z_EN: 0
; COMPUTE_PGM_RSRC2:TIDIG_COMP_CNT: 0
	.section	.text._ZN9rocsolver6v33100L16syev_scalar_caseIfPfTnNSt9enable_ifIXnt18rocblas_is_complexIT_EEiE4typeELi0EEEv14rocblas_evect_T0_lPS4_li,"axG",@progbits,_ZN9rocsolver6v33100L16syev_scalar_caseIfPfTnNSt9enable_ifIXnt18rocblas_is_complexIT_EEiE4typeELi0EEEv14rocblas_evect_T0_lPS4_li,comdat
	.globl	_ZN9rocsolver6v33100L16syev_scalar_caseIfPfTnNSt9enable_ifIXnt18rocblas_is_complexIT_EEiE4typeELi0EEEv14rocblas_evect_T0_lPS4_li ; -- Begin function _ZN9rocsolver6v33100L16syev_scalar_caseIfPfTnNSt9enable_ifIXnt18rocblas_is_complexIT_EEiE4typeELi0EEEv14rocblas_evect_T0_lPS4_li
	.p2align	8
	.type	_ZN9rocsolver6v33100L16syev_scalar_caseIfPfTnNSt9enable_ifIXnt18rocblas_is_complexIT_EEiE4typeELi0EEEv14rocblas_evect_T0_lPS4_li,@function
_ZN9rocsolver6v33100L16syev_scalar_caseIfPfTnNSt9enable_ifIXnt18rocblas_is_complexIT_EEiE4typeELi0EEEv14rocblas_evect_T0_lPS4_li: ; @_ZN9rocsolver6v33100L16syev_scalar_caseIfPfTnNSt9enable_ifIXnt18rocblas_is_complexIT_EEiE4typeELi0EEEv14rocblas_evect_T0_lPS4_li
; %bb.0:
	s_clause 0x1
	s_load_b32 s2, s[0:1], 0x3c
	s_load_b32 s3, s[0:1], 0x28
	s_waitcnt lgkmcnt(0)
	s_and_b32 s2, s2, 0xffff
	s_delay_alu instid0(SALU_CYCLE_1) | instskip(SKIP_1) | instid1(VALU_DEP_1)
	v_mad_u64_u32 v[1:2], null, s15, s2, v[0:1]
	s_mov_b32 s2, exec_lo
	v_cmpx_gt_i32_e64 s3, v1
	s_cbranch_execz .LBB3_3
; %bb.1:
	s_load_b256 s[4:11], s[0:1], 0x8
	v_ashrrev_i32_e32 v0, 31, v1
	s_load_b32 s0, s[0:1], 0x0
	s_waitcnt lgkmcnt(0)
	v_mul_lo_u32 v4, v1, s7
	s_delay_alu instid0(VALU_DEP_2) | instskip(SKIP_4) | instid1(VALU_DEP_3)
	v_mul_lo_u32 v5, v0, s6
	v_mad_u64_u32 v[2:3], null, v1, s6, 0
	v_mul_lo_u32 v7, v1, s11
	v_mul_lo_u32 v0, v0, s10
	s_cmpk_lg_i32 s0, 0xd3
	v_add3_u32 v3, v3, v4, v5
	v_mad_u64_u32 v[4:5], null, v1, s10, 0
	s_delay_alu instid0(VALU_DEP_2) | instskip(NEXT) | instid1(VALU_DEP_2)
	v_lshlrev_b64 v[2:3], 2, v[2:3]
	v_add3_u32 v5, v5, v7, v0
	s_delay_alu instid0(VALU_DEP_2) | instskip(NEXT) | instid1(VALU_DEP_3)
	v_add_co_u32 v2, vcc_lo, s4, v2
	v_add_co_ci_u32_e32 v3, vcc_lo, s5, v3, vcc_lo
	s_delay_alu instid0(VALU_DEP_3)
	v_lshlrev_b64 v[0:1], 2, v[4:5]
	global_load_b32 v6, v[2:3], off
	v_add_co_u32 v0, vcc_lo, s8, v0
	v_add_co_ci_u32_e32 v1, vcc_lo, s9, v1, vcc_lo
	s_waitcnt vmcnt(0)
	global_store_b32 v[0:1], v6, off
	s_cbranch_scc1 .LBB3_3
; %bb.2:
	v_mov_b32_e32 v0, 1.0
	global_store_b32 v[2:3], v0, off
.LBB3_3:
	s_nop 0
	s_sendmsg sendmsg(MSG_DEALLOC_VGPRS)
	s_endpgm
	.section	.rodata,"a",@progbits
	.p2align	6, 0x0
	.amdhsa_kernel _ZN9rocsolver6v33100L16syev_scalar_caseIfPfTnNSt9enable_ifIXnt18rocblas_is_complexIT_EEiE4typeELi0EEEv14rocblas_evect_T0_lPS4_li
		.amdhsa_group_segment_fixed_size 0
		.amdhsa_private_segment_fixed_size 0
		.amdhsa_kernarg_size 304
		.amdhsa_user_sgpr_count 15
		.amdhsa_user_sgpr_dispatch_ptr 0
		.amdhsa_user_sgpr_queue_ptr 0
		.amdhsa_user_sgpr_kernarg_segment_ptr 1
		.amdhsa_user_sgpr_dispatch_id 0
		.amdhsa_user_sgpr_private_segment_size 0
		.amdhsa_wavefront_size32 1
		.amdhsa_uses_dynamic_stack 0
		.amdhsa_enable_private_segment 0
		.amdhsa_system_sgpr_workgroup_id_x 1
		.amdhsa_system_sgpr_workgroup_id_y 0
		.amdhsa_system_sgpr_workgroup_id_z 0
		.amdhsa_system_sgpr_workgroup_info 0
		.amdhsa_system_vgpr_workitem_id 0
		.amdhsa_next_free_vgpr 8
		.amdhsa_next_free_sgpr 16
		.amdhsa_reserve_vcc 1
		.amdhsa_float_round_mode_32 0
		.amdhsa_float_round_mode_16_64 0
		.amdhsa_float_denorm_mode_32 3
		.amdhsa_float_denorm_mode_16_64 3
		.amdhsa_dx10_clamp 1
		.amdhsa_ieee_mode 1
		.amdhsa_fp16_overflow 0
		.amdhsa_workgroup_processor_mode 1
		.amdhsa_memory_ordered 1
		.amdhsa_forward_progress 0
		.amdhsa_shared_vgpr_count 0
		.amdhsa_exception_fp_ieee_invalid_op 0
		.amdhsa_exception_fp_denorm_src 0
		.amdhsa_exception_fp_ieee_div_zero 0
		.amdhsa_exception_fp_ieee_overflow 0
		.amdhsa_exception_fp_ieee_underflow 0
		.amdhsa_exception_fp_ieee_inexact 0
		.amdhsa_exception_int_div_zero 0
	.end_amdhsa_kernel
	.section	.text._ZN9rocsolver6v33100L16syev_scalar_caseIfPfTnNSt9enable_ifIXnt18rocblas_is_complexIT_EEiE4typeELi0EEEv14rocblas_evect_T0_lPS4_li,"axG",@progbits,_ZN9rocsolver6v33100L16syev_scalar_caseIfPfTnNSt9enable_ifIXnt18rocblas_is_complexIT_EEiE4typeELi0EEEv14rocblas_evect_T0_lPS4_li,comdat
.Lfunc_end3:
	.size	_ZN9rocsolver6v33100L16syev_scalar_caseIfPfTnNSt9enable_ifIXnt18rocblas_is_complexIT_EEiE4typeELi0EEEv14rocblas_evect_T0_lPS4_li, .Lfunc_end3-_ZN9rocsolver6v33100L16syev_scalar_caseIfPfTnNSt9enable_ifIXnt18rocblas_is_complexIT_EEiE4typeELi0EEEv14rocblas_evect_T0_lPS4_li
                                        ; -- End function
	.section	.AMDGPU.csdata,"",@progbits
; Kernel info:
; codeLenInByte = 256
; NumSgprs: 18
; NumVgprs: 8
; ScratchSize: 0
; MemoryBound: 0
; FloatMode: 240
; IeeeMode: 1
; LDSByteSize: 0 bytes/workgroup (compile time only)
; SGPRBlocks: 2
; VGPRBlocks: 0
; NumSGPRsForWavesPerEU: 18
; NumVGPRsForWavesPerEU: 8
; Occupancy: 16
; WaveLimiterHint : 0
; COMPUTE_PGM_RSRC2:SCRATCH_EN: 0
; COMPUTE_PGM_RSRC2:USER_SGPR: 15
; COMPUTE_PGM_RSRC2:TRAP_HANDLER: 0
; COMPUTE_PGM_RSRC2:TGID_X_EN: 1
; COMPUTE_PGM_RSRC2:TGID_Y_EN: 0
; COMPUTE_PGM_RSRC2:TGID_Z_EN: 0
; COMPUTE_PGM_RSRC2:TIDIG_COMP_CNT: 0
	.section	.text._ZN9rocsolver6v33100L18syevj_small_kernelIffPfEEv14rocblas_esort_14rocblas_evect_13rocblas_fill_iT1_iilT0_S7_PS7_iPiS8_lS9_PT_,"axG",@progbits,_ZN9rocsolver6v33100L18syevj_small_kernelIffPfEEv14rocblas_esort_14rocblas_evect_13rocblas_fill_iT1_iilT0_S7_PS7_iPiS8_lS9_PT_,comdat
	.globl	_ZN9rocsolver6v33100L18syevj_small_kernelIffPfEEv14rocblas_esort_14rocblas_evect_13rocblas_fill_iT1_iilT0_S7_PS7_iPiS8_lS9_PT_ ; -- Begin function _ZN9rocsolver6v33100L18syevj_small_kernelIffPfEEv14rocblas_esort_14rocblas_evect_13rocblas_fill_iT1_iilT0_S7_PS7_iPiS8_lS9_PT_
	.p2align	8
	.type	_ZN9rocsolver6v33100L18syevj_small_kernelIffPfEEv14rocblas_esort_14rocblas_evect_13rocblas_fill_iT1_iilT0_S7_PS7_iPiS8_lS9_PT_,@function
_ZN9rocsolver6v33100L18syevj_small_kernelIffPfEEv14rocblas_esort_14rocblas_evect_13rocblas_fill_iT1_iilT0_S7_PS7_iPiS8_lS9_PT_: ; @_ZN9rocsolver6v33100L18syevj_small_kernelIffPfEEv14rocblas_esort_14rocblas_evect_13rocblas_fill_iT1_iilT0_S7_PS7_iPiS8_lS9_PT_
; %bb.0:
	s_mov_b32 s36, s15
	s_clause 0x2
	s_load_b256 s[12:19], s[0:1], 0x0
	s_load_b64 s[2:3], s[0:1], 0x20
	s_load_b64 s[6:7], s[0:1], 0x60
	s_ashr_i32 s37, s36, 31
	s_load_b256 s[20:27], s[0:1], 0x40
	s_waitcnt lgkmcnt(0)
	s_lshr_b32 s4, s15, 31
	s_mul_i32 s3, s36, s3
	s_add_i32 s4, s15, s4
	s_mul_hi_u32 s5, s36, s2
	s_and_b32 s4, s4, -2
	s_mul_i32 s10, s37, s2
	s_sub_i32 s50, s15, s4
	s_add_i32 s3, s5, s3
	s_add_i32 s50, s50, s15
	s_mul_i32 s2, s36, s2
	s_lshr_b32 s4, s50, 31
	s_add_i32 s3, s3, s10
	s_add_i32 s10, s50, s4
	s_lshl_b64 s[4:5], s[2:3], 2
	s_ashr_i32 s9, s18, 31
	s_mov_b32 s8, s18
	s_ashr_i32 s28, s10, 1
	s_mul_i32 s11, s36, s15
	s_add_u32 s3, s16, s4
	s_addc_u32 s18, s17, s5
	s_lshl_b64 s[42:43], s[8:9], 2
	s_mul_i32 s2, s11, s15
	s_add_u32 s10, s3, s42
	s_addc_u32 s11, s18, s43
	s_ashr_i32 s3, s2, 31
	s_delay_alu instid0(SALU_CYCLE_1) | instskip(NEXT) | instid1(SALU_CYCLE_1)
	s_lshl_b64 s[8:9], s[2:3], 2
	s_add_u32 s30, s6, s8
	s_addc_u32 s31, s7, s9
	s_min_i32 s33, s28, 0x100
	s_delay_alu instid0(SALU_CYCLE_1) | instskip(SKIP_3) | instid1(VALU_DEP_1)
	s_abs_i32 s2, s33
	s_ashr_i32 s47, s33, 31
	v_cvt_f32_u32_e32 v1, s2
	s_sub_i32 s18, 0, s2
	v_rcp_iflag_f32_e32 v1, v1
	s_waitcnt_depctr 0xfff
	v_mul_f32_e32 v1, 0x4f7ffffe, v1
	s_delay_alu instid0(VALU_DEP_1) | instskip(NEXT) | instid1(VALU_DEP_1)
	v_cvt_u32_f32_e32 v1, v1
	v_readfirstlane_b32 s3, v1
	s_delay_alu instid0(VALU_DEP_1) | instskip(NEXT) | instid1(SALU_CYCLE_1)
	s_mul_i32 s18, s18, s3
	s_mul_hi_u32 s18, s3, s18
	s_delay_alu instid0(SALU_CYCLE_1) | instskip(NEXT) | instid1(SALU_CYCLE_1)
	s_add_i32 s3, s3, s18
	v_mul_hi_u32 v1, v0, s3
	s_lshr_b32 s3, s3, 22
	s_delay_alu instid0(SALU_CYCLE_1) | instskip(SKIP_2) | instid1(SALU_CYCLE_1)
	s_mul_i32 s18, s3, s2
	s_add_i32 s29, s3, 1
	s_sub_i32 s18, 0x400, s18
	s_sub_i32 s34, s18, s2
	s_delay_alu instid0(VALU_DEP_1)
	v_mul_lo_u32 v2, v1, s2
	v_add_nc_u32_e32 v3, 1, v1
	s_cmp_ge_u32 s18, s2
	s_cselect_b32 s3, s29, s3
	s_cselect_b32 s18, s34, s18
	s_add_i32 s29, s3, 1
	s_cmp_ge_u32 s18, s2
	s_delay_alu instid0(VALU_DEP_2) | instskip(NEXT) | instid1(VALU_DEP_1)
	v_sub_nc_u32_e32 v2, v0, v2
	v_subrev_nc_u32_e32 v4, s2, v2
	v_cmp_le_u32_e32 vcc_lo, s2, v2
	s_delay_alu instid0(VALU_DEP_2) | instskip(NEXT) | instid1(VALU_DEP_1)
	v_dual_cndmask_b32 v2, v2, v4 :: v_dual_cndmask_b32 v1, v1, v3
	v_cmp_le_u32_e32 vcc_lo, s2, v2
	s_delay_alu instid0(VALU_DEP_2) | instskip(SKIP_1) | instid1(SALU_CYCLE_1)
	v_add_nc_u32_e32 v3, 1, v1
	s_cselect_b32 s2, s29, s3
	s_xor_b32 s2, s2, s47
	s_delay_alu instid0(VALU_DEP_1) | instskip(SKIP_1) | instid1(SALU_CYCLE_1)
	v_cndmask_b32_e32 v1, v1, v3, vcc_lo
	s_sub_i32 s34, s2, s47
	s_min_i32 s18, s28, s34
	s_delay_alu instid0(VALU_DEP_1) | instskip(SKIP_1) | instid1(SALU_CYCLE_1)
	v_xor_b32_e32 v3, s47, v1
	s_lshl_b32 s46, s18, 2
	s_add_i32 s51, s46, 0
	s_delay_alu instid0(VALU_DEP_1) | instskip(NEXT) | instid1(VALU_DEP_1)
	v_subrev_nc_u32_e32 v1, s47, v3
	v_mul_lo_u32 v17, v1, s33
	s_delay_alu instid0(VALU_DEP_1) | instskip(NEXT) | instid1(VALU_DEP_1)
	v_sub_nc_u32_e32 v18, v0, v17
	v_cmp_eq_u32_e64 s2, 0, v18
	s_delay_alu instid0(VALU_DEP_1)
	s_and_saveexec_b32 s44, s2
	s_cbranch_execz .LBB4_32
; %bb.1:
	v_cmp_gt_i32_e64 s3, s15, v1
	s_cmpk_eq_i32 s14, 0x79
	s_cbranch_scc1 .LBB4_13
; %bb.2:
	v_dual_mov_b32 v16, 0 :: v_dual_mov_b32 v19, 0
	s_mov_b32 s14, 0
	s_and_saveexec_b32 s45, s3
	s_cbranch_execz .LBB4_15
; %bb.3:
	s_cmpk_lg_i32 s13, 0xd5
	v_ashrrev_i32_e32 v2, 31, v1
	s_cselect_b32 s48, -1, 0
	s_add_u32 s49, s6, s8
	s_addc_u32 s52, s7, s9
	s_ashr_i32 s29, s28, 31
	s_ashr_i32 s35, s34, 31
	v_lshlrev_b64 v[8:9], 2, v[1:2]
	v_cmp_lt_i64_e64 s38, s[28:29], s[34:35]
	s_mov_b32 s40, s15
	v_mul_lo_u32 v20, s19, v1
	v_mul_lo_u32 v4, s15, v1
	v_dual_mov_b32 v16, 0 :: v_dual_mov_b32 v21, 1.0
	s_delay_alu instid0(VALU_DEP_4)
	s_and_b32 s38, s38, exec_lo
	s_cselect_b32 s39, s29, s35
	s_cselect_b32 s38, s28, s34
	s_ashr_i32 s41, s15, 31
	s_lshl_b64 s[38:39], s[38:39], 2
	s_lshl_b64 s[40:41], s[40:41], 2
	s_add_u32 s4, s4, s42
	v_add_co_u32 v6, vcc_lo, s49, v8
	s_addc_u32 s5, s5, s43
	s_add_u32 s4, s16, s4
	v_add_co_ci_u32_e32 v7, vcc_lo, s52, v9, vcc_lo
	s_addc_u32 s5, s17, s5
	v_add_co_u32 v8, vcc_lo, s4, v8
	v_add_co_ci_u32_e32 v9, vcc_lo, s5, v9, vcc_lo
	v_dual_mov_b32 v22, 0 :: v_dual_mov_b32 v19, 0
	v_mov_b32_e32 v2, v1
	s_ashr_i32 s17, s19, 31
	s_mov_b32 s16, s19
	s_mul_i32 s53, s19, s18
	s_mul_i32 s5, s15, s18
	s_lshl_b64 s[16:17], s[16:17], 2
	s_mov_b32 s29, 0
	s_branch .LBB4_6
.LBB4_4:                                ;   in Loop: Header=BB4_6 Depth=1
	s_set_inst_prefetch_distance 0x2
	s_or_b32 exec_lo, exec_lo, s42
.LBB4_5:                                ;   in Loop: Header=BB4_6 Depth=1
	s_delay_alu instid0(SALU_CYCLE_1) | instskip(SKIP_3) | instid1(VALU_DEP_3)
	s_or_b32 exec_lo, exec_lo, s35
	v_dual_fmac_f32 v19, v23, v23 :: v_dual_add_nc_u32 v2, s18, v2
	v_add_co_u32 v6, vcc_lo, v6, s38
	v_add_co_ci_u32_e32 v7, vcc_lo, s39, v7, vcc_lo
	v_cmp_le_i32_e32 vcc_lo, s15, v2
	v_add_co_u32 v8, s4, v8, s38
	v_add_nc_u32_e32 v20, s53, v20
	v_add_nc_u32_e32 v4, s5, v4
	v_add_co_ci_u32_e64 v9, s4, s39, v9, s4
	s_or_b32 s29, vcc_lo, s29
	s_delay_alu instid0(SALU_CYCLE_1)
	s_and_not1_b32 exec_lo, exec_lo, s29
	s_cbranch_execz .LBB4_14
.LBB4_6:                                ; =>This Loop Header: Depth=1
                                        ;     Child Loop BB4_11 Depth 2
	v_mad_u64_u32 v[10:11], null, v2, s19, v[2:3]
	v_mad_u64_u32 v[12:13], null, v2, s15, v[2:3]
	s_delay_alu instid0(VALU_DEP_2) | instskip(NEXT) | instid1(VALU_DEP_2)
	v_ashrrev_i32_e32 v11, 31, v10
	v_ashrrev_i32_e32 v13, 31, v12
	s_delay_alu instid0(VALU_DEP_2) | instskip(NEXT) | instid1(VALU_DEP_2)
	v_lshlrev_b64 v[10:11], 2, v[10:11]
	v_lshlrev_b64 v[12:13], 2, v[12:13]
	s_delay_alu instid0(VALU_DEP_2) | instskip(NEXT) | instid1(VALU_DEP_3)
	v_add_co_u32 v10, vcc_lo, s10, v10
	v_add_co_ci_u32_e32 v11, vcc_lo, s11, v11, vcc_lo
	s_delay_alu instid0(VALU_DEP_3) | instskip(NEXT) | instid1(VALU_DEP_4)
	v_add_co_u32 v12, vcc_lo, s30, v12
	v_add_co_ci_u32_e32 v13, vcc_lo, s31, v13, vcc_lo
	global_load_b32 v23, v[10:11], off
	s_and_not1_b32 vcc_lo, exec_lo, s48
	s_waitcnt vmcnt(0)
	global_store_b32 v[12:13], v23, off
	s_cbranch_vccnz .LBB4_8
; %bb.7:                                ;   in Loop: Header=BB4_6 Depth=1
	global_store_b32 v[10:11], v21, off
.LBB4_8:                                ;   in Loop: Header=BB4_6 Depth=1
	s_mov_b32 s35, exec_lo
	v_cmpx_lt_i32_e32 0, v2
	s_cbranch_execz .LBB4_5
; %bb.9:                                ;   in Loop: Header=BB4_6 Depth=1
	v_ashrrev_i32_e32 v5, 31, v4
	v_dual_mov_b32 v11, v9 :: v_dual_mov_b32 v10, v8
	v_dual_mov_b32 v15, v7 :: v_dual_mov_b32 v14, v6
	s_delay_alu instid0(VALU_DEP_3) | instskip(SKIP_2) | instid1(VALU_DEP_1)
	v_lshlrev_b64 v[12:13], 2, v[4:5]
	s_mov_b32 s42, 0
	s_mov_b32 s43, 0
	v_add_co_u32 v12, vcc_lo, s49, v12
	s_delay_alu instid0(VALU_DEP_2)
	v_add_co_ci_u32_e32 v13, vcc_lo, s52, v13, vcc_lo
	s_set_inst_prefetch_distance 0x1
	s_branch .LBB4_11
	.p2align	6
.LBB4_10:                               ;   in Loop: Header=BB4_11 Depth=2
	v_add_co_u32 v12, vcc_lo, v12, 4
	v_add_co_ci_u32_e32 v13, vcc_lo, 0, v13, vcc_lo
	v_mul_f32_e32 v5, v5, v5
	v_add_co_u32 v14, vcc_lo, v14, s40
	s_add_i32 s43, s43, 1
	v_add_co_ci_u32_e32 v15, vcc_lo, s41, v15, vcc_lo
	v_cmp_ge_i32_e32 vcc_lo, s43, v2
	v_add_co_u32 v10, s4, v10, s16
	v_fmac_f32_e32 v16, 2.0, v5
	v_add_co_ci_u32_e64 v11, s4, s17, v11, s4
	s_or_b32 s42, vcc_lo, s42
	s_delay_alu instid0(SALU_CYCLE_1)
	s_and_not1_b32 exec_lo, exec_lo, s42
	s_cbranch_execz .LBB4_4
.LBB4_11:                               ;   Parent Loop BB4_6 Depth=1
                                        ; =>  This Inner Loop Header: Depth=2
	global_load_b32 v5, v[10:11], off
	s_and_not1_b32 vcc_lo, exec_lo, s48
	s_waitcnt vmcnt(0)
	global_store_b32 v[14:15], v5, off
	global_store_b32 v[12:13], v5, off
	s_cbranch_vccnz .LBB4_10
; %bb.12:                               ;   in Loop: Header=BB4_11 Depth=2
	v_add_nc_u32_e32 v24, s43, v20
	s_delay_alu instid0(VALU_DEP_1) | instskip(NEXT) | instid1(VALU_DEP_1)
	v_ashrrev_i32_e32 v25, 31, v24
	v_lshlrev_b64 v[24:25], 2, v[24:25]
	s_delay_alu instid0(VALU_DEP_1) | instskip(NEXT) | instid1(VALU_DEP_2)
	v_add_co_u32 v24, vcc_lo, s10, v24
	v_add_co_ci_u32_e32 v25, vcc_lo, s11, v25, vcc_lo
	global_store_b32 v[10:11], v22, off
	global_store_b32 v[24:25], v22, off
	s_branch .LBB4_10
.LBB4_13:
                                        ; implicit-def: $vgpr16
                                        ; implicit-def: $vgpr19
	s_branch .LBB4_16
.LBB4_14:
	s_or_b32 exec_lo, exec_lo, s29
.LBB4_15:
	s_delay_alu instid0(SALU_CYCLE_1) | instskip(NEXT) | instid1(SALU_CYCLE_1)
	s_or_b32 exec_lo, exec_lo, s45
	s_and_not1_b32 vcc_lo, exec_lo, s14
	s_cbranch_vccnz .LBB4_29
.LBB4_16:
	v_dual_mov_b32 v16, 0 :: v_dual_mov_b32 v19, 0
	s_and_saveexec_b32 s5, s3
	s_cbranch_execz .LBB4_28
; %bb.17:
	s_cmpk_lg_i32 s13, 0xd5
	v_mul_lo_u32 v13, s19, v1
	s_cselect_b32 s14, -1, 0
	s_add_i32 s4, s15, -1
	v_dual_mov_b32 v16, 0 :: v_dual_mov_b32 v21, 0
	v_mad_u64_u32 v[6:7], null, s15, s4, v[3:4]
	v_mad_u64_u32 v[7:8], null, s19, s4, v[3:4]
	;; [unrolled: 1-line block ×3, first 2 shown]
	v_dual_mov_b32 v20, 1.0 :: v_dual_mov_b32 v19, 0
	s_delay_alu instid0(VALU_DEP_4)
	v_subrev_nc_u32_e32 v14, s47, v6
	v_mov_b32_e32 v2, v1
	v_subrev_nc_u32_e32 v15, s47, v7
	s_add_u32 s17, s6, s8
	s_mul_i32 s16, s19, s18
	s_addc_u32 s29, s7, s9
	s_mul_i32 s38, s15, s18
	s_mov_b32 s35, 0
	s_branch .LBB4_20
.LBB4_18:                               ;   in Loop: Header=BB4_20 Depth=1
	s_set_inst_prefetch_distance 0x2
	s_or_b32 exec_lo, exec_lo, s40
.LBB4_19:                               ;   in Loop: Header=BB4_20 Depth=1
	s_delay_alu instid0(SALU_CYCLE_1) | instskip(SKIP_4) | instid1(VALU_DEP_4)
	s_or_b32 exec_lo, exec_lo, s39
	v_add_nc_u32_e32 v2, s18, v2
	v_dual_fmac_f32 v19, v22, v22 :: v_dual_add_nc_u32 v4, s38, v4
	v_add_nc_u32_e32 v13, s16, v13
	v_add_nc_u32_e32 v14, s18, v14
	v_cmp_le_i32_e32 vcc_lo, s15, v2
	v_add_nc_u32_e32 v15, s18, v15
	s_or_b32 s35, vcc_lo, s35
	s_delay_alu instid0(SALU_CYCLE_1)
	s_and_not1_b32 exec_lo, exec_lo, s35
	s_cbranch_execz .LBB4_27
.LBB4_20:                               ; =>This Loop Header: Depth=1
                                        ;     Child Loop BB4_25 Depth 2
	v_mad_u64_u32 v[5:6], null, v2, s19, v[2:3]
	v_mad_u64_u32 v[7:8], null, v2, s15, v[2:3]
	s_delay_alu instid0(VALU_DEP_2) | instskip(NEXT) | instid1(VALU_DEP_2)
	v_ashrrev_i32_e32 v6, 31, v5
	v_ashrrev_i32_e32 v8, 31, v7
	s_delay_alu instid0(VALU_DEP_2) | instskip(NEXT) | instid1(VALU_DEP_2)
	v_lshlrev_b64 v[5:6], 2, v[5:6]
	v_lshlrev_b64 v[7:8], 2, v[7:8]
	s_delay_alu instid0(VALU_DEP_2) | instskip(NEXT) | instid1(VALU_DEP_3)
	v_add_co_u32 v5, vcc_lo, s10, v5
	v_add_co_ci_u32_e32 v6, vcc_lo, s11, v6, vcc_lo
	s_delay_alu instid0(VALU_DEP_3) | instskip(NEXT) | instid1(VALU_DEP_4)
	v_add_co_u32 v7, vcc_lo, s30, v7
	v_add_co_ci_u32_e32 v8, vcc_lo, s31, v8, vcc_lo
	global_load_b32 v22, v[5:6], off
	s_and_not1_b32 vcc_lo, exec_lo, s14
	s_waitcnt vmcnt(0)
	global_store_b32 v[7:8], v22, off
	s_cbranch_vccnz .LBB4_22
; %bb.21:                               ;   in Loop: Header=BB4_20 Depth=1
	global_store_b32 v[5:6], v20, off
.LBB4_22:                               ;   in Loop: Header=BB4_20 Depth=1
	s_mov_b32 s39, exec_lo
	v_cmpx_gt_i32_e64 s4, v2
	s_cbranch_execz .LBB4_19
; %bb.23:                               ;   in Loop: Header=BB4_20 Depth=1
	v_ashrrev_i32_e32 v5, 31, v4
	v_mov_b32_e32 v9, v14
	s_mov_b32 s40, 0
	s_mov_b32 s41, s4
	s_delay_alu instid0(VALU_DEP_2) | instskip(SKIP_1) | instid1(VALU_DEP_2)
	v_lshlrev_b64 v[7:8], 2, v[4:5]
	v_mov_b32_e32 v5, v15
	v_add_co_u32 v7, vcc_lo, s17, v7
	s_delay_alu instid0(VALU_DEP_3)
	v_add_co_ci_u32_e32 v8, vcc_lo, s29, v8, vcc_lo
	s_set_inst_prefetch_distance 0x1
	s_branch .LBB4_25
	.p2align	6
.LBB4_24:                               ;   in Loop: Header=BB4_25 Depth=2
	v_mul_f32_e32 v6, v6, v6
	s_add_i32 s41, s41, -1
	v_add_co_u32 v7, s3, v7, -4
	v_cmp_le_i32_e32 vcc_lo, s41, v2
	s_delay_alu instid0(VALU_DEP_3) | instskip(SKIP_4) | instid1(SALU_CYCLE_1)
	v_fmac_f32_e32 v16, 2.0, v6
	v_add_co_ci_u32_e64 v8, s3, -1, v8, s3
	v_subrev_nc_u32_e32 v9, s15, v9
	v_subrev_nc_u32_e32 v5, s19, v5
	s_or_b32 s40, vcc_lo, s40
	s_and_not1_b32 exec_lo, exec_lo, s40
	s_cbranch_execz .LBB4_18
.LBB4_25:                               ;   Parent Loop BB4_20 Depth=1
                                        ; =>  This Inner Loop Header: Depth=2
	s_delay_alu instid0(VALU_DEP_1) | instskip(SKIP_1) | instid1(VALU_DEP_2)
	v_ashrrev_i32_e32 v6, 31, v5
	v_ashrrev_i32_e32 v10, 31, v9
	v_lshlrev_b64 v[11:12], 2, v[5:6]
	s_delay_alu instid0(VALU_DEP_2) | instskip(NEXT) | instid1(VALU_DEP_2)
	v_lshlrev_b64 v[23:24], 2, v[9:10]
	v_add_co_u32 v11, vcc_lo, s10, v11
	s_delay_alu instid0(VALU_DEP_3) | instskip(NEXT) | instid1(VALU_DEP_3)
	v_add_co_ci_u32_e32 v12, vcc_lo, s11, v12, vcc_lo
	v_add_co_u32 v23, vcc_lo, s30, v23
	s_delay_alu instid0(VALU_DEP_4)
	v_add_co_ci_u32_e32 v24, vcc_lo, s31, v24, vcc_lo
	global_load_b32 v6, v[11:12], off
	s_and_not1_b32 vcc_lo, exec_lo, s14
	s_waitcnt vmcnt(0)
	global_store_b32 v[23:24], v6, off
	global_store_b32 v[7:8], v6, off
	s_cbranch_vccnz .LBB4_24
; %bb.26:                               ;   in Loop: Header=BB4_25 Depth=2
	v_add_nc_u32_e32 v23, s41, v13
	s_delay_alu instid0(VALU_DEP_1) | instskip(NEXT) | instid1(VALU_DEP_1)
	v_ashrrev_i32_e32 v24, 31, v23
	v_lshlrev_b64 v[23:24], 2, v[23:24]
	s_delay_alu instid0(VALU_DEP_1) | instskip(NEXT) | instid1(VALU_DEP_2)
	v_add_co_u32 v23, vcc_lo, s10, v23
	v_add_co_ci_u32_e32 v24, vcc_lo, s11, v24, vcc_lo
	s_clause 0x1
	global_store_b32 v[11:12], v21, off
	global_store_b32 v[23:24], v21, off
	s_branch .LBB4_24
.LBB4_27:
	s_or_b32 exec_lo, exec_lo, s35
.LBB4_28:
	s_delay_alu instid0(SALU_CYCLE_1)
	s_or_b32 exec_lo, exec_lo, s5
.LBB4_29:
	v_lshlrev_b32_e32 v2, 2, v1
	v_cmp_gt_i32_e32 vcc_lo, s28, v1
	s_mov_b32 s3, 0
	s_delay_alu instid0(VALU_DEP_2)
	v_add_nc_u32_e32 v4, 0, v2
	v_add_nc_u32_e32 v2, s51, v2
	ds_store_b32 v4, v16
	ds_store_b32 v2, v19
	s_and_b32 exec_lo, exec_lo, vcc_lo
	s_cbranch_execz .LBB4_32
; %bb.30:
	v_lshlrev_b32_e32 v2, 2, v3
	s_lshl_b32 s4, s47, 2
	v_lshlrev_b32_e32 v4, 1, v3
	s_lshl_b32 s5, s18, 1
	s_delay_alu instid0(VALU_DEP_2) | instskip(NEXT) | instid1(VALU_DEP_1)
	v_lshl_add_u32 v2, s18, 3, v2
	v_subrev_nc_u32_e32 v5, s4, v2
	s_lshl_b32 s4, s47, 1
	s_delay_alu instid0(SALU_CYCLE_1) | instskip(SKIP_1) | instid1(VALU_DEP_2)
	v_subrev_nc_u32_e32 v2, s4, v4
	s_lshl_b32 s4, s28, 2
	v_dual_mov_b32 v5, v1 :: v_dual_add_nc_u32 v4, 0, v5
.LBB4_31:                               ; =>This Inner Loop Header: Depth=1
	s_delay_alu instid0(VALU_DEP_1)
	v_add_nc_u32_e32 v5, s18, v5
	ds_store_b32 v4, v2
	v_add_nc_u32_e32 v6, 1, v2
	v_add_nc_u32_e32 v7, s4, v4
	;; [unrolled: 1-line block ×3, first 2 shown]
	v_cmp_le_i32_e32 vcc_lo, s28, v5
	v_add_nc_u32_e32 v2, s5, v2
	ds_store_b32 v7, v6
	s_or_b32 s3, vcc_lo, s3
	s_delay_alu instid0(SALU_CYCLE_1)
	s_and_not1_b32 exec_lo, exec_lo, s3
	s_cbranch_execnz .LBB4_31
.LBB4_32:
	s_or_b32 exec_lo, exec_lo, s44
	v_mov_b32_e32 v2, 0
	v_mov_b32_e32 v4, 0
	s_cmp_gt_i32 s18, 0
	s_mov_b32 s3, 0
	s_cselect_b32 s14, -1, 0
	s_cmp_lt_i32 s18, 1
	s_waitcnt lgkmcnt(0)
	s_waitcnt_vscnt null, 0x0
	s_barrier
	buffer_gl0_inv
	s_cbranch_scc1 .LBB4_39
; %bb.33:
	v_mov_b32_e32 v4, 0
	v_mov_b32_e32 v2, 0
	s_cmp_lt_u32 s18, 8
	s_cbranch_scc1 .LBB4_36
; %bb.34:
	v_mov_b32_e32 v4, 0
	s_and_b32 s3, s18, 0x7ffffff8
	s_mov_b32 s4, 0
	s_mov_b32 s5, 0
	s_set_inst_prefetch_distance 0x1
	.p2align	6
.LBB4_35:                               ; =>This Inner Loop Header: Depth=1
	s_add_i32 s16, s4, s46
	v_mov_b32_e32 v9, s4
	v_mov_b32_e32 v21, s16
	s_add_i32 s5, s5, 8
	s_add_i32 s4, s4, 32
	s_cmp_lg_u32 s3, s5
	ds_load_2addr_b64 v[5:8], v9 offset1:1
	ds_load_2addr_b32 v[13:14], v21 offset1:1
	ds_load_2addr_b32 v[15:16], v21 offset0:2 offset1:3
	ds_load_2addr_b64 v[9:12], v9 offset0:2 offset1:3
	ds_load_2addr_b32 v[19:20], v21 offset0:4 offset1:5
	ds_load_2addr_b32 v[21:22], v21 offset0:6 offset1:7
	s_waitcnt lgkmcnt(5)
	v_add_f32_e32 v2, v2, v5
	s_waitcnt lgkmcnt(4)
	v_add_f32_e32 v4, v4, v13
	s_delay_alu instid0(VALU_DEP_2) | instskip(NEXT) | instid1(VALU_DEP_2)
	v_add_f32_e32 v2, v2, v6
	v_add_f32_e32 v4, v4, v14
	s_delay_alu instid0(VALU_DEP_2) | instskip(SKIP_1) | instid1(VALU_DEP_2)
	v_add_f32_e32 v2, v2, v7
	s_waitcnt lgkmcnt(3)
	v_add_f32_e32 v4, v4, v15
	s_delay_alu instid0(VALU_DEP_2) | instskip(NEXT) | instid1(VALU_DEP_2)
	v_add_f32_e32 v2, v2, v8
	v_add_f32_e32 v4, v4, v16
	s_waitcnt lgkmcnt(2)
	s_delay_alu instid0(VALU_DEP_2) | instskip(SKIP_1) | instid1(VALU_DEP_2)
	v_add_f32_e32 v2, v2, v9
	s_waitcnt lgkmcnt(1)
	v_add_f32_e32 v4, v4, v19
	s_delay_alu instid0(VALU_DEP_2) | instskip(NEXT) | instid1(VALU_DEP_2)
	v_add_f32_e32 v2, v2, v10
	v_add_f32_e32 v4, v4, v20
	s_delay_alu instid0(VALU_DEP_2) | instskip(SKIP_1) | instid1(VALU_DEP_2)
	v_add_f32_e32 v2, v2, v11
	s_waitcnt lgkmcnt(0)
	v_add_f32_e32 v4, v4, v21
	s_delay_alu instid0(VALU_DEP_2) | instskip(NEXT) | instid1(VALU_DEP_2)
	v_add_f32_e32 v2, v2, v12
	v_add_f32_e32 v4, v4, v22
	s_cbranch_scc1 .LBB4_35
.LBB4_36:
	s_set_inst_prefetch_distance 0x2
	s_and_b32 s4, s18, 7
	s_delay_alu instid0(SALU_CYCLE_1)
	s_cmp_eq_u32 s4, 0
	s_cbranch_scc1 .LBB4_39
; %bb.37:
	s_lshl_b32 s3, s3, 2
	s_delay_alu instid0(SALU_CYCLE_1)
	s_add_i32 s3, s3, 0
.LBB4_38:                               ; =>This Inner Loop Header: Depth=1
	s_delay_alu instid0(SALU_CYCLE_1) | instskip(NEXT) | instid1(SALU_CYCLE_1)
	s_add_i32 s5, s3, s46
	v_dual_mov_b32 v5, s3 :: v_dual_mov_b32 v6, s5
	s_add_i32 s4, s4, -1
	s_add_i32 s3, s3, 4
	s_cmp_lg_u32 s4, 0
	ds_load_b32 v5, v5
	ds_load_b32 v6, v6
	s_waitcnt lgkmcnt(1)
	v_add_f32_e32 v2, v2, v5
	s_waitcnt lgkmcnt(0)
	v_add_f32_e32 v4, v4, v6
	s_cbranch_scc1 .LBB4_38
.LBB4_39:
	s_clause 0x1
	s_load_b64 s[4:5], s[0:1], 0x28
	s_load_b32 s44, s[0:1], 0x38
	v_add_f32_e32 v4, v4, v2
	s_mov_b32 s45, 0
	s_waitcnt lgkmcnt(0)
	s_delay_alu instid0(VALU_DEP_1) | instskip(SKIP_2) | instid1(VALU_DEP_1)
	v_mul_f32_e32 v4, s4, v4
	s_cmp_gt_i32 s44, 0
	s_cselect_b32 s3, -1, 0
	v_mul_f32_e32 v16, s4, v4
	s_delay_alu instid0(VALU_DEP_1) | instskip(SKIP_1) | instid1(SALU_CYCLE_1)
	v_cmp_gt_f32_e32 vcc_lo, v2, v16
	s_and_b32 s3, s3, vcc_lo
	s_and_not1_b32 vcc_lo, exec_lo, s3
	s_cbranch_vccnz .LBB4_118
; %bb.40:
	s_abs_i32 s16, s18
	v_div_scale_f32 v4, null, s5, s5, 0x800000
	v_cvt_f32_u32_e32 v2, s16
	s_mov_b32 s17, 0x800000
	s_add_i32 s46, s51, s46
	s_delay_alu instid0(VALU_DEP_2)
	v_rcp_f32_e32 v6, v4
	s_lshl_b32 s29, s28, 2
	v_rcp_iflag_f32_e32 v2, v2
	s_add_i32 s35, s28, -1
	v_sub_nc_u32_e32 v7, s47, v3
	s_add_i32 s47, s46, s29
	s_abs_i32 s29, s35
	v_cmp_gt_i32_e64 s3, s28, v18
	v_cmp_gt_i32_e64 s4, s15, v1
	v_mov_b32_e32 v23, 0
	s_waitcnt_depctr 0xfff
	v_fma_f32 v3, -v4, v6, 1.0
	v_dual_mul_f32 v2, 0x4f7ffffe, v2 :: v_dual_lshlrev_b32 v5, 2, v1
	v_lshlrev_b32_e32 v9, 1, v17
                                        ; implicit-def: $vgpr25
                                        ; implicit-def: $vgpr24
	s_delay_alu instid0(VALU_DEP_2) | instskip(NEXT) | instid1(VALU_DEP_3)
	v_dual_fmac_f32 v6, v3, v6 :: v_dual_add_nc_u32 v17, 0, v5
	v_cvt_u32_f32_e32 v2, v2
	v_add_nc_u32_e32 v18, s51, v5
	s_delay_alu instid0(VALU_DEP_2) | instskip(SKIP_3) | instid1(VALU_DEP_3)
	v_readfirstlane_b32 s38, v2
	v_div_scale_f32 v2, vcc_lo, s17, s5, s17
	s_sub_i32 s17, 0, s16
	v_lshlrev_b32_e32 v8, 1, v0
	s_mul_i32 s17, s17, s38
	s_delay_alu instid0(VALU_DEP_2) | instskip(SKIP_1) | instid1(SALU_CYCLE_1)
	v_mul_f32_e32 v3, v2, v6
	s_mul_hi_u32 s17, s38, s17
	s_add_i32 s38, s38, s17
	s_xor_b32 s17, s35, s18
	s_mul_hi_u32 s35, s29, s38
	s_ashr_i32 s17, s17, 31
	s_mul_i32 s38, s35, s16
	v_fma_f32 v10, -v4, v3, v2
	s_sub_i32 s29, s29, s38
	s_add_i32 s38, s35, 1
	s_sub_i32 s39, s29, s16
	s_cmp_ge_u32 s29, s16
	v_fmac_f32_e32 v3, v10, v6
	s_cselect_b32 s35, s38, s35
	s_cselect_b32 s29, s39, s29
	s_add_i32 s38, s35, 1
	s_cmp_ge_u32 s29, s16
	v_fma_f32 v2, -v4, v3, v2
	s_cselect_b32 s16, s38, s35
	s_add_i32 s48, s50, -1
	s_xor_b32 s16, s16, s17
                                        ; implicit-def: $vgpr10
	s_delay_alu instid0(SALU_CYCLE_1)
	s_sub_i32 s49, s16, s17
	s_cmp_gt_i32 s50, 1
	v_div_fmas_f32 v2, v2, v6, v3
	s_cselect_b32 s50, -1, 0
	s_cmp_gt_i32 s49, -1
	v_mad_u64_u32 v[3:4], null, s33, v7, v[0:1]
	s_cselect_b32 s51, -1, 0
	s_add_i32 s52, s15, 1
	s_cmpk_lg_i32 s13, 0xd5
	v_div_fixup_f32 v19, v2, s5, 0x800000
	s_cselect_b32 s53, -1, 0
	s_max_i32 s54, s48, 1
	s_and_b32 s55, s18, 7
	s_cmp_gt_u32 s18, 7
	v_sub_nc_u32_e32 v0, v8, v9
	s_cselect_b32 s56, -1, 0
	s_and_b32 s57, s18, 0x7ffffff8
	s_cmp_lg_u32 s55, 0
	v_ashrrev_i32_e32 v2, 31, v1
	s_cselect_b32 s58, -1, 0
	s_lshl_b32 s16, s33, 1
	s_mul_i32 s5, s15, s33
	s_ashr_i32 s17, s16, 31
	v_or_b32_e32 v20, 1, v0
	s_lshl_b64 s[38:39], s[16:17], 2
	s_lshl_b32 s17, s5, 1
	s_add_u32 s5, s6, s8
	v_lshlrev_b64 v[4:5], 2, v[1:2]
	s_addc_u32 s6, s7, s9
	s_ashr_i32 s29, s28, 31
	s_ashr_i32 s35, s34, 31
	v_mul_lo_u32 v21, s15, v20
	v_cmp_lt_i64_e64 s7, s[28:29], s[34:35]
	v_mul_lo_u32 v22, s15, v0
	v_add_co_u32 v4, vcc_lo, s5, v4
	v_add_co_ci_u32_e32 v5, vcc_lo, s6, v5, vcc_lo
	s_delay_alu instid0(VALU_DEP_4)
	s_and_b32 s5, s7, exec_lo
	s_cselect_b32 s7, s29, s35
	s_cselect_b32 s6, s28, s34
	s_ashr_i32 s9, s15, 31
	s_mov_b32 s8, s15
	s_lshl_b64 s[40:41], s[6:7], 2
	s_lshl_b64 s[42:43], s[8:9], 2
	s_branch .LBB4_42
.LBB4_41:                               ;   in Loop: Header=BB4_42 Depth=1
	s_add_i32 s45, s45, 1
	s_delay_alu instid0(VALU_DEP_1) | instskip(SKIP_2) | instid1(SALU_CYCLE_1)
	v_cmp_gt_f32_e32 vcc_lo, v2, v16
	s_cmp_lt_i32 s45, s44
	s_cselect_b32 s5, -1, 0
	s_and_b32 s5, s5, vcc_lo
	s_delay_alu instid0(SALU_CYCLE_1)
	s_and_b32 vcc_lo, exec_lo, s5
	s_cbranch_vccz .LBB4_118
.LBB4_42:                               ; =>This Loop Header: Depth=1
                                        ;     Child Loop BB4_45 Depth 2
                                        ;       Child Loop BB4_47 Depth 3
                                        ;         Child Loop BB4_72 Depth 4
                                        ;         Child Loop BB4_82 Depth 4
                                        ;     Child Loop BB4_104 Depth 2
                                        ;       Child Loop BB4_106 Depth 3
                                        ;     Child Loop BB4_113 Depth 2
                                        ;     Child Loop BB4_117 Depth 2
	s_and_not1_b32 vcc_lo, exec_lo, s50
	s_cbranch_vccnz .LBB4_100
; %bb.43:                               ;   in Loop: Header=BB4_42 Depth=1
	s_mov_b32 s29, 0
	s_branch .LBB4_45
.LBB4_44:                               ;   in Loop: Header=BB4_45 Depth=2
	s_add_i32 s29, s29, 1
	s_delay_alu instid0(SALU_CYCLE_1)
	s_cmp_eq_u32 s29, s54
	s_cbranch_scc1 .LBB4_100
.LBB4_45:                               ;   Parent Loop BB4_42 Depth=1
                                        ; =>  This Loop Header: Depth=2
                                        ;       Child Loop BB4_47 Depth 3
                                        ;         Child Loop BB4_72 Depth 4
                                        ;         Child Loop BB4_82 Depth 4
	s_and_not1_b32 vcc_lo, exec_lo, s51
	s_cbranch_vccnz .LBB4_44
; %bb.46:                               ;   in Loop: Header=BB4_45 Depth=2
	s_mov_b32 s35, 0
.LBB4_47:                               ;   Parent Loop BB4_42 Depth=1
                                        ;     Parent Loop BB4_45 Depth=2
                                        ; =>    This Loop Header: Depth=3
                                        ;         Child Loop BB4_72 Depth 4
                                        ;         Child Loop BB4_82 Depth 4
	s_delay_alu instid0(SALU_CYCLE_1) | instskip(SKIP_1) | instid1(VALU_DEP_2)
	v_mad_u64_u32 v[6:7], null, s35, s18, v[1:2]
	v_mov_b32_e32 v7, s15
	v_cmp_gt_i32_e64 s5, s28, v6
	s_delay_alu instid0(VALU_DEP_1)
	s_and_saveexec_b32 s6, s5
	s_cbranch_execz .LBB4_49
; %bb.48:                               ;   in Loop: Header=BB4_47 Depth=3
	v_lshl_add_u32 v2, v6, 2, s46
	ds_load_b32 v7, v2
.LBB4_49:                               ;   in Loop: Header=BB4_47 Depth=3
	s_or_b32 exec_lo, exec_lo, s6
	v_mov_b32_e32 v2, s15
	v_lshl_add_u32 v26, v6, 2, s47
	s_and_saveexec_b32 s6, s5
	s_cbranch_execz .LBB4_51
; %bb.50:                               ;   in Loop: Header=BB4_47 Depth=3
	ds_load_b32 v2, v26
.LBB4_51:                               ;   in Loop: Header=BB4_47 Depth=3
	s_or_b32 exec_lo, exec_lo, s6
	s_waitcnt lgkmcnt(0)
	v_cmp_gt_i32_e64 s6, s15, v7
	v_cmp_gt_i32_e64 s7, s15, v2
	s_delay_alu instid0(VALU_DEP_2)
	s_and_b32 s8, s2, s6
	s_delay_alu instid0(VALU_DEP_1) | instid1(SALU_CYCLE_1)
	s_and_b32 s59, s8, s7
	s_delay_alu instid0(SALU_CYCLE_1)
	s_and_saveexec_b32 s9, s59
	s_cbranch_execz .LBB4_67
; %bb.52:                               ;   in Loop: Header=BB4_47 Depth=3
	v_mul_lo_u32 v9, v2, s15
	v_mov_b32_e32 v25, 0
	s_mov_b32 s60, exec_lo
	s_delay_alu instid0(VALU_DEP_2) | instskip(NEXT) | instid1(VALU_DEP_1)
	v_dual_mov_b32 v24, 1.0 :: v_dual_add_nc_u32 v11, v9, v7
	v_ashrrev_i32_e32 v12, 31, v11
	s_delay_alu instid0(VALU_DEP_1) | instskip(NEXT) | instid1(VALU_DEP_1)
	v_lshlrev_b64 v[11:12], 2, v[11:12]
	v_add_co_u32 v11, vcc_lo, s30, v11
	s_delay_alu instid0(VALU_DEP_2) | instskip(SKIP_3) | instid1(VALU_DEP_1)
	v_add_co_ci_u32_e32 v12, vcc_lo, s31, v12, vcc_lo
	global_load_b32 v8, v[11:12], off
	s_waitcnt vmcnt(0)
	v_mul_f32_e32 v11, v8, v8
	v_cmpx_nlt_f32_e32 v11, v19
	s_cbranch_execz .LBB4_66
; %bb.53:                               ;   in Loop: Header=BB4_47 Depth=3
	v_add_nc_u32_e32 v11, v9, v2
	v_mul_lo_u32 v13, v7, s52
	v_add_f32_e64 v9, |v8|, |v8|
	s_mov_b32 s8, exec_lo
	s_delay_alu instid0(VALU_DEP_3) | instskip(NEXT) | instid1(VALU_DEP_3)
	v_ashrrev_i32_e32 v12, 31, v11
	v_ashrrev_i32_e32 v14, 31, v13
	s_delay_alu instid0(VALU_DEP_2) | instskip(NEXT) | instid1(VALU_DEP_2)
	v_lshlrev_b64 v[11:12], 2, v[11:12]
	v_lshlrev_b64 v[13:14], 2, v[13:14]
	s_delay_alu instid0(VALU_DEP_2) | instskip(NEXT) | instid1(VALU_DEP_3)
	v_add_co_u32 v11, vcc_lo, s30, v11
	v_add_co_ci_u32_e32 v12, vcc_lo, s31, v12, vcc_lo
	s_delay_alu instid0(VALU_DEP_3) | instskip(NEXT) | instid1(VALU_DEP_4)
	v_add_co_u32 v13, vcc_lo, s30, v13
	v_add_co_ci_u32_e32 v14, vcc_lo, s31, v14, vcc_lo
	s_clause 0x1
	global_load_b32 v11, v[11:12], off
	global_load_b32 v12, v[13:14], off
	s_waitcnt vmcnt(0)
	v_sub_f32_e32 v11, v11, v12
	s_delay_alu instid0(VALU_DEP_1) | instskip(NEXT) | instid1(VALU_DEP_1)
	v_max_f32_e64 v12, |v11|, |v9|
	v_cvt_f64_f32_e32 v[13:14], v12
	s_delay_alu instid0(VALU_DEP_1) | instskip(NEXT) | instid1(VALU_DEP_1)
	v_frexp_exp_i32_f64_e32 v14, v[13:14]
	v_sub_nc_u32_e32 v13, 0, v14
	s_delay_alu instid0(VALU_DEP_1) | instskip(SKIP_1) | instid1(VALU_DEP_2)
	v_ldexp_f32 v15, |v9|, v13
	v_ldexp_f32 v13, |v11|, v13
	v_mul_f32_e32 v15, v15, v15
	s_delay_alu instid0(VALU_DEP_1) | instskip(NEXT) | instid1(VALU_DEP_1)
	v_fmac_f32_e32 v15, v13, v13
                                        ; implicit-def: $vgpr13
	v_sqrt_f32_e32 v15, v15
	v_cmpx_ngt_f32_e32 0, v11
	s_xor_b32 s8, exec_lo, s8
; %bb.54:                               ;   in Loop: Header=BB4_47 Depth=3
	s_waitcnt_depctr 0xfff
	v_ldexp_f32 v13, v15, v14
	v_cmp_neq_f32_e32 vcc_lo, 0x7f800000, v12
                                        ; implicit-def: $vgpr15
                                        ; implicit-def: $vgpr14
                                        ; implicit-def: $vgpr12
	s_delay_alu instid0(VALU_DEP_2)
	v_cndmask_b32_e32 v13, 0x7f800000, v13, vcc_lo
; %bb.55:                               ;   in Loop: Header=BB4_47 Depth=3
	s_and_not1_saveexec_b32 s8, s8
; %bb.56:                               ;   in Loop: Header=BB4_47 Depth=3
	v_ldexp_f32 v13, -v15, v14
	v_cmp_neq_f32_e32 vcc_lo, 0x7f800000, v12
	s_delay_alu instid0(VALU_DEP_2)
	v_cndmask_b32_e32 v13, 0xff800000, v13, vcc_lo
; %bb.57:                               ;   in Loop: Header=BB4_47 Depth=3
	s_or_b32 exec_lo, exec_lo, s8
	v_mov_b32_e32 v24, 1.0
	v_mov_b32_e32 v12, 0
	s_mov_b32 s61, exec_lo
	v_cmpx_neq_f32_e32 0, v9
	s_cbranch_execz .LBB4_65
; %bb.58:                               ;   in Loop: Header=BB4_47 Depth=3
	v_dual_add_f32 v11, v11, v13 :: v_dual_mov_b32 v12, 1.0
	v_mov_b32_e32 v24, 0
	s_mov_b32 s62, exec_lo
	s_delay_alu instid0(VALU_DEP_2)
	v_cmpx_neq_f32_e32 0, v11
	s_cbranch_execz .LBB4_64
; %bb.59:                               ;   in Loop: Header=BB4_47 Depth=3
	s_mov_b32 s63, exec_lo
                                        ; implicit-def: $vgpr12
                                        ; implicit-def: $vgpr24
	v_cmpx_ngt_f32_e64 |v9|, |v11|
	s_xor_b32 s63, exec_lo, s63
	s_cbranch_execz .LBB4_61
; %bb.60:                               ;   in Loop: Header=BB4_47 Depth=3
	v_div_scale_f32 v12, null, v11, v11, -v9
	v_div_scale_f32 v15, vcc_lo, -v9, v11, -v9
	s_delay_alu instid0(VALU_DEP_2) | instskip(SKIP_2) | instid1(VALU_DEP_1)
	v_rcp_f32_e32 v13, v12
	s_waitcnt_depctr 0xfff
	v_fma_f32 v14, -v12, v13, 1.0
	v_fmac_f32_e32 v13, v14, v13
	s_delay_alu instid0(VALU_DEP_1) | instskip(NEXT) | instid1(VALU_DEP_1)
	v_mul_f32_e32 v14, v15, v13
	v_fma_f32 v24, -v12, v14, v15
	s_delay_alu instid0(VALU_DEP_1) | instskip(NEXT) | instid1(VALU_DEP_1)
	v_fmac_f32_e32 v14, v24, v13
	v_fma_f32 v12, -v12, v14, v15
	s_delay_alu instid0(VALU_DEP_1) | instskip(NEXT) | instid1(VALU_DEP_1)
	v_div_fmas_f32 v12, v12, v13, v14
	v_div_fixup_f32 v9, v12, v11, -v9
	s_delay_alu instid0(VALU_DEP_1) | instskip(NEXT) | instid1(VALU_DEP_1)
	v_fma_f32 v11, v9, v9, 1.0
	v_mul_f32_e32 v12, 0x4f800000, v11
	v_cmp_gt_f32_e32 vcc_lo, 0xf800000, v11
	s_delay_alu instid0(VALU_DEP_2) | instskip(NEXT) | instid1(VALU_DEP_1)
	v_cndmask_b32_e32 v11, v11, v12, vcc_lo
	v_sqrt_f32_e32 v12, v11
	s_waitcnt_depctr 0xfff
	v_add_nc_u32_e32 v13, -1, v12
	v_add_nc_u32_e32 v14, 1, v12
	s_delay_alu instid0(VALU_DEP_2) | instskip(NEXT) | instid1(VALU_DEP_2)
	v_fma_f32 v15, -v13, v12, v11
	v_fma_f32 v24, -v14, v12, v11
	s_delay_alu instid0(VALU_DEP_2) | instskip(NEXT) | instid1(VALU_DEP_1)
	v_cmp_ge_f32_e64 s8, 0, v15
	v_cndmask_b32_e64 v12, v12, v13, s8
	s_delay_alu instid0(VALU_DEP_3) | instskip(NEXT) | instid1(VALU_DEP_1)
	v_cmp_lt_f32_e64 s8, 0, v24
	v_cndmask_b32_e64 v12, v12, v14, s8
	s_delay_alu instid0(VALU_DEP_1) | instskip(NEXT) | instid1(VALU_DEP_1)
	v_mul_f32_e32 v13, 0x37800000, v12
	v_cndmask_b32_e32 v12, v12, v13, vcc_lo
	v_cmp_class_f32_e64 vcc_lo, v11, 0x260
	s_delay_alu instid0(VALU_DEP_2) | instskip(NEXT) | instid1(VALU_DEP_1)
	v_cndmask_b32_e32 v11, v12, v11, vcc_lo
	v_div_scale_f32 v12, null, v11, v11, 1.0
	s_delay_alu instid0(VALU_DEP_1) | instskip(SKIP_2) | instid1(VALU_DEP_1)
	v_rcp_f32_e32 v13, v12
	s_waitcnt_depctr 0xfff
	v_fma_f32 v14, -v12, v13, 1.0
	v_fmac_f32_e32 v13, v14, v13
	v_div_scale_f32 v14, vcc_lo, 1.0, v11, 1.0
	s_delay_alu instid0(VALU_DEP_1) | instskip(NEXT) | instid1(VALU_DEP_1)
	v_mul_f32_e32 v15, v14, v13
	v_fma_f32 v24, -v12, v15, v14
	s_delay_alu instid0(VALU_DEP_1) | instskip(NEXT) | instid1(VALU_DEP_1)
	v_fmac_f32_e32 v15, v24, v13
	v_fma_f32 v12, -v12, v15, v14
	s_delay_alu instid0(VALU_DEP_1) | instskip(NEXT) | instid1(VALU_DEP_1)
	v_div_fmas_f32 v12, v12, v13, v15
	v_div_fixup_f32 v24, v12, v11, 1.0
                                        ; implicit-def: $vgpr11
	s_delay_alu instid0(VALU_DEP_1)
	v_mul_f32_e32 v12, v9, v24
                                        ; implicit-def: $vgpr9
.LBB4_61:                               ;   in Loop: Header=BB4_47 Depth=3
	s_and_not1_saveexec_b32 s63, s63
	s_cbranch_execz .LBB4_63
; %bb.62:                               ;   in Loop: Header=BB4_47 Depth=3
	v_div_scale_f32 v12, null, v9, v9, -v11
	v_div_scale_f32 v15, vcc_lo, -v11, v9, -v11
	s_delay_alu instid0(VALU_DEP_2) | instskip(SKIP_2) | instid1(VALU_DEP_1)
	v_rcp_f32_e32 v13, v12
	s_waitcnt_depctr 0xfff
	v_fma_f32 v14, -v12, v13, 1.0
	v_fmac_f32_e32 v13, v14, v13
	s_delay_alu instid0(VALU_DEP_1) | instskip(NEXT) | instid1(VALU_DEP_1)
	v_mul_f32_e32 v14, v15, v13
	v_fma_f32 v24, -v12, v14, v15
	s_delay_alu instid0(VALU_DEP_1) | instskip(NEXT) | instid1(VALU_DEP_1)
	v_fmac_f32_e32 v14, v24, v13
	v_fma_f32 v12, -v12, v14, v15
	s_delay_alu instid0(VALU_DEP_1) | instskip(NEXT) | instid1(VALU_DEP_1)
	v_div_fmas_f32 v12, v12, v13, v14
	v_div_fixup_f32 v9, v12, v9, -v11
	s_delay_alu instid0(VALU_DEP_1) | instskip(NEXT) | instid1(VALU_DEP_1)
	v_fma_f32 v11, v9, v9, 1.0
	v_mul_f32_e32 v12, 0x4f800000, v11
	v_cmp_gt_f32_e32 vcc_lo, 0xf800000, v11
	s_delay_alu instid0(VALU_DEP_2) | instskip(NEXT) | instid1(VALU_DEP_1)
	v_cndmask_b32_e32 v11, v11, v12, vcc_lo
	v_sqrt_f32_e32 v12, v11
	s_waitcnt_depctr 0xfff
	v_add_nc_u32_e32 v13, -1, v12
	v_add_nc_u32_e32 v14, 1, v12
	s_delay_alu instid0(VALU_DEP_2) | instskip(NEXT) | instid1(VALU_DEP_2)
	v_fma_f32 v15, -v13, v12, v11
	v_fma_f32 v24, -v14, v12, v11
	s_delay_alu instid0(VALU_DEP_2) | instskip(NEXT) | instid1(VALU_DEP_1)
	v_cmp_ge_f32_e64 s8, 0, v15
	v_cndmask_b32_e64 v12, v12, v13, s8
	s_delay_alu instid0(VALU_DEP_3) | instskip(NEXT) | instid1(VALU_DEP_1)
	v_cmp_lt_f32_e64 s8, 0, v24
	v_cndmask_b32_e64 v12, v12, v14, s8
	s_delay_alu instid0(VALU_DEP_1) | instskip(NEXT) | instid1(VALU_DEP_1)
	v_mul_f32_e32 v13, 0x37800000, v12
	v_cndmask_b32_e32 v12, v12, v13, vcc_lo
	v_cmp_class_f32_e64 vcc_lo, v11, 0x260
	s_delay_alu instid0(VALU_DEP_2) | instskip(NEXT) | instid1(VALU_DEP_1)
	v_cndmask_b32_e32 v11, v12, v11, vcc_lo
	v_div_scale_f32 v12, null, v11, v11, 1.0
	s_delay_alu instid0(VALU_DEP_1) | instskip(SKIP_2) | instid1(VALU_DEP_1)
	v_rcp_f32_e32 v13, v12
	s_waitcnt_depctr 0xfff
	v_fma_f32 v14, -v12, v13, 1.0
	v_fmac_f32_e32 v13, v14, v13
	v_div_scale_f32 v14, vcc_lo, 1.0, v11, 1.0
	s_delay_alu instid0(VALU_DEP_1) | instskip(NEXT) | instid1(VALU_DEP_1)
	v_mul_f32_e32 v15, v14, v13
	v_fma_f32 v24, -v12, v15, v14
	s_delay_alu instid0(VALU_DEP_1) | instskip(NEXT) | instid1(VALU_DEP_1)
	v_fmac_f32_e32 v15, v24, v13
	v_fma_f32 v12, -v12, v15, v14
	s_delay_alu instid0(VALU_DEP_1) | instskip(NEXT) | instid1(VALU_DEP_1)
	v_div_fmas_f32 v12, v12, v13, v15
	v_div_fixup_f32 v12, v12, v11, 1.0
	s_delay_alu instid0(VALU_DEP_1)
	v_mul_f32_e32 v24, v9, v12
.LBB4_63:                               ;   in Loop: Header=BB4_47 Depth=3
	s_or_b32 exec_lo, exec_lo, s63
.LBB4_64:                               ;   in Loop: Header=BB4_47 Depth=3
	s_delay_alu instid0(SALU_CYCLE_1)
	s_or_b32 exec_lo, exec_lo, s62
.LBB4_65:                               ;   in Loop: Header=BB4_47 Depth=3
	s_delay_alu instid0(SALU_CYCLE_1) | instskip(SKIP_2) | instid1(VALU_DEP_1)
	s_or_b32 exec_lo, exec_lo, s61
	v_mul_f32_e32 v9, v8, v12
	v_and_b32_e32 v11, 0x7fffffff, v8
	v_div_scale_f32 v12, null, v11, v11, v9
	v_div_scale_f32 v11, vcc_lo, v9, v11, v9
	s_delay_alu instid0(VALU_DEP_2) | instskip(SKIP_2) | instid1(VALU_DEP_1)
	v_rcp_f32_e32 v13, v12
	s_waitcnt_depctr 0xfff
	v_fma_f32 v14, -v12, v13, 1.0
	v_fmac_f32_e32 v13, v14, v13
	s_delay_alu instid0(VALU_DEP_1) | instskip(NEXT) | instid1(VALU_DEP_1)
	v_mul_f32_e32 v14, v11, v13
	v_fma_f32 v15, -v12, v14, v11
	s_delay_alu instid0(VALU_DEP_1) | instskip(NEXT) | instid1(VALU_DEP_1)
	v_fmac_f32_e32 v14, v15, v13
	v_fma_f32 v11, -v12, v14, v11
	s_delay_alu instid0(VALU_DEP_1) | instskip(NEXT) | instid1(VALU_DEP_1)
	v_div_fmas_f32 v11, v11, v13, v14
	v_div_fixup_f32 v25, v11, |v8|, v9
.LBB4_66:                               ;   in Loop: Header=BB4_47 Depth=3
	s_or_b32 exec_lo, exec_lo, s60
	ds_store_b32 v17, v24
	ds_store_b32 v18, v25
.LBB4_67:                               ;   in Loop: Header=BB4_47 Depth=3
	s_or_b32 exec_lo, exec_lo, s9
	s_and_b32 s6, s6, s7
	s_mov_b32 s8, 0
	s_waitcnt lgkmcnt(0)
	s_barrier
	buffer_gl0_inv
	s_and_saveexec_b32 s7, s6
	s_cbranch_execz .LBB4_79
; %bb.68:                               ;   in Loop: Header=BB4_47 Depth=3
	ds_load_b32 v24, v17
	ds_load_b32 v25, v18
	s_mov_b32 s6, 0
	s_and_saveexec_b32 s60, s3
	s_cbranch_execz .LBB4_78
; %bb.69:                               ;   in Loop: Header=BB4_47 Depth=3
	v_mad_u64_u32 v[8:9], null, v2, s15, v[0:1]
	v_mad_u64_u32 v[10:11], null, v7, s15, v[0:1]
	v_mul_lo_u32 v27, v7, s19
	v_mul_lo_u32 v28, v2, s19
	v_dual_mov_b32 v29, v0 :: v_dual_mov_b32 v30, v3
	v_ashrrev_i32_e32 v9, 31, v8
	s_mov_b32 s61, 0
	v_ashrrev_i32_e32 v11, 31, v10
	s_mov_b64 s[8:9], s[30:31]
	s_delay_alu instid0(VALU_DEP_2) | instskip(NEXT) | instid1(VALU_DEP_2)
	v_lshlrev_b64 v[8:9], 2, v[8:9]
	v_lshlrev_b64 v[10:11], 2, v[10:11]
	s_branch .LBB4_72
.LBB4_70:                               ;   in Loop: Header=BB4_72 Depth=4
	s_or_b32 exec_lo, exec_lo, s62
.LBB4_71:                               ;   in Loop: Header=BB4_72 Depth=4
	v_add_nc_u32_e32 v30, s33, v30
	v_add_nc_u32_e32 v29, s16, v29
	s_add_u32 s8, s8, s38
	s_addc_u32 s9, s9, s39
	s_delay_alu instid0(VALU_DEP_2) | instskip(SKIP_1) | instid1(SALU_CYCLE_1)
	v_cmp_le_i32_e32 vcc_lo, s28, v30
	s_or_b32 s61, vcc_lo, s61
	s_and_not1_b32 exec_lo, exec_lo, s61
	s_cbranch_execz .LBB4_77
.LBB4_72:                               ;   Parent Loop BB4_42 Depth=1
                                        ;     Parent Loop BB4_45 Depth=2
                                        ;       Parent Loop BB4_47 Depth=3
                                        ; =>      This Inner Loop Header: Depth=4
	s_delay_alu instid0(VALU_DEP_2) | instskip(NEXT) | instid1(VALU_DEP_3)
	v_add_co_u32 v12, vcc_lo, s8, v8
	v_add_co_ci_u32_e32 v13, vcc_lo, s9, v9, vcc_lo
	s_delay_alu instid0(VALU_DEP_3) | instskip(NEXT) | instid1(VALU_DEP_4)
	v_add_co_u32 v14, vcc_lo, s8, v10
	v_add_co_ci_u32_e32 v15, vcc_lo, s9, v11, vcc_lo
	s_clause 0x1
	global_load_b32 v31, v[12:13], off
	global_load_b32 v32, v[14:15], off
	v_add_nc_u32_e32 v35, 1, v29
	s_delay_alu instid0(VALU_DEP_1) | instskip(SKIP_4) | instid1(VALU_DEP_2)
	v_cmp_gt_i32_e64 s6, s15, v35
	s_waitcnt vmcnt(1) lgkmcnt(0)
	v_mul_f32_e32 v33, v25, v31
	s_waitcnt vmcnt(0)
	v_mul_f32_e32 v34, v25, v32
	v_fmac_f32_e32 v33, v24, v32
	s_delay_alu instid0(VALU_DEP_2)
	v_fma_f32 v31, v24, v31, -v34
	s_clause 0x1
	global_store_b32 v[14:15], v33, off
	global_store_b32 v[12:13], v31, off
	s_and_saveexec_b32 s62, s6
	s_cbranch_execz .LBB4_74
; %bb.73:                               ;   in Loop: Header=BB4_72 Depth=4
	s_clause 0x1
	global_load_b32 v31, v[12:13], off offset:4
	global_load_b32 v32, v[14:15], off offset:4
	s_waitcnt vmcnt(1)
	v_mul_f32_e32 v33, v25, v31
	s_waitcnt vmcnt(0)
	v_mul_f32_e32 v34, v25, v32
	s_delay_alu instid0(VALU_DEP_2) | instskip(NEXT) | instid1(VALU_DEP_2)
	v_fmac_f32_e32 v33, v24, v32
	v_fma_f32 v31, v24, v31, -v34
	s_clause 0x1
	global_store_b32 v[14:15], v33, off offset:4
	global_store_b32 v[12:13], v31, off offset:4
.LBB4_74:                               ;   in Loop: Header=BB4_72 Depth=4
	s_or_b32 exec_lo, exec_lo, s62
	s_delay_alu instid0(SALU_CYCLE_1)
	s_and_not1_b32 vcc_lo, exec_lo, s53
	s_cbranch_vccnz .LBB4_71
; %bb.75:                               ;   in Loop: Header=BB4_72 Depth=4
	v_add_nc_u32_e32 v12, v28, v29
	v_add_nc_u32_e32 v14, v27, v29
	s_delay_alu instid0(VALU_DEP_2) | instskip(NEXT) | instid1(VALU_DEP_2)
	v_ashrrev_i32_e32 v13, 31, v12
	v_ashrrev_i32_e32 v15, 31, v14
	s_delay_alu instid0(VALU_DEP_2) | instskip(NEXT) | instid1(VALU_DEP_2)
	v_lshlrev_b64 v[12:13], 2, v[12:13]
	v_lshlrev_b64 v[14:15], 2, v[14:15]
	s_delay_alu instid0(VALU_DEP_2) | instskip(NEXT) | instid1(VALU_DEP_3)
	v_add_co_u32 v12, vcc_lo, s10, v12
	v_add_co_ci_u32_e32 v13, vcc_lo, s11, v13, vcc_lo
	s_delay_alu instid0(VALU_DEP_3) | instskip(NEXT) | instid1(VALU_DEP_4)
	v_add_co_u32 v14, vcc_lo, s10, v14
	v_add_co_ci_u32_e32 v15, vcc_lo, s11, v15, vcc_lo
	s_clause 0x1
	global_load_b32 v31, v[12:13], off
	global_load_b32 v32, v[14:15], off
	s_waitcnt vmcnt(1)
	v_mul_f32_e32 v33, v25, v31
	s_waitcnt vmcnt(0)
	v_mul_f32_e32 v34, v25, v32
	s_delay_alu instid0(VALU_DEP_2) | instskip(NEXT) | instid1(VALU_DEP_2)
	v_fmac_f32_e32 v33, v24, v32
	v_fma_f32 v31, v24, v31, -v34
	s_clause 0x1
	global_store_b32 v[14:15], v33, off
	global_store_b32 v[12:13], v31, off
	s_and_saveexec_b32 s62, s6
	s_cbranch_execz .LBB4_70
; %bb.76:                               ;   in Loop: Header=BB4_72 Depth=4
	s_clause 0x1
	global_load_b32 v31, v[12:13], off offset:4
	global_load_b32 v32, v[14:15], off offset:4
	s_waitcnt vmcnt(1)
	v_mul_f32_e32 v33, v25, v31
	s_waitcnt vmcnt(0)
	v_mul_f32_e32 v34, v25, v32
	s_delay_alu instid0(VALU_DEP_2) | instskip(NEXT) | instid1(VALU_DEP_2)
	v_fmac_f32_e32 v33, v24, v32
	v_fma_f32 v31, v24, v31, -v34
	s_clause 0x1
	global_store_b32 v[14:15], v33, off offset:4
	global_store_b32 v[12:13], v31, off offset:4
	s_branch .LBB4_70
.LBB4_77:                               ;   in Loop: Header=BB4_47 Depth=3
	s_or_b32 exec_lo, exec_lo, s61
	s_delay_alu instid0(SALU_CYCLE_1)
	s_mov_b32 s6, exec_lo
.LBB4_78:                               ;   in Loop: Header=BB4_47 Depth=3
	s_or_b32 exec_lo, exec_lo, s60
	s_waitcnt lgkmcnt(0)
	v_mov_b32_e32 v10, v25
	s_and_b32 s8, s6, exec_lo
.LBB4_79:                               ;   in Loop: Header=BB4_47 Depth=3
	s_or_b32 exec_lo, exec_lo, s7
	s_waitcnt_vscnt null, 0x0
	s_barrier
	buffer_gl0_inv
	s_and_saveexec_b32 s6, s8
	s_cbranch_execz .LBB4_84
; %bb.80:                               ;   in Loop: Header=BB4_47 Depth=3
	v_dual_mov_b32 v13, v20 :: v_dual_add_nc_u32 v8, v21, v7
	v_dual_mov_b32 v14, v3 :: v_dual_add_nc_u32 v9, v21, v2
	v_add_nc_u32_e32 v11, v22, v2
	v_add_nc_u32_e32 v12, v22, v7
	s_mov_b32 s7, 0
	s_mov_b32 s8, 0
	s_branch .LBB4_82
.LBB4_81:                               ;   in Loop: Header=BB4_82 Depth=4
	s_or_b32 exec_lo, exec_lo, s9
	v_add_nc_u32_e32 v14, s33, v14
	v_add_nc_u32_e32 v13, s16, v13
	s_add_i32 s8, s8, s17
	s_delay_alu instid0(VALU_DEP_2) | instskip(SKIP_1) | instid1(SALU_CYCLE_1)
	v_cmp_le_i32_e32 vcc_lo, s28, v14
	s_or_b32 s7, vcc_lo, s7
	s_and_not1_b32 exec_lo, exec_lo, s7
	s_cbranch_execz .LBB4_84
.LBB4_82:                               ;   Parent Loop BB4_42 Depth=1
                                        ;     Parent Loop BB4_45 Depth=2
                                        ;       Parent Loop BB4_47 Depth=3
                                        ; =>      This Inner Loop Header: Depth=4
	v_add_nc_u32_e32 v27, s8, v11
	v_add_nc_u32_e32 v29, s8, v12
	s_mov_b32 s9, exec_lo
	s_delay_alu instid0(VALU_DEP_2) | instskip(NEXT) | instid1(VALU_DEP_2)
	v_ashrrev_i32_e32 v28, 31, v27
	v_ashrrev_i32_e32 v30, 31, v29
	s_delay_alu instid0(VALU_DEP_2) | instskip(NEXT) | instid1(VALU_DEP_2)
	v_lshlrev_b64 v[27:28], 2, v[27:28]
	v_lshlrev_b64 v[29:30], 2, v[29:30]
	s_delay_alu instid0(VALU_DEP_2) | instskip(NEXT) | instid1(VALU_DEP_3)
	v_add_co_u32 v27, vcc_lo, s30, v27
	v_add_co_ci_u32_e32 v28, vcc_lo, s31, v28, vcc_lo
	s_delay_alu instid0(VALU_DEP_3) | instskip(NEXT) | instid1(VALU_DEP_4)
	v_add_co_u32 v29, vcc_lo, s30, v29
	v_add_co_ci_u32_e32 v30, vcc_lo, s31, v30, vcc_lo
	s_clause 0x1
	global_load_b32 v15, v[27:28], off
	global_load_b32 v31, v[29:30], off
	s_waitcnt vmcnt(1)
	v_mul_f32_e32 v32, v25, v15
	s_waitcnt vmcnt(0)
	v_mul_f32_e32 v33, v10, v31
	s_delay_alu instid0(VALU_DEP_2) | instskip(NEXT) | instid1(VALU_DEP_2)
	v_fmac_f32_e32 v32, v24, v31
	v_fma_f32 v15, v24, v15, -v33
	s_clause 0x1
	global_store_b32 v[29:30], v32, off
	global_store_b32 v[27:28], v15, off
	v_cmpx_gt_i32_e64 s15, v13
	s_cbranch_execz .LBB4_81
; %bb.83:                               ;   in Loop: Header=BB4_82 Depth=4
	v_add_nc_u32_e32 v27, s8, v9
	v_add_nc_u32_e32 v29, s8, v8
	s_delay_alu instid0(VALU_DEP_2) | instskip(NEXT) | instid1(VALU_DEP_2)
	v_ashrrev_i32_e32 v28, 31, v27
	v_ashrrev_i32_e32 v30, 31, v29
	s_delay_alu instid0(VALU_DEP_2) | instskip(NEXT) | instid1(VALU_DEP_2)
	v_lshlrev_b64 v[27:28], 2, v[27:28]
	v_lshlrev_b64 v[29:30], 2, v[29:30]
	s_delay_alu instid0(VALU_DEP_2) | instskip(NEXT) | instid1(VALU_DEP_3)
	v_add_co_u32 v27, vcc_lo, s30, v27
	v_add_co_ci_u32_e32 v28, vcc_lo, s31, v28, vcc_lo
	s_delay_alu instid0(VALU_DEP_3) | instskip(NEXT) | instid1(VALU_DEP_4)
	v_add_co_u32 v29, vcc_lo, s30, v29
	v_add_co_ci_u32_e32 v30, vcc_lo, s31, v30, vcc_lo
	s_clause 0x1
	global_load_b32 v15, v[27:28], off
	global_load_b32 v31, v[29:30], off
	s_waitcnt vmcnt(1)
	v_mul_f32_e32 v32, v25, v15
	s_waitcnt vmcnt(0)
	v_mul_f32_e32 v33, v10, v31
	s_delay_alu instid0(VALU_DEP_2) | instskip(NEXT) | instid1(VALU_DEP_2)
	v_fmac_f32_e32 v32, v24, v31
	v_fma_f32 v15, v24, v15, -v33
	s_clause 0x1
	global_store_b32 v[29:30], v32, off
	global_store_b32 v[27:28], v15, off
	s_branch .LBB4_81
.LBB4_84:                               ;   in Loop: Header=BB4_47 Depth=3
	s_or_b32 exec_lo, exec_lo, s6
	s_waitcnt_vscnt null, 0x0
	s_barrier
	buffer_gl0_inv
	s_and_saveexec_b32 s6, s59
; %bb.85:                               ;   in Loop: Header=BB4_47 Depth=3
	v_mad_u64_u32 v[8:9], null, v2, s15, v[7:8]
	v_mad_u64_u32 v[11:12], null, v7, s15, v[2:3]
	s_delay_alu instid0(VALU_DEP_2) | instskip(NEXT) | instid1(VALU_DEP_2)
	v_ashrrev_i32_e32 v9, 31, v8
	v_ashrrev_i32_e32 v12, 31, v11
	s_delay_alu instid0(VALU_DEP_2) | instskip(NEXT) | instid1(VALU_DEP_2)
	v_lshlrev_b64 v[8:9], 2, v[8:9]
	v_lshlrev_b64 v[11:12], 2, v[11:12]
	s_delay_alu instid0(VALU_DEP_2) | instskip(NEXT) | instid1(VALU_DEP_3)
	v_add_co_u32 v8, vcc_lo, s30, v8
	v_add_co_ci_u32_e32 v9, vcc_lo, s31, v9, vcc_lo
	s_delay_alu instid0(VALU_DEP_3) | instskip(NEXT) | instid1(VALU_DEP_4)
	v_add_co_u32 v11, vcc_lo, s30, v11
	v_add_co_ci_u32_e32 v12, vcc_lo, s31, v12, vcc_lo
	s_clause 0x1
	global_store_b32 v[8:9], v23, off
	global_store_b32 v[11:12], v23, off
; %bb.86:                               ;   in Loop: Header=BB4_47 Depth=3
	s_or_b32 exec_lo, exec_lo, s6
	s_and_b32 s5, s2, s5
	s_waitcnt_vscnt null, 0x0
	s_barrier
	buffer_gl0_inv
	s_and_saveexec_b32 s6, s5
	s_cbranch_execz .LBB4_98
; %bb.87:                               ;   in Loop: Header=BB4_47 Depth=3
	s_mov_b32 s7, exec_lo
	v_cmpx_lt_i32_e32 0, v7
	s_cbranch_execz .LBB4_93
; %bb.88:                               ;   in Loop: Header=BB4_47 Depth=3
	v_cmp_ne_u32_e32 vcc_lo, 2, v7
	v_cmp_ne_u32_e64 s5, s48, v7
                                        ; implicit-def: $vgpr8
	s_delay_alu instid0(VALU_DEP_1) | instskip(NEXT) | instid1(SALU_CYCLE_1)
	s_and_b32 s5, vcc_lo, s5
	s_and_saveexec_b32 s8, s5
	s_delay_alu instid0(SALU_CYCLE_1)
	s_xor_b32 s5, exec_lo, s8
; %bb.89:                               ;   in Loop: Header=BB4_47 Depth=3
	v_and_b32_e32 v8, 1, v7
	s_delay_alu instid0(VALU_DEP_1) | instskip(SKIP_1) | instid1(VALU_DEP_1)
	v_cmp_eq_u32_e32 vcc_lo, 0, v8
	v_cndmask_b32_e64 v8, 2, -2, vcc_lo
	v_add_nc_u32_e32 v8, v8, v7
                                        ; implicit-def: $vgpr7
; %bb.90:                               ;   in Loop: Header=BB4_47 Depth=3
	s_and_not1_saveexec_b32 s5, s5
; %bb.91:                               ;   in Loop: Header=BB4_47 Depth=3
	v_add_nc_u32_e32 v8, -1, v7
; %bb.92:                               ;   in Loop: Header=BB4_47 Depth=3
	s_or_b32 exec_lo, exec_lo, s5
	v_lshl_add_u32 v6, v6, 2, s46
	ds_store_b32 v6, v8
.LBB4_93:                               ;   in Loop: Header=BB4_47 Depth=3
	s_or_b32 exec_lo, exec_lo, s7
	v_cmp_ne_u32_e32 vcc_lo, 2, v2
	v_cmp_ne_u32_e64 s5, s48, v2
                                        ; implicit-def: $vgpr6
	s_delay_alu instid0(VALU_DEP_1) | instskip(NEXT) | instid1(SALU_CYCLE_1)
	s_and_b32 s5, vcc_lo, s5
	s_and_saveexec_b32 s7, s5
	s_delay_alu instid0(SALU_CYCLE_1)
	s_xor_b32 s5, exec_lo, s7
; %bb.94:                               ;   in Loop: Header=BB4_47 Depth=3
	v_and_b32_e32 v6, 1, v2
	s_delay_alu instid0(VALU_DEP_1) | instskip(SKIP_1) | instid1(VALU_DEP_1)
	v_cmp_eq_u32_e32 vcc_lo, 0, v6
	v_cndmask_b32_e64 v6, 2, -2, vcc_lo
	v_add_nc_u32_e32 v6, v6, v2
                                        ; implicit-def: $vgpr2
; %bb.95:                               ;   in Loop: Header=BB4_47 Depth=3
	s_and_not1_saveexec_b32 s5, s5
; %bb.96:                               ;   in Loop: Header=BB4_47 Depth=3
	v_add_nc_u32_e32 v6, -1, v2
; %bb.97:                               ;   in Loop: Header=BB4_47 Depth=3
	s_or_b32 exec_lo, exec_lo, s5
	ds_store_b32 v26, v6
.LBB4_98:                               ;   in Loop: Header=BB4_47 Depth=3
	s_or_b32 exec_lo, exec_lo, s6
	s_add_i32 s5, s35, 1
	s_cmp_eq_u32 s35, s49
	s_waitcnt lgkmcnt(0)
	s_barrier
	buffer_gl0_inv
	s_cbranch_scc1 .LBB4_44
; %bb.99:                               ;   in Loop: Header=BB4_47 Depth=3
	s_mov_b32 s35, s5
	s_branch .LBB4_47
.LBB4_100:                              ;   in Loop: Header=BB4_42 Depth=1
	s_and_saveexec_b32 s6, s2
	s_cbranch_execz .LBB4_110
; %bb.101:                              ;   in Loop: Header=BB4_42 Depth=1
	v_mov_b32_e32 v2, 0
	s_and_saveexec_b32 s7, s4
	s_cbranch_execz .LBB4_109
; %bb.102:                              ;   in Loop: Header=BB4_42 Depth=1
	v_dual_mov_b32 v2, 0 :: v_dual_mov_b32 v7, v5
	v_dual_mov_b32 v6, v4 :: v_dual_mov_b32 v11, v1
	s_mov_b32 s8, 0
	s_set_inst_prefetch_distance 0x1
	s_branch .LBB4_104
	.p2align	6
.LBB4_103:                              ;   in Loop: Header=BB4_104 Depth=2
	s_or_b32 exec_lo, exec_lo, s9
	v_add_nc_u32_e32 v11, s18, v11
	v_add_co_u32 v6, s5, v6, s40
	s_delay_alu instid0(VALU_DEP_1) | instskip(NEXT) | instid1(VALU_DEP_3)
	v_add_co_ci_u32_e64 v7, s5, s41, v7, s5
	v_cmp_le_i32_e32 vcc_lo, s15, v11
	s_or_b32 s8, vcc_lo, s8
	s_delay_alu instid0(SALU_CYCLE_1)
	s_and_not1_b32 exec_lo, exec_lo, s8
	s_cbranch_execz .LBB4_108
.LBB4_104:                              ;   Parent Loop BB4_42 Depth=1
                                        ; =>  This Loop Header: Depth=2
                                        ;       Child Loop BB4_106 Depth 3
	s_mov_b32 s9, exec_lo
	v_cmpx_lt_i32_e32 0, v11
	s_cbranch_execz .LBB4_103
; %bb.105:                              ;   in Loop: Header=BB4_104 Depth=2
	v_dual_mov_b32 v9, v7 :: v_dual_mov_b32 v8, v6
	s_mov_b32 s29, 0
	s_mov_b32 s35, 0
.LBB4_106:                              ;   Parent Loop BB4_42 Depth=1
                                        ;     Parent Loop BB4_104 Depth=2
                                        ; =>    This Inner Loop Header: Depth=3
	global_load_b32 v12, v[8:9], off
	s_add_i32 s35, s35, 1
	v_add_co_u32 v8, vcc_lo, v8, s42
	v_cmp_ge_i32_e64 s5, s35, v11
	v_add_co_ci_u32_e32 v9, vcc_lo, s43, v9, vcc_lo
	s_delay_alu instid0(VALU_DEP_2) | instskip(SKIP_2) | instid1(VALU_DEP_1)
	s_or_b32 s29, s5, s29
	s_waitcnt vmcnt(0)
	v_mul_f32_e32 v12, v12, v12
	v_fmac_f32_e32 v2, 2.0, v12
	s_and_not1_b32 exec_lo, exec_lo, s29
	s_cbranch_execnz .LBB4_106
; %bb.107:                              ;   in Loop: Header=BB4_104 Depth=2
	s_or_b32 exec_lo, exec_lo, s29
	s_branch .LBB4_103
.LBB4_108:                              ;   in Loop: Header=BB4_42 Depth=1
	s_set_inst_prefetch_distance 0x2
	s_or_b32 exec_lo, exec_lo, s8
.LBB4_109:                              ;   in Loop: Header=BB4_42 Depth=1
	s_delay_alu instid0(SALU_CYCLE_1)
	s_or_b32 exec_lo, exec_lo, s7
	ds_store_b32 v17, v2
.LBB4_110:                              ;   in Loop: Header=BB4_42 Depth=1
	s_or_b32 exec_lo, exec_lo, s6
	v_mov_b32_e32 v2, 0
	s_and_not1_b32 vcc_lo, exec_lo, s14
	s_waitcnt lgkmcnt(0)
	s_barrier
	buffer_gl0_inv
	s_cbranch_vccnz .LBB4_41
; %bb.111:                              ;   in Loop: Header=BB4_42 Depth=1
	s_mov_b32 s5, 0
	s_and_not1_b32 vcc_lo, exec_lo, s56
	s_cbranch_vccnz .LBB4_115
; %bb.112:                              ;   in Loop: Header=BB4_42 Depth=1
	s_mov_b32 s6, 0
	.p2align	6
.LBB4_113:                              ;   Parent Loop BB4_42 Depth=1
                                        ; =>  This Inner Loop Header: Depth=2
	s_delay_alu instid0(SALU_CYCLE_1)
	v_mov_b32_e32 v11, s6
	s_add_i32 s5, s5, 8
	s_add_i32 s6, s6, 32
	s_cmp_lg_u32 s57, s5
	ds_load_2addr_b64 v[6:9], v11 offset1:1
	ds_load_2addr_b64 v[11:14], v11 offset0:2 offset1:3
	s_waitcnt lgkmcnt(1)
	v_add_f32_e32 v2, v2, v6
	s_delay_alu instid0(VALU_DEP_1) | instskip(NEXT) | instid1(VALU_DEP_1)
	v_add_f32_e32 v2, v2, v7
	v_add_f32_e32 v2, v2, v8
	s_delay_alu instid0(VALU_DEP_1) | instskip(SKIP_1) | instid1(VALU_DEP_1)
	v_add_f32_e32 v2, v2, v9
	s_waitcnt lgkmcnt(0)
	v_add_f32_e32 v2, v2, v11
	s_delay_alu instid0(VALU_DEP_1) | instskip(NEXT) | instid1(VALU_DEP_1)
	v_add_f32_e32 v2, v2, v12
	v_add_f32_e32 v2, v2, v13
	s_delay_alu instid0(VALU_DEP_1)
	v_add_f32_e32 v2, v2, v14
	s_cbranch_scc1 .LBB4_113
; %bb.114:                              ;   in Loop: Header=BB4_42 Depth=1
	s_mov_b32 s5, s57
.LBB4_115:                              ;   in Loop: Header=BB4_42 Depth=1
	s_and_not1_b32 vcc_lo, exec_lo, s58
	s_cbranch_vccnz .LBB4_41
; %bb.116:                              ;   in Loop: Header=BB4_42 Depth=1
	s_lshl_b32 s5, s5, 2
	s_mov_b32 s6, s55
	s_add_i32 s5, s5, 0
.LBB4_117:                              ;   Parent Loop BB4_42 Depth=1
                                        ; =>  This Inner Loop Header: Depth=2
	s_delay_alu instid0(SALU_CYCLE_1)
	v_mov_b32_e32 v6, s5
	s_add_i32 s6, s6, -1
	s_add_i32 s5, s5, 4
	s_cmp_lg_u32 s6, 0
	ds_load_b32 v6, v6
	s_waitcnt lgkmcnt(0)
	v_add_f32_e32 v2, v2, v6
	s_cbranch_scc1 .LBB4_117
	s_branch .LBB4_41
.LBB4_118:
	s_mul_i32 s3, s36, s25
	s_mul_hi_u32 s4, s36, s24
	s_mul_i32 s5, s37, s24
	s_add_i32 s3, s4, s3
	s_mul_i32 s4, s36, s24
	s_add_i32 s5, s3, s5
	s_and_saveexec_b32 s3, s2
	s_cbranch_execz .LBB4_124
; %bb.119:
	s_mov_b32 s6, exec_lo
	v_cmpx_eq_u32_e32 0, v1
	s_cbranch_execz .LBB4_121
; %bb.120:
	v_mul_f32_e32 v0, 0x4f800000, v2
	v_cmp_gt_f32_e32 vcc_lo, 0xf800000, v2
	s_load_b64 s[8:9], s[0:1], 0x30
	s_lshl_b64 s[16:17], s[36:37], 2
	s_delay_alu instid0(VALU_DEP_2) | instskip(NEXT) | instid1(VALU_DEP_1)
	v_cndmask_b32_e32 v0, v2, v0, vcc_lo
	v_sqrt_f32_e32 v2, v0
	s_waitcnt_depctr 0xfff
	v_add_nc_u32_e32 v3, -1, v2
	v_add_nc_u32_e32 v4, 1, v2
	s_delay_alu instid0(VALU_DEP_2) | instskip(NEXT) | instid1(VALU_DEP_2)
	v_fma_f32 v5, -v3, v2, v0
	v_fma_f32 v6, -v4, v2, v0
	s_delay_alu instid0(VALU_DEP_2) | instskip(NEXT) | instid1(VALU_DEP_1)
	v_cmp_ge_f32_e64 s0, 0, v5
	v_cndmask_b32_e64 v2, v2, v3, s0
	s_delay_alu instid0(VALU_DEP_3) | instskip(NEXT) | instid1(VALU_DEP_1)
	v_cmp_lt_f32_e64 s0, 0, v6
	v_cndmask_b32_e64 v2, v2, v4, s0
	s_waitcnt lgkmcnt(0)
	s_add_u32 s0, s8, s16
	s_addc_u32 s1, s9, s17
	s_add_u32 s8, s20, s16
	s_addc_u32 s9, s21, s17
	v_mul_f32_e32 v3, 0x37800000, v2
	s_add_u32 s16, s26, s16
	s_addc_u32 s17, s27, s17
	s_cmp_gt_i32 s45, s44
	s_delay_alu instid0(VALU_DEP_1)
	v_cndmask_b32_e32 v2, v2, v3, vcc_lo
	v_cmp_class_f32_e64 vcc_lo, v0, 0x260
	s_cselect_b32 s7, -1, 0
	s_min_i32 s14, s45, s44
	v_mov_b32_e32 v3, 0
	v_cndmask_b32_e64 v4, 0, 1, s7
	v_cndmask_b32_e32 v0, v2, v0, vcc_lo
	v_mov_b32_e32 v2, s14
	s_clause 0x2
	global_store_b32 v3, v0, s[0:1]
	global_store_b32 v3, v2, s[8:9]
	;; [unrolled: 1-line block ×3, first 2 shown]
.LBB4_121:
	s_or_b32 exec_lo, exec_lo, s6
	v_cmp_gt_i32_e32 vcc_lo, s15, v1
	s_and_b32 exec_lo, exec_lo, vcc_lo
	s_cbranch_execz .LBB4_124
; %bb.122:
	v_ashrrev_i32_e32 v2, 31, v1
	s_lshl_b64 s[0:1], s[4:5], 2
	s_add_i32 s8, s15, 1
	s_add_u32 s0, s22, s0
	s_addc_u32 s1, s23, s1
	v_lshlrev_b64 v[2:3], 2, v[1:2]
	s_ashr_i32 s29, s28, 31
	s_ashr_i32 s35, s34, 31
	v_mov_b32_e32 v0, v1
	v_cmp_lt_i64_e64 s6, s[28:29], s[34:35]
	s_delay_alu instid0(VALU_DEP_3) | instskip(SKIP_1) | instid1(VALU_DEP_3)
	v_add_co_u32 v2, vcc_lo, s0, v2
	v_add_co_ci_u32_e32 v3, vcc_lo, s1, v3, vcc_lo
	s_and_b32 s0, s6, exec_lo
	s_delay_alu instid0(VALU_DEP_2) | instskip(SKIP_2) | instid1(SALU_CYCLE_1)
	v_mad_u64_u32 v[4:5], null, v1, s15, v[1:2]
	s_cselect_b32 s1, s29, s35
	s_cselect_b32 s0, s28, s34
	s_lshl_b64 s[6:7], s[0:1], 2
	s_mul_i32 s1, s18, s8
	s_mov_b32 s8, 0
	.p2align	6
.LBB4_123:                              ; =>This Inner Loop Header: Depth=1
	s_delay_alu instid0(VALU_DEP_1) | instskip(SKIP_1) | instid1(VALU_DEP_2)
	v_ashrrev_i32_e32 v5, 31, v4
	v_add_nc_u32_e32 v0, s18, v0
	v_lshlrev_b64 v[5:6], 2, v[4:5]
	v_add_nc_u32_e32 v4, s1, v4
	s_delay_alu instid0(VALU_DEP_2) | instskip(NEXT) | instid1(VALU_DEP_3)
	v_add_co_u32 v5, vcc_lo, s30, v5
	v_add_co_ci_u32_e32 v6, vcc_lo, s31, v6, vcc_lo
	v_cmp_le_i32_e32 vcc_lo, s15, v0
	global_load_b32 v5, v[5:6], off
	s_or_b32 s8, vcc_lo, s8
	s_waitcnt vmcnt(0)
	global_store_b32 v[2:3], v5, off
	v_add_co_u32 v2, s0, v2, s6
	s_delay_alu instid0(VALU_DEP_1)
	v_add_co_ci_u32_e64 v3, s0, s7, v3, s0
	s_and_not1_b32 exec_lo, exec_lo, s8
	s_cbranch_execnz .LBB4_123
.LBB4_124:
	s_or_b32 exec_lo, exec_lo, s3
	s_cmpk_eq_i32 s12, 0xfb
	s_waitcnt_vscnt null, 0x0
	s_cselect_b32 s0, -1, 0
	s_cmp_lt_i32 s15, 2
	s_barrier
	s_cselect_b32 s1, -1, 0
	buffer_gl0_inv
	s_or_b32 s0, s0, s1
	s_delay_alu instid0(SALU_CYCLE_1)
	s_and_b32 vcc_lo, exec_lo, s0
	s_cbranch_vccnz .LBB4_135
; %bb.125:
	s_lshl_b64 s[4:5], s[4:5], 2
	v_cmp_gt_i32_e32 vcc_lo, s15, v1
	s_add_u32 s1, s4, s22
	s_addc_u32 s3, s5, s23
	s_cmpk_lg_i32 s13, 0xd5
	v_mov_b32_e32 v0, 0
	s_cselect_b32 s0, -1, 0
	s_add_i32 s14, s15, -2
	s_and_b32 s22, s0, vcc_lo
	s_add_u32 s4, s1, 4
	s_addc_u32 s5, s3, 0
	s_ashr_i32 s29, s28, 31
	s_ashr_i32 s35, s34, 31
	v_cmp_eq_u32_e32 vcc_lo, 0, v1
	v_cmp_lt_i64_e64 s0, s[28:29], s[34:35]
	v_mov_b32_e32 v2, v1
	s_mov_b32 s7, 0
	s_delay_alu instid0(SALU_CYCLE_1) | instskip(NEXT) | instid1(VALU_DEP_2)
	s_mov_b32 s6, s7
	s_and_b32 s0, s0, exec_lo
	s_cselect_b32 s9, s29, s35
	s_cselect_b32 s8, s28, s34
	s_delay_alu instid0(SALU_CYCLE_1)
	s_lshl_b64 s[8:9], s[8:9], 2
	s_branch .LBB4_127
.LBB4_126:                              ;   in Loop: Header=BB4_127 Depth=1
	s_or_b32 exec_lo, exec_lo, s20
	v_add_nc_u32_e32 v2, s19, v2
	s_add_u32 s4, s4, 4
	s_addc_u32 s5, s5, 0
	s_cmp_lg_u32 s6, s14
	s_mov_b32 s6, s23
	s_waitcnt_vscnt null, 0x0
	s_barrier
	buffer_gl0_inv
	s_cbranch_scc0 .LBB4_135
.LBB4_127:                              ; =>This Loop Header: Depth=1
                                        ;     Child Loop BB4_128 Depth 2
                                        ;     Child Loop BB4_134 Depth 2
	s_lshl_b64 s[12:13], s[6:7], 2
	s_mov_b64 s[20:21], s[4:5]
	s_add_u32 s16, s1, s12
	s_addc_u32 s17, s3, s13
	s_add_i32 s23, s6, 1
	global_load_b32 v3, v0, s[16:17]
	s_mov_b32 s12, s6
	s_mov_b32 s13, s23
.LBB4_128:                              ;   Parent Loop BB4_127 Depth=1
                                        ; =>  This Inner Loop Header: Depth=2
	global_load_b32 v4, v0, s[20:21]
	s_waitcnt vmcnt(0)
	v_cmp_lt_f32_e64 s0, v4, v3
	s_delay_alu instid0(VALU_DEP_1)
	v_cndmask_b32_e64 v3, v3, v4, s0
	s_and_b32 s0, s0, exec_lo
	s_cselect_b32 s12, s13, s12
	s_add_i32 s13, s13, 1
	s_add_u32 s20, s20, 4
	s_addc_u32 s21, s21, 0
	s_cmp_lt_i32 s13, s15
	s_cbranch_scc1 .LBB4_128
; %bb.129:                              ;   in Loop: Header=BB4_127 Depth=1
	s_cmp_lg_u32 s12, s6
	s_cselect_b32 s0, -1, 0
	s_barrier
	s_and_b32 s0, s2, s0
	buffer_gl0_inv
	s_and_saveexec_b32 s20, s0
	s_cbranch_execz .LBB4_126
; %bb.130:                              ;   in Loop: Header=BB4_127 Depth=1
	s_and_saveexec_b32 s0, vcc_lo
	s_cbranch_execz .LBB4_132
; %bb.131:                              ;   in Loop: Header=BB4_127 Depth=1
	global_load_b32 v4, v0, s[16:17]
	s_ashr_i32 s13, s12, 31
	s_delay_alu instid0(SALU_CYCLE_1) | instskip(NEXT) | instid1(SALU_CYCLE_1)
	s_lshl_b64 s[24:25], s[12:13], 2
	s_add_u32 s24, s1, s24
	s_addc_u32 s25, s3, s25
	s_waitcnt vmcnt(0)
	s_clause 0x1
	global_store_b32 v0, v4, s[24:25]
	global_store_b32 v0, v3, s[16:17]
.LBB4_132:                              ;   in Loop: Header=BB4_127 Depth=1
	s_or_b32 exec_lo, exec_lo, s0
	s_delay_alu instid0(SALU_CYCLE_1)
	s_and_b32 exec_lo, exec_lo, s22
	s_cbranch_execz .LBB4_126
; %bb.133:                              ;   in Loop: Header=BB4_127 Depth=1
	v_mad_u64_u32 v[5:6], null, s12, s19, v[1:2]
	v_ashrrev_i32_e32 v3, 31, v2
	v_mov_b32_e32 v7, v1
	s_mov_b32 s16, 0
	s_mov_b64 s[12:13], s[10:11]
	s_delay_alu instid0(VALU_DEP_2) | instskip(NEXT) | instid1(VALU_DEP_4)
	v_lshlrev_b64 v[3:4], 2, v[2:3]
	v_ashrrev_i32_e32 v6, 31, v5
	s_delay_alu instid0(VALU_DEP_1)
	v_lshlrev_b64 v[5:6], 2, v[5:6]
	.p2align	6
.LBB4_134:                              ;   Parent Loop BB4_127 Depth=1
                                        ; =>  This Inner Loop Header: Depth=2
	s_delay_alu instid0(VALU_DEP_3) | instskip(NEXT) | instid1(VALU_DEP_1)
	v_add_co_u32 v8, s0, s12, v3
	v_add_co_ci_u32_e64 v9, s0, s13, v4, s0
	s_delay_alu instid0(VALU_DEP_3) | instskip(NEXT) | instid1(VALU_DEP_1)
	v_add_co_u32 v10, s0, s12, v5
	v_add_co_ci_u32_e64 v11, s0, s13, v6, s0
	v_add_nc_u32_e32 v7, s18, v7
	s_clause 0x1
	global_load_b32 v12, v[8:9], off
	global_load_b32 v13, v[10:11], off
	s_add_u32 s12, s12, s8
	s_addc_u32 s13, s13, s9
	v_cmp_le_i32_e64 s0, s15, v7
	s_waitcnt vmcnt(1)
	global_store_b32 v[10:11], v12, off
	s_waitcnt vmcnt(0)
	global_store_b32 v[8:9], v13, off
	s_or_b32 s16, s0, s16
	s_delay_alu instid0(SALU_CYCLE_1)
	s_and_not1_b32 exec_lo, exec_lo, s16
	s_cbranch_execnz .LBB4_134
	s_branch .LBB4_126
.LBB4_135:
	s_endpgm
	.section	.rodata,"a",@progbits
	.p2align	6, 0x0
	.amdhsa_kernel _ZN9rocsolver6v33100L18syevj_small_kernelIffPfEEv14rocblas_esort_14rocblas_evect_13rocblas_fill_iT1_iilT0_S7_PS7_iPiS8_lS9_PT_
		.amdhsa_group_segment_fixed_size 0
		.amdhsa_private_segment_fixed_size 0
		.amdhsa_kernarg_size 104
		.amdhsa_user_sgpr_count 14
		.amdhsa_user_sgpr_dispatch_ptr 0
		.amdhsa_user_sgpr_queue_ptr 0
		.amdhsa_user_sgpr_kernarg_segment_ptr 1
		.amdhsa_user_sgpr_dispatch_id 0
		.amdhsa_user_sgpr_private_segment_size 0
		.amdhsa_wavefront_size32 1
		.amdhsa_uses_dynamic_stack 0
		.amdhsa_enable_private_segment 0
		.amdhsa_system_sgpr_workgroup_id_x 1
		.amdhsa_system_sgpr_workgroup_id_y 0
		.amdhsa_system_sgpr_workgroup_id_z 1
		.amdhsa_system_sgpr_workgroup_info 0
		.amdhsa_system_vgpr_workitem_id 0
		.amdhsa_next_free_vgpr 36
		.amdhsa_next_free_sgpr 64
		.amdhsa_reserve_vcc 1
		.amdhsa_float_round_mode_32 0
		.amdhsa_float_round_mode_16_64 0
		.amdhsa_float_denorm_mode_32 3
		.amdhsa_float_denorm_mode_16_64 3
		.amdhsa_dx10_clamp 1
		.amdhsa_ieee_mode 1
		.amdhsa_fp16_overflow 0
		.amdhsa_workgroup_processor_mode 1
		.amdhsa_memory_ordered 1
		.amdhsa_forward_progress 0
		.amdhsa_shared_vgpr_count 0
		.amdhsa_exception_fp_ieee_invalid_op 0
		.amdhsa_exception_fp_denorm_src 0
		.amdhsa_exception_fp_ieee_div_zero 0
		.amdhsa_exception_fp_ieee_overflow 0
		.amdhsa_exception_fp_ieee_underflow 0
		.amdhsa_exception_fp_ieee_inexact 0
		.amdhsa_exception_int_div_zero 0
	.end_amdhsa_kernel
	.section	.text._ZN9rocsolver6v33100L18syevj_small_kernelIffPfEEv14rocblas_esort_14rocblas_evect_13rocblas_fill_iT1_iilT0_S7_PS7_iPiS8_lS9_PT_,"axG",@progbits,_ZN9rocsolver6v33100L18syevj_small_kernelIffPfEEv14rocblas_esort_14rocblas_evect_13rocblas_fill_iT1_iilT0_S7_PS7_iPiS8_lS9_PT_,comdat
.Lfunc_end4:
	.size	_ZN9rocsolver6v33100L18syevj_small_kernelIffPfEEv14rocblas_esort_14rocblas_evect_13rocblas_fill_iT1_iilT0_S7_PS7_iPiS8_lS9_PT_, .Lfunc_end4-_ZN9rocsolver6v33100L18syevj_small_kernelIffPfEEv14rocblas_esort_14rocblas_evect_13rocblas_fill_iT1_iilT0_S7_PS7_iPiS8_lS9_PT_
                                        ; -- End function
	.section	.AMDGPU.csdata,"",@progbits
; Kernel info:
; codeLenInByte = 7188
; NumSgprs: 66
; NumVgprs: 36
; ScratchSize: 0
; MemoryBound: 0
; FloatMode: 240
; IeeeMode: 1
; LDSByteSize: 0 bytes/workgroup (compile time only)
; SGPRBlocks: 8
; VGPRBlocks: 4
; NumSGPRsForWavesPerEU: 66
; NumVGPRsForWavesPerEU: 36
; Occupancy: 16
; WaveLimiterHint : 0
; COMPUTE_PGM_RSRC2:SCRATCH_EN: 0
; COMPUTE_PGM_RSRC2:USER_SGPR: 14
; COMPUTE_PGM_RSRC2:TRAP_HANDLER: 0
; COMPUTE_PGM_RSRC2:TGID_X_EN: 1
; COMPUTE_PGM_RSRC2:TGID_Y_EN: 0
; COMPUTE_PGM_RSRC2:TGID_Z_EN: 1
; COMPUTE_PGM_RSRC2:TIDIG_COMP_CNT: 0
	.section	.text._ZN9rocsolver6v33100L10syevj_initIffPfEEv14rocblas_evect_13rocblas_fill_iiT1_iilT0_PS6_PT_S7_PiSA_SA_,"axG",@progbits,_ZN9rocsolver6v33100L10syevj_initIffPfEEv14rocblas_evect_13rocblas_fill_iiT1_iilT0_PS6_PT_S7_PiSA_SA_,comdat
	.globl	_ZN9rocsolver6v33100L10syevj_initIffPfEEv14rocblas_evect_13rocblas_fill_iiT1_iilT0_PS6_PT_S7_PiSA_SA_ ; -- Begin function _ZN9rocsolver6v33100L10syevj_initIffPfEEv14rocblas_evect_13rocblas_fill_iiT1_iilT0_PS6_PT_S7_PiSA_SA_
	.p2align	8
	.type	_ZN9rocsolver6v33100L10syevj_initIffPfEEv14rocblas_evect_13rocblas_fill_iiT1_iilT0_PS6_PT_S7_PiSA_SA_,@function
_ZN9rocsolver6v33100L10syevj_initIffPfEEv14rocblas_evect_13rocblas_fill_iiT1_iilT0_PS6_PT_S7_PiSA_SA_: ; @_ZN9rocsolver6v33100L10syevj_initIffPfEEv14rocblas_evect_13rocblas_fill_iiT1_iilT0_PS6_PT_S7_PiSA_SA_
; %bb.0:
	s_mov_b32 s24, s15
	s_clause 0x4
	s_load_b32 s26, s[0:1], 0x6c
	s_load_b256 s[4:11], s[0:1], 0x0
	s_load_b64 s[2:3], s[0:1], 0x20
	s_load_b128 s[20:23], s[0:1], 0x50
	s_load_b256 s[12:19], s[0:1], 0x30
	s_ashr_i32 s25, s24, 31
	s_waitcnt lgkmcnt(0)
	s_and_b32 s33, s26, 0xffff
	s_ashr_i32 s27, s10, 31
	s_mul_i32 s3, s24, s3
	s_mul_hi_u32 s26, s24, s2
	s_mul_i32 s28, s25, s2
	s_add_i32 s3, s26, s3
	s_mul_i32 s2, s24, s2
	s_add_i32 s3, s3, s28
	s_mov_b32 s26, s10
	s_lshl_b64 s[30:31], s[2:3], 2
	s_mul_i32 s2, s24, s7
	s_add_u32 s3, s8, s30
	s_addc_u32 s28, s9, s31
	s_lshl_b64 s[34:35], s[26:27], 2
	s_mul_i32 s2, s2, s7
	s_add_u32 s10, s3, s34
	s_addc_u32 s36, s28, s35
	s_ashr_i32 s3, s2, 31
	s_delay_alu instid0(SALU_CYCLE_1)
	s_lshl_b64 s[26:27], s[2:3], 2
	v_cmp_gt_i32_e64 s2, s7, v0
	s_add_u32 s37, s14, s26
	s_addc_u32 s38, s15, s27
	s_cmpk_eq_i32 s5, 0x79
	s_cbranch_scc1 .LBB5_12
; %bb.1:
	v_dual_mov_b32 v14, 0 :: v_dual_mov_b32 v15, 0
	s_mov_b32 s5, 0
	s_and_saveexec_b32 s39, s2
	s_cbranch_execz .LBB5_14
; %bb.2:
	s_add_i32 s40, s7, 1
	v_dual_mov_b32 v17, 1.0 :: v_dual_lshlrev_b32 v2, 2, v0
	s_cmpk_lg_i32 s4, 0xd5
	s_mov_b32 s28, s7
	s_cselect_b32 s41, -1, 0
	s_add_u32 s43, s14, s26
	s_addc_u32 s44, s15, s27
	s_ashr_i32 s29, s7, 31
	v_add_co_u32 v3, s3, s43, v2
	s_lshl_b32 s46, s33, 2
	s_lshl_b64 s[28:29], s[28:29], 2
	v_add_co_ci_u32_e64 v4, null, s44, 0, s3
	s_add_u32 s3, s30, s34
	s_addc_u32 s30, s31, s35
	s_add_u32 s3, s8, s3
	v_mul_lo_u32 v16, v0, s11
	v_mul_lo_u32 v1, v0, s7
	s_addc_u32 s8, s9, s30
	v_add_co_u32 v5, s3, s3, v2
	s_delay_alu instid0(VALU_DEP_1)
	v_add_co_ci_u32_e64 v6, null, s8, 0, s3
	v_dual_mov_b32 v14, 0 :: v_dual_mov_b32 v15, 0
	v_dual_mov_b32 v18, 0 :: v_dual_mov_b32 v7, v0
	s_ashr_i32 s9, s11, 31
	s_mov_b32 s8, s11
	s_mul_i32 s42, s11, s33
	s_mul_i32 s45, s7, s33
	s_mov_b32 s30, 0
	s_lshl_b64 s[8:9], s[8:9], 2
	s_branch .LBB5_5
.LBB5_3:                                ;   in Loop: Header=BB5_5 Depth=1
	s_set_inst_prefetch_distance 0x2
	s_or_b32 exec_lo, exec_lo, s34
.LBB5_4:                                ;   in Loop: Header=BB5_5 Depth=1
	s_delay_alu instid0(SALU_CYCLE_1) | instskip(SKIP_3) | instid1(VALU_DEP_3)
	s_or_b32 exec_lo, exec_lo, s31
	v_add_nc_u32_e32 v7, s33, v7
	v_add_co_u32 v3, vcc_lo, v3, s46
	v_add_co_ci_u32_e32 v4, vcc_lo, 0, v4, vcc_lo
	v_cmp_le_i32_e32 vcc_lo, s7, v7
	v_add_co_u32 v5, s3, v5, s46
	v_dual_fmac_f32 v14, v19, v19 :: v_dual_add_nc_u32 v1, s45, v1
	v_add_nc_u32_e32 v16, s42, v16
	v_add_co_ci_u32_e64 v6, s3, 0, v6, s3
	s_or_b32 s30, vcc_lo, s30
	s_delay_alu instid0(SALU_CYCLE_1)
	s_and_not1_b32 exec_lo, exec_lo, s30
	s_cbranch_execz .LBB5_13
.LBB5_5:                                ; =>This Loop Header: Depth=1
                                        ;     Child Loop BB5_10 Depth 2
	v_mad_u64_u32 v[8:9], null, v7, s11, v[7:8]
	v_mul_lo_u32 v10, v7, s40
	s_delay_alu instid0(VALU_DEP_2) | instskip(NEXT) | instid1(VALU_DEP_2)
	v_ashrrev_i32_e32 v9, 31, v8
	v_ashrrev_i32_e32 v11, 31, v10
	s_delay_alu instid0(VALU_DEP_2) | instskip(NEXT) | instid1(VALU_DEP_2)
	v_lshlrev_b64 v[8:9], 2, v[8:9]
	v_lshlrev_b64 v[10:11], 2, v[10:11]
	s_delay_alu instid0(VALU_DEP_2) | instskip(NEXT) | instid1(VALU_DEP_3)
	v_add_co_u32 v8, vcc_lo, s10, v8
	v_add_co_ci_u32_e32 v9, vcc_lo, s36, v9, vcc_lo
	s_delay_alu instid0(VALU_DEP_3) | instskip(NEXT) | instid1(VALU_DEP_4)
	v_add_co_u32 v10, vcc_lo, s37, v10
	v_add_co_ci_u32_e32 v11, vcc_lo, s38, v11, vcc_lo
	global_load_b32 v19, v[8:9], off
	s_and_not1_b32 vcc_lo, exec_lo, s41
	s_waitcnt vmcnt(0)
	global_store_b32 v[10:11], v19, off
	s_cbranch_vccnz .LBB5_7
; %bb.6:                                ;   in Loop: Header=BB5_5 Depth=1
	global_store_b32 v[8:9], v17, off
.LBB5_7:                                ;   in Loop: Header=BB5_5 Depth=1
	s_mov_b32 s31, exec_lo
	v_cmpx_ne_u32_e32 0, v7
	s_cbranch_execz .LBB5_4
; %bb.8:                                ;   in Loop: Header=BB5_5 Depth=1
	v_ashrrev_i32_e32 v2, 31, v1
	v_dual_mov_b32 v9, v6 :: v_dual_mov_b32 v8, v5
	v_dual_mov_b32 v13, v4 :: v_dual_mov_b32 v12, v3
	s_delay_alu instid0(VALU_DEP_3) | instskip(SKIP_2) | instid1(VALU_DEP_1)
	v_lshlrev_b64 v[10:11], 2, v[1:2]
	s_mov_b32 s34, 0
	s_mov_b32 s35, 0
	v_add_co_u32 v10, vcc_lo, s43, v10
	s_delay_alu instid0(VALU_DEP_2)
	v_add_co_ci_u32_e32 v11, vcc_lo, s44, v11, vcc_lo
	s_set_inst_prefetch_distance 0x1
	s_branch .LBB5_10
	.p2align	6
.LBB5_9:                                ;   in Loop: Header=BB5_10 Depth=2
	v_add_co_u32 v10, vcc_lo, v10, 4
	v_add_co_ci_u32_e32 v11, vcc_lo, 0, v11, vcc_lo
	v_mul_f32_e32 v2, v2, v2
	v_add_co_u32 v12, vcc_lo, v12, s28
	s_add_i32 s35, s35, 1
	v_add_co_ci_u32_e32 v13, vcc_lo, s29, v13, vcc_lo
	v_cmp_ge_u32_e32 vcc_lo, s35, v7
	v_add_co_u32 v8, s3, v8, s8
	v_fmac_f32_e32 v15, 2.0, v2
	v_add_co_ci_u32_e64 v9, s3, s9, v9, s3
	s_or_b32 s34, vcc_lo, s34
	s_delay_alu instid0(SALU_CYCLE_1)
	s_and_not1_b32 exec_lo, exec_lo, s34
	s_cbranch_execz .LBB5_3
.LBB5_10:                               ;   Parent Loop BB5_5 Depth=1
                                        ; =>  This Inner Loop Header: Depth=2
	global_load_b32 v2, v[8:9], off
	s_and_not1_b32 vcc_lo, exec_lo, s41
	s_waitcnt vmcnt(0)
	global_store_b32 v[12:13], v2, off
	global_store_b32 v[10:11], v2, off
	s_cbranch_vccnz .LBB5_9
; %bb.11:                               ;   in Loop: Header=BB5_10 Depth=2
	v_add_nc_u32_e32 v20, s35, v16
	s_delay_alu instid0(VALU_DEP_1) | instskip(NEXT) | instid1(VALU_DEP_1)
	v_ashrrev_i32_e32 v21, 31, v20
	v_lshlrev_b64 v[20:21], 2, v[20:21]
	s_delay_alu instid0(VALU_DEP_1) | instskip(NEXT) | instid1(VALU_DEP_2)
	v_add_co_u32 v20, vcc_lo, s10, v20
	v_add_co_ci_u32_e32 v21, vcc_lo, s36, v21, vcc_lo
	global_store_b32 v[8:9], v18, off
	global_store_b32 v[20:21], v18, off
	s_branch .LBB5_9
.LBB5_12:
                                        ; implicit-def: $vgpr14
                                        ; implicit-def: $vgpr15
	s_branch .LBB5_15
.LBB5_13:
	s_or_b32 exec_lo, exec_lo, s30
.LBB5_14:
	s_delay_alu instid0(SALU_CYCLE_1) | instskip(NEXT) | instid1(SALU_CYCLE_1)
	s_or_b32 exec_lo, exec_lo, s39
	s_and_not1_b32 vcc_lo, exec_lo, s5
	s_cbranch_vccnz .LBB5_28
.LBB5_15:
	v_dual_mov_b32 v14, 0 :: v_dual_mov_b32 v15, 0
	s_and_saveexec_b32 s3, s2
	s_cbranch_execz .LBB5_27
; %bb.16:
	s_add_i32 s5, s7, 1
	s_cmpk_lg_i32 s4, 0xd5
	v_mul_lo_u32 v13, v0, s11
	s_cselect_b32 s8, -1, 0
	s_add_i32 s4, s7, -1
	v_dual_mov_b32 v14, 0 :: v_dual_mov_b32 v17, 0
	v_mad_u64_u32 v[1:2], null, s11, s4, v[0:1]
	v_dual_mov_b32 v16, 1.0 :: v_dual_mov_b32 v15, 0
	v_mov_b32_e32 v5, v0
	s_add_u32 s9, s14, s26
	s_addc_u32 s14, s15, s27
	s_mul_i32 s15, s7, s33
	s_delay_alu instid0(VALU_DEP_3)
	v_mad_u64_u32 v[2:3], null, s7, s4, v[0:1]
	v_mad_u64_u32 v[3:4], null, s7, v0, s[4:5]
	s_mul_i32 s27, s11, s33
	s_mov_b32 s26, 0
	s_branch .LBB5_19
.LBB5_17:                               ;   in Loop: Header=BB5_19 Depth=1
	s_set_inst_prefetch_distance 0x2
	s_or_b32 exec_lo, exec_lo, s29
.LBB5_18:                               ;   in Loop: Header=BB5_19 Depth=1
	s_delay_alu instid0(SALU_CYCLE_1) | instskip(SKIP_4) | instid1(VALU_DEP_4)
	s_or_b32 exec_lo, exec_lo, s28
	v_dual_fmac_f32 v14, v18, v18 :: v_dual_add_nc_u32 v5, s33, v5
	v_add_nc_u32_e32 v1, s33, v1
	v_add_nc_u32_e32 v2, s33, v2
	;; [unrolled: 1-line block ×3, first 2 shown]
	v_cmp_le_i32_e32 vcc_lo, s7, v5
	v_add_nc_u32_e32 v13, s27, v13
	s_or_b32 s26, vcc_lo, s26
	s_delay_alu instid0(SALU_CYCLE_1)
	s_and_not1_b32 exec_lo, exec_lo, s26
	s_cbranch_execz .LBB5_26
.LBB5_19:                               ; =>This Loop Header: Depth=1
                                        ;     Child Loop BB5_24 Depth 2
	v_mad_u64_u32 v[6:7], null, v5, s11, v[5:6]
	v_mul_lo_u32 v8, v5, s5
	s_delay_alu instid0(VALU_DEP_2) | instskip(NEXT) | instid1(VALU_DEP_2)
	v_ashrrev_i32_e32 v7, 31, v6
	v_ashrrev_i32_e32 v9, 31, v8
	s_delay_alu instid0(VALU_DEP_2) | instskip(NEXT) | instid1(VALU_DEP_2)
	v_lshlrev_b64 v[6:7], 2, v[6:7]
	v_lshlrev_b64 v[8:9], 2, v[8:9]
	s_delay_alu instid0(VALU_DEP_2) | instskip(NEXT) | instid1(VALU_DEP_3)
	v_add_co_u32 v6, vcc_lo, s10, v6
	v_add_co_ci_u32_e32 v7, vcc_lo, s36, v7, vcc_lo
	s_delay_alu instid0(VALU_DEP_3) | instskip(NEXT) | instid1(VALU_DEP_4)
	v_add_co_u32 v8, vcc_lo, s37, v8
	v_add_co_ci_u32_e32 v9, vcc_lo, s38, v9, vcc_lo
	global_load_b32 v18, v[6:7], off
	s_and_not1_b32 vcc_lo, exec_lo, s8
	s_waitcnt vmcnt(0)
	global_store_b32 v[8:9], v18, off
	s_cbranch_vccnz .LBB5_21
; %bb.20:                               ;   in Loop: Header=BB5_19 Depth=1
	global_store_b32 v[6:7], v16, off
.LBB5_21:                               ;   in Loop: Header=BB5_19 Depth=1
	s_mov_b32 s28, exec_lo
	v_cmpx_gt_i32_e64 s4, v5
	s_cbranch_execz .LBB5_18
; %bb.22:                               ;   in Loop: Header=BB5_19 Depth=1
	v_ashrrev_i32_e32 v4, 31, v3
	v_mov_b32_e32 v6, v2
	v_mov_b32_e32 v10, v1
	s_mov_b32 s29, 0
	s_mov_b32 s30, s4
	v_lshlrev_b64 v[8:9], 2, v[3:4]
	s_delay_alu instid0(VALU_DEP_1) | instskip(NEXT) | instid1(VALU_DEP_2)
	v_add_co_u32 v8, vcc_lo, s9, v8
	v_add_co_ci_u32_e32 v9, vcc_lo, s14, v9, vcc_lo
	s_set_inst_prefetch_distance 0x1
	s_branch .LBB5_24
	.p2align	6
.LBB5_23:                               ;   in Loop: Header=BB5_24 Depth=2
	v_mul_f32_e32 v4, v4, v4
	s_add_i32 s30, s30, -1
	v_add_co_u32 v8, s2, v8, -4
	v_cmp_le_i32_e32 vcc_lo, s30, v5
	v_subrev_nc_u32_e32 v10, s11, v10
	v_subrev_nc_u32_e32 v6, s7, v6
	v_fmac_f32_e32 v15, 2.0, v4
	v_add_co_ci_u32_e64 v9, s2, -1, v9, s2
	s_or_b32 s29, vcc_lo, s29
	s_delay_alu instid0(SALU_CYCLE_1)
	s_and_not1_b32 exec_lo, exec_lo, s29
	s_cbranch_execz .LBB5_17
.LBB5_24:                               ;   Parent Loop BB5_19 Depth=1
                                        ; =>  This Inner Loop Header: Depth=2
	v_ashrrev_i32_e32 v11, 31, v10
	v_ashrrev_i32_e32 v7, 31, v6
	s_delay_alu instid0(VALU_DEP_2) | instskip(NEXT) | instid1(VALU_DEP_2)
	v_lshlrev_b64 v[11:12], 2, v[10:11]
	v_lshlrev_b64 v[19:20], 2, v[6:7]
	s_delay_alu instid0(VALU_DEP_2) | instskip(NEXT) | instid1(VALU_DEP_3)
	v_add_co_u32 v11, vcc_lo, s10, v11
	v_add_co_ci_u32_e32 v12, vcc_lo, s36, v12, vcc_lo
	s_delay_alu instid0(VALU_DEP_3) | instskip(NEXT) | instid1(VALU_DEP_4)
	v_add_co_u32 v19, vcc_lo, s37, v19
	v_add_co_ci_u32_e32 v20, vcc_lo, s38, v20, vcc_lo
	global_load_b32 v4, v[11:12], off
	s_and_not1_b32 vcc_lo, exec_lo, s8
	s_waitcnt vmcnt(0)
	global_store_b32 v[19:20], v4, off
	global_store_b32 v[8:9], v4, off
	s_cbranch_vccnz .LBB5_23
; %bb.25:                               ;   in Loop: Header=BB5_24 Depth=2
	v_add_nc_u32_e32 v19, s30, v13
	s_delay_alu instid0(VALU_DEP_1) | instskip(NEXT) | instid1(VALU_DEP_1)
	v_ashrrev_i32_e32 v20, 31, v19
	v_lshlrev_b64 v[19:20], 2, v[19:20]
	s_delay_alu instid0(VALU_DEP_1) | instskip(NEXT) | instid1(VALU_DEP_2)
	v_add_co_u32 v19, vcc_lo, s10, v19
	v_add_co_ci_u32_e32 v20, vcc_lo, s36, v20, vcc_lo
	s_clause 0x1
	global_store_b32 v[11:12], v17, off
	global_store_b32 v[19:20], v17, off
	s_branch .LBB5_23
.LBB5_26:
	s_or_b32 exec_lo, exec_lo, s26
.LBB5_27:
	s_delay_alu instid0(SALU_CYCLE_1)
	s_or_b32 exec_lo, exec_lo, s3
.LBB5_28:
	v_lshlrev_b32_e32 v1, 2, v0
	s_lshl_b32 s2, s33, 2
	s_mov_b32 s3, exec_lo
	s_delay_alu instid0(VALU_DEP_1)
	v_add_nc_u32_e32 v2, 0, v1
	v_add3_u32 v3, 0, s2, v1
	ds_store_b32 v2, v15
	ds_store_b32 v3, v14
	s_waitcnt lgkmcnt(0)
	s_waitcnt_vscnt null, 0x0
	s_barrier
	buffer_gl0_inv
	v_cmpx_eq_u32_e32 0, v0
	s_cbranch_execz .LBB5_40
; %bb.29:
	s_min_i32 s4, s33, s7
	s_delay_alu instid0(SALU_CYCLE_1)
	s_cmp_lt_i32 s4, 2
	s_cbranch_scc1 .LBB5_37
; %bb.30:
	s_add_i32 s5, s4, -2
	s_add_i32 s4, s4, -1
	s_cmp_lt_u32 s5, 7
	s_cbranch_scc1 .LBB5_34
; %bb.31:
	s_and_b32 s5, s4, -8
	s_mov_b32 s8, 0
	s_add_i32 s7, 0, 4
	s_set_inst_prefetch_distance 0x1
	.p2align	6
.LBB5_32:                               ; =>This Inner Loop Header: Depth=1
	s_add_i32 s9, s7, s2
	v_mov_b32_e32 v12, s7
	v_mov_b32_e32 v18, s9
	s_mov_b32 s9, s8
	s_add_i32 s8, s8, 8
	s_add_i32 s7, s7, 32
	ds_load_2addr_b32 v[2:3], v12 offset1:1
	ds_load_2addr_b32 v[4:5], v18 offset1:1
	ds_load_2addr_b32 v[6:7], v12 offset0:2 offset1:3
	ds_load_2addr_b32 v[8:9], v18 offset0:2 offset1:3
	;; [unrolled: 1-line block ×6, first 2 shown]
	s_cmp_lg_u32 s5, s8
	s_waitcnt lgkmcnt(7)
	v_add_f32_e32 v2, v15, v2
	s_waitcnt lgkmcnt(6)
	v_add_f32_e32 v4, v14, v4
	s_delay_alu instid0(VALU_DEP_1) | instskip(SKIP_1) | instid1(VALU_DEP_1)
	v_dual_add_f32 v2, v2, v3 :: v_dual_add_f32 v3, v4, v5
	s_waitcnt lgkmcnt(4)
	v_add_f32_e32 v3, v3, v8
	s_delay_alu instid0(VALU_DEP_1) | instskip(SKIP_1) | instid1(VALU_DEP_1)
	v_add_f32_e32 v3, v3, v9
	s_waitcnt lgkmcnt(1)
	v_dual_add_f32 v3, v3, v16 :: v_dual_add_f32 v2, v2, v6
	s_delay_alu instid0(VALU_DEP_1) | instskip(SKIP_1) | instid1(VALU_DEP_1)
	v_dual_add_f32 v3, v3, v17 :: v_dual_add_f32 v2, v2, v7
	s_waitcnt lgkmcnt(0)
	v_add_f32_e32 v3, v3, v18
	s_delay_alu instid0(VALU_DEP_2) | instskip(NEXT) | instid1(VALU_DEP_2)
	v_add_f32_e32 v2, v2, v10
	v_add_f32_e32 v14, v3, v19
	s_delay_alu instid0(VALU_DEP_2) | instskip(NEXT) | instid1(VALU_DEP_1)
	v_add_f32_e32 v2, v2, v11
	v_add_f32_e32 v2, v2, v12
	s_delay_alu instid0(VALU_DEP_1)
	v_add_f32_e32 v15, v2, v13
	s_cbranch_scc1 .LBB5_32
; %bb.33:
	s_set_inst_prefetch_distance 0x2
	s_add_i32 s5, s9, 9
	s_and_b32 s4, s4, 7
	s_delay_alu instid0(SALU_CYCLE_1)
	s_cmp_eq_u32 s4, 0
	s_cbranch_scc0 .LBB5_35
	s_branch .LBB5_37
.LBB5_34:
	s_mov_b32 s5, 1
	s_and_b32 s4, s4, 7
	s_delay_alu instid0(SALU_CYCLE_1)
	s_cmp_eq_u32 s4, 0
	s_cbranch_scc1 .LBB5_37
.LBB5_35:
	s_lshl_b32 s5, s5, 2
	s_delay_alu instid0(SALU_CYCLE_1)
	s_add_i32 s5, s5, 0
.LBB5_36:                               ; =>This Inner Loop Header: Depth=1
	s_delay_alu instid0(SALU_CYCLE_1) | instskip(NEXT) | instid1(SALU_CYCLE_1)
	s_add_i32 s7, s5, s2
	v_dual_mov_b32 v2, s5 :: v_dual_mov_b32 v3, s7
	s_add_i32 s4, s4, -1
	s_add_i32 s5, s5, 4
	s_cmp_lg_u32 s4, 0
	ds_load_b32 v2, v2
	ds_load_b32 v3, v3
	s_waitcnt lgkmcnt(0)
	v_dual_add_f32 v15, v15, v2 :: v_dual_add_f32 v14, v14, v3
	s_cbranch_scc1 .LBB5_36
.LBB5_37:
	s_load_b32 s4, s[0:1], 0x28
	s_delay_alu instid0(VALU_DEP_1) | instskip(SKIP_2) | instid1(VALU_DEP_1)
	v_add_f32_e32 v2, v15, v14
	s_lshl_b64 s[0:1], s[24:25], 2
	s_waitcnt lgkmcnt(0)
	v_dual_mul_f32 v3, s4, v2 :: v_dual_mov_b32 v2, 0
	s_delay_alu instid0(VALU_DEP_1)
	v_mul_f32_e32 v3, s4, v3
	s_add_u32 s4, s16, s0
	s_addc_u32 s5, s17, s1
	s_add_u32 s8, s12, s0
	s_addc_u32 s9, s13, s1
	s_clause 0x1
	global_store_b32 v2, v3, s[4:5]
	global_store_b32 v2, v15, s[8:9]
	global_load_b32 v3, v2, s[4:5]
	s_waitcnt vmcnt(0)
	v_cmp_lt_f32_e32 vcc_lo, v15, v3
	s_and_b32 exec_lo, exec_lo, vcc_lo
	s_cbranch_execz .LBB5_40
; %bb.38:
	s_mov_b32 s4, exec_lo
	v_mov_b32_e32 v4, 1
	v_mbcnt_lo_u32_b32 v3, s4, 0
	s_add_u32 s0, s22, s0
	s_addc_u32 s1, s23, s1
	global_store_b32 v2, v4, s[0:1] offset:4
	v_cmp_eq_u32_e32 vcc_lo, 0, v3
	s_and_b32 s0, exec_lo, vcc_lo
	s_delay_alu instid0(SALU_CYCLE_1)
	s_mov_b32 exec_lo, s0
	s_cbranch_execz .LBB5_40
; %bb.39:
	s_bcnt1_i32_b32 s0, s4
	s_delay_alu instid0(SALU_CYCLE_1)
	v_dual_mov_b32 v2, 0 :: v_dual_mov_b32 v3, s0
	global_atomic_add_u32 v2, v3, s[22:23]
.LBB5_40:
	s_or_b32 exec_lo, exec_lo, s3
	s_cmp_eq_u32 s24, 0
	v_cmp_gt_i32_e32 vcc_lo, s6, v0
	s_cselect_b32 s0, -1, 0
	s_cmp_lg_u64 s[18:19], 0
	s_cselect_b32 s1, -1, 0
	s_cmp_lg_u64 s[20:21], 0
	s_cselect_b32 s3, -1, 0
	s_delay_alu instid0(SALU_CYCLE_1) | instskip(NEXT) | instid1(SALU_CYCLE_1)
	s_and_b32 s1, s1, s3
	s_and_b32 s0, s1, s0
	s_mov_b32 s1, 0
	s_and_b32 s0, s0, vcc_lo
	s_delay_alu instid0(SALU_CYCLE_1)
	s_and_saveexec_b32 s3, s0
	s_cbranch_execz .LBB5_43
; %bb.41:
	v_dual_mov_b32 v3, 0 :: v_dual_lshlrev_b32 v2, 1, v0
	s_lshl_b32 s3, s33, 1
	.p2align	6
.LBB5_42:                               ; =>This Inner Loop Header: Depth=1
	v_add_co_u32 v4, vcc_lo, s18, v1
	v_add_nc_u32_e32 v0, s33, v0
	s_delay_alu instid0(VALU_DEP_3)
	v_add_co_ci_u32_e32 v5, vcc_lo, s19, v3, vcc_lo
	v_add_co_u32 v6, vcc_lo, s20, v1
	v_add_co_ci_u32_e32 v7, vcc_lo, s21, v3, vcc_lo
	v_add_co_u32 v1, vcc_lo, v1, s2
	v_cmp_le_i32_e64 s0, s6, v0
	v_add_nc_u32_e32 v8, 1, v2
	v_add_co_ci_u32_e32 v3, vcc_lo, 0, v3, vcc_lo
	global_store_b32 v[4:5], v2, off
	v_add_nc_u32_e32 v2, s3, v2
	s_or_b32 s1, s0, s1
	global_store_b32 v[6:7], v8, off
	s_and_not1_b32 exec_lo, exec_lo, s1
	s_cbranch_execnz .LBB5_42
.LBB5_43:
	s_nop 0
	s_sendmsg sendmsg(MSG_DEALLOC_VGPRS)
	s_endpgm
	.section	.rodata,"a",@progbits
	.p2align	6, 0x0
	.amdhsa_kernel _ZN9rocsolver6v33100L10syevj_initIffPfEEv14rocblas_evect_13rocblas_fill_iiT1_iilT0_PS6_PT_S7_PiSA_SA_
		.amdhsa_group_segment_fixed_size 0
		.amdhsa_private_segment_fixed_size 0
		.amdhsa_kernarg_size 352
		.amdhsa_user_sgpr_count 14
		.amdhsa_user_sgpr_dispatch_ptr 0
		.amdhsa_user_sgpr_queue_ptr 0
		.amdhsa_user_sgpr_kernarg_segment_ptr 1
		.amdhsa_user_sgpr_dispatch_id 0
		.amdhsa_user_sgpr_private_segment_size 0
		.amdhsa_wavefront_size32 1
		.amdhsa_uses_dynamic_stack 0
		.amdhsa_enable_private_segment 0
		.amdhsa_system_sgpr_workgroup_id_x 1
		.amdhsa_system_sgpr_workgroup_id_y 1
		.amdhsa_system_sgpr_workgroup_id_z 0
		.amdhsa_system_sgpr_workgroup_info 0
		.amdhsa_system_vgpr_workitem_id 0
		.amdhsa_next_free_vgpr 22
		.amdhsa_next_free_sgpr 47
		.amdhsa_reserve_vcc 1
		.amdhsa_float_round_mode_32 0
		.amdhsa_float_round_mode_16_64 0
		.amdhsa_float_denorm_mode_32 3
		.amdhsa_float_denorm_mode_16_64 3
		.amdhsa_dx10_clamp 1
		.amdhsa_ieee_mode 1
		.amdhsa_fp16_overflow 0
		.amdhsa_workgroup_processor_mode 1
		.amdhsa_memory_ordered 1
		.amdhsa_forward_progress 0
		.amdhsa_shared_vgpr_count 0
		.amdhsa_exception_fp_ieee_invalid_op 0
		.amdhsa_exception_fp_denorm_src 0
		.amdhsa_exception_fp_ieee_div_zero 0
		.amdhsa_exception_fp_ieee_overflow 0
		.amdhsa_exception_fp_ieee_underflow 0
		.amdhsa_exception_fp_ieee_inexact 0
		.amdhsa_exception_int_div_zero 0
	.end_amdhsa_kernel
	.section	.text._ZN9rocsolver6v33100L10syevj_initIffPfEEv14rocblas_evect_13rocblas_fill_iiT1_iilT0_PS6_PT_S7_PiSA_SA_,"axG",@progbits,_ZN9rocsolver6v33100L10syevj_initIffPfEEv14rocblas_evect_13rocblas_fill_iiT1_iilT0_PS6_PT_S7_PiSA_SA_,comdat
.Lfunc_end5:
	.size	_ZN9rocsolver6v33100L10syevj_initIffPfEEv14rocblas_evect_13rocblas_fill_iiT1_iilT0_PS6_PT_S7_PiSA_SA_, .Lfunc_end5-_ZN9rocsolver6v33100L10syevj_initIffPfEEv14rocblas_evect_13rocblas_fill_iiT1_iilT0_PS6_PT_S7_PiSA_SA_
                                        ; -- End function
	.section	.AMDGPU.csdata,"",@progbits
; Kernel info:
; codeLenInByte = 2176
; NumSgprs: 49
; NumVgprs: 22
; ScratchSize: 0
; MemoryBound: 0
; FloatMode: 240
; IeeeMode: 1
; LDSByteSize: 0 bytes/workgroup (compile time only)
; SGPRBlocks: 6
; VGPRBlocks: 2
; NumSGPRsForWavesPerEU: 49
; NumVGPRsForWavesPerEU: 22
; Occupancy: 16
; WaveLimiterHint : 0
; COMPUTE_PGM_RSRC2:SCRATCH_EN: 0
; COMPUTE_PGM_RSRC2:USER_SGPR: 14
; COMPUTE_PGM_RSRC2:TRAP_HANDLER: 0
; COMPUTE_PGM_RSRC2:TGID_X_EN: 1
; COMPUTE_PGM_RSRC2:TGID_Y_EN: 1
; COMPUTE_PGM_RSRC2:TGID_Z_EN: 0
; COMPUTE_PGM_RSRC2:TIDIG_COMP_CNT: 0
	.section	.text._ZN9rocsolver6v33100L17syevj_diag_kernelIffPfEEviT1_iilT0_PT_Pi,"axG",@progbits,_ZN9rocsolver6v33100L17syevj_diag_kernelIffPfEEviT1_iilT0_PT_Pi,comdat
	.globl	_ZN9rocsolver6v33100L17syevj_diag_kernelIffPfEEviT1_iilT0_PT_Pi ; -- Begin function _ZN9rocsolver6v33100L17syevj_diag_kernelIffPfEEviT1_iilT0_PT_Pi
	.p2align	8
	.type	_ZN9rocsolver6v33100L17syevj_diag_kernelIffPfEEviT1_iilT0_PT_Pi,@function
_ZN9rocsolver6v33100L17syevj_diag_kernelIffPfEEviT1_iilT0_PT_Pi: ; @_ZN9rocsolver6v33100L17syevj_diag_kernelIffPfEEviT1_iilT0_PT_Pi
; %bb.0:
	s_load_b128 s[4:7], s[0:1], 0x28
	s_mov_b32 s10, s15
	s_ashr_i32 s11, s15, 31
	s_delay_alu instid0(SALU_CYCLE_1)
	s_lshl_b64 s[2:3], s[10:11], 2
	s_waitcnt lgkmcnt(0)
	s_add_u32 s2, s6, s2
	s_addc_u32 s3, s7, s3
	s_load_b32 s2, s[2:3], 0x4
	s_waitcnt lgkmcnt(0)
	s_cmp_lg_u32 s2, 0
	s_cbranch_scc1 .LBB6_46
; %bb.1:
	s_clause 0x1
	s_load_b32 s12, s[0:1], 0x0
	s_load_b32 s6, s[0:1], 0x44
	s_add_u32 s2, s0, 56
	s_addc_u32 s3, s1, 0
	v_and_b32_e32 v7, 0x3ff, v0
	v_bfe_u32 v1, v0, 10, 10
	s_delay_alu instid0(VALU_DEP_1)
	v_max_i32_e32 v0, v7, v1
	s_waitcnt lgkmcnt(0)
	s_add_i32 s7, s12, -1
	s_and_b32 s6, s6, 0xffff
	s_lshr_b32 s8, s7, 31
	s_lshl_b32 s18, s6, 1
	s_add_i32 s7, s7, s8
	s_mul_i32 s13, s18, s14
	s_and_b32 s6, s7, -2
	s_delay_alu instid0(SALU_CYCLE_1) | instskip(NEXT) | instid1(SALU_CYCLE_1)
	s_sub_i32 s6, s6, s13
	s_add_i32 s6, s6, 2
	s_delay_alu instid0(SALU_CYCLE_1) | instskip(SKIP_2) | instid1(SALU_CYCLE_1)
	s_min_i32 s16, s18, s6
	s_mov_b32 s6, exec_lo
	s_ashr_i32 s17, s16, 1
	v_cmpx_gt_i32_e64 s17, v0
	s_cbranch_execz .LBB6_46
; %bb.2:
	s_cmp_eq_u64 s[4:5], 0
	s_mov_b64 s[8:9], 0
	s_cbranch_scc1 .LBB6_4
; %bb.3:
	s_load_b32 s2, s[2:3], 0x0
	s_waitcnt lgkmcnt(0)
	s_mul_i32 s2, s2, s10
	s_delay_alu instid0(SALU_CYCLE_1) | instskip(NEXT) | instid1(SALU_CYCLE_1)
	s_add_i32 s2, s2, s14
	s_mul_i32 s2, s18, s2
	s_delay_alu instid0(SALU_CYCLE_1) | instskip(NEXT) | instid1(SALU_CYCLE_1)
	s_mul_i32 s2, s2, s18
	s_ashr_i32 s3, s2, 31
	s_delay_alu instid0(SALU_CYCLE_1) | instskip(NEXT) | instid1(SALU_CYCLE_1)
	s_lshl_b64 s[2:3], s[2:3], 2
	s_add_u32 s8, s4, s2
	s_addc_u32 s9, s5, s3
.LBB6_4:
	v_lshlrev_b32_e32 v0, 1, v7
	v_lshlrev_b32_e32 v3, 1, v1
	s_cmp_lg_u64 s[8:9], 0
	s_cselect_b32 s14, -1, 0
	s_cmp_eq_u64 s[8:9], 0
	s_cbranch_scc1 .LBB6_6
; %bb.5:
	v_mad_u32_u24 v2, s18, v3, v0
	v_cmp_eq_u32_e32 vcc_lo, v0, v3
	v_mov_b32_e32 v10, 0
	s_delay_alu instid0(VALU_DEP_3) | instskip(SKIP_2) | instid1(VALU_DEP_3)
	v_lshlrev_b32_e32 v4, 2, v2
	v_add_lshl_u32 v2, v2, s18, 2
	v_cndmask_b32_e64 v6, 0, 1.0, vcc_lo
	v_add_co_u32 v4, s2, s8, v4
	s_delay_alu instid0(VALU_DEP_1) | instskip(NEXT) | instid1(VALU_DEP_4)
	v_add_co_ci_u32_e64 v5, null, s9, 0, s2
	v_add_co_u32 v8, s2, s8, v2
	s_delay_alu instid0(VALU_DEP_1)
	v_add_co_ci_u32_e64 v9, null, s9, 0, s2
	s_clause 0x3
	flat_store_b32 v[4:5], v6
	flat_store_b32 v[8:9], v10
	flat_store_b32 v[4:5], v10 offset:4
	flat_store_b32 v[8:9], v6 offset:4
.LBB6_6:
	v_add_nc_u32_e32 v0, s13, v0
	s_lshl_b32 s4, s17, 2
	v_cmp_eq_u32_e64 s2, 0, v1
	s_add_i32 s19, s4, 0
	v_lshlrev_b32_e32 v4, 2, v7
	v_or_b32_e32 v1, 1, v0
	s_add_i32 s3, s19, s4
	s_delay_alu instid0(SALU_CYCLE_1)
	s_add_i32 s15, s3, s4
	s_and_saveexec_b32 s4, s2
	s_cbranch_execz .LBB6_8
; %bb.7:
	v_add_nc_u32_e32 v2, s3, v4
	v_add_nc_u32_e32 v5, s15, v4
	ds_store_b32 v2, v0
	ds_store_b32 v5, v1
.LBB6_8:
	s_or_b32 exec_lo, exec_lo, s4
	s_cmp_lt_i32 s16, 2
	s_cbranch_scc1 .LBB6_46
; %bb.9:
	s_clause 0x2
	s_load_b32 s22, s[0:1], 0x20
	s_load_b128 s[4:7], s[0:1], 0x8
	s_load_b64 s[20:21], s[0:1], 0x18
	v_dual_mov_b32 v19, 0 :: v_dual_add_nc_u32 v2, s13, v3
	v_mul_u32_u24_e32 v10, s18, v3
	v_mad_u32_u24 v12, s18, v3, s18
	s_mov_b32 s0, 0x800000
	v_add_nc_u32_e32 v8, 0, v4
                                        ; implicit-def: $vgpr20
                                        ; implicit-def: $vgpr21
	s_waitcnt lgkmcnt(0)
	s_mov_b32 s18, s6
	v_div_scale_f32 v5, null, s22, s22, 0x800000
	v_div_scale_f32 v17, vcc_lo, s0, s22, s0
	s_mul_i32 s1, s10, s21
	s_delay_alu instid0(VALU_DEP_2)
	v_rcp_f32_e32 v6, v5
	s_mul_i32 s11, s11, s20
	v_mul_lo_u32 v15, v2, s7
	s_waitcnt_depctr 0xfff
	v_fma_f32 v3, -v5, v6, 1.0
	v_add_nc_u32_e32 v9, s19, v4
	s_ashr_i32 s19, s6, 31
	s_delay_alu instid0(VALU_DEP_2)
	v_dual_fmac_f32 v6, v3, v6 :: v_dual_add_nc_u32 v11, s3, v4
	v_add_nc_u32_e32 v13, s15, v4
	v_or_b32_e32 v4, 1, v2
	s_mul_hi_u32 s3, s10, s20
	s_mul_i32 s10, s10, s20
	s_add_i32 s1, s3, s1
	s_delay_alu instid0(VALU_DEP_1) | instskip(SKIP_4) | instid1(VALU_DEP_2)
	v_cmp_gt_i32_e64 s0, s12, v4
	v_mul_f32_e32 v4, v17, v6
	s_add_i32 s11, s1, s11
	v_add_nc_u32_e32 v14, -4, v11
	s_lshl_b64 s[10:11], s[10:11], 2
	v_fma_f32 v16, -v5, v4, v17
	s_add_u32 s1, s4, s10
	s_addc_u32 s3, s5, s11
	s_lshl_b64 s[10:11], s[18:19], 2
	s_delay_alu instid0(VALU_DEP_1)
	v_fmac_f32_e32 v4, v16, v6
	s_add_u32 s5, s1, s10
	s_addc_u32 s6, s3, s11
	s_add_i32 s17, s17, -1
	v_add_nc_u32_e32 v3, 4, v13
	v_fma_f32 v5, -v5, v4, v17
	s_add_i32 s1, s15, -4
	v_add_nc_u32_e32 v16, s7, v15
	s_add_i32 s10, s7, 1
	s_add_i32 s11, s16, -1
	v_div_fmas_f32 v4, v5, v6, v4
	v_cmp_eq_u32_e32 vcc_lo, s17, v7
	s_delay_alu instid0(VALU_DEP_2)
	v_div_fixup_f32 v18, v4, s22, 0x800000
	v_cndmask_b32_e64 v17, v3, s1, vcc_lo
                                        ; implicit-def: $vgpr4
	s_branch .LBB6_11
.LBB6_10:                               ;   in Loop: Header=BB6_11 Depth=1
	s_or_b32 exec_lo, exec_lo, s1
	s_add_i32 s11, s11, -1
	s_delay_alu instid0(SALU_CYCLE_1)
	s_cmp_lg_u32 s11, 0
	s_cbranch_scc0 .LBB6_46
.LBB6_11:                               ; =>This Inner Loop Header: Depth=1
	v_cmp_gt_i32_e64 s1, s12, v0
	v_cmp_gt_i32_e64 s3, s12, v1
	s_delay_alu instid0(VALU_DEP_2)
	s_and_b32 s4, s2, s1
	s_delay_alu instid0(VALU_DEP_1) | instid1(SALU_CYCLE_1)
	s_and_b32 s16, s4, s3
	s_delay_alu instid0(SALU_CYCLE_1)
	s_and_saveexec_b32 s17, s16
	s_cbranch_execz .LBB6_27
; %bb.12:                               ;   in Loop: Header=BB6_11 Depth=1
	v_mul_lo_u32 v5, v1, s7
	s_mov_b32 s18, exec_lo
	v_mov_b32_e32 v21, 1.0
	s_delay_alu instid0(VALU_DEP_2) | instskip(NEXT) | instid1(VALU_DEP_1)
	v_add_nc_u32_e32 v3, v0, v5
	v_ashrrev_i32_e32 v4, 31, v3
	s_delay_alu instid0(VALU_DEP_1) | instskip(NEXT) | instid1(VALU_DEP_1)
	v_lshlrev_b64 v[3:4], 2, v[3:4]
	v_add_co_u32 v3, vcc_lo, s5, v3
	s_delay_alu instid0(VALU_DEP_2) | instskip(SKIP_4) | instid1(VALU_DEP_1)
	v_add_co_ci_u32_e32 v4, vcc_lo, s6, v4, vcc_lo
	global_load_b32 v3, v[3:4], off
	v_mov_b32_e32 v4, 0
	s_waitcnt vmcnt(0)
	v_mul_f32_e32 v6, v3, v3
	v_cmpx_nlt_f32_e32 v6, v18
	s_cbranch_execz .LBB6_26
; %bb.13:                               ;   in Loop: Header=BB6_11 Depth=1
	v_add_nc_u32_e32 v4, v5, v1
	v_mul_lo_u32 v21, v0, s10
	s_mov_b32 s4, exec_lo
	s_delay_alu instid0(VALU_DEP_2) | instskip(NEXT) | instid1(VALU_DEP_2)
	v_ashrrev_i32_e32 v5, 31, v4
	v_ashrrev_i32_e32 v22, 31, v21
	s_delay_alu instid0(VALU_DEP_2) | instskip(NEXT) | instid1(VALU_DEP_2)
	v_lshlrev_b64 v[4:5], 2, v[4:5]
	v_lshlrev_b64 v[21:22], 2, v[21:22]
	s_delay_alu instid0(VALU_DEP_2) | instskip(NEXT) | instid1(VALU_DEP_3)
	v_add_co_u32 v4, vcc_lo, s5, v4
	v_add_co_ci_u32_e32 v5, vcc_lo, s6, v5, vcc_lo
	s_delay_alu instid0(VALU_DEP_3) | instskip(NEXT) | instid1(VALU_DEP_4)
	v_add_co_u32 v21, vcc_lo, s5, v21
	v_add_co_ci_u32_e32 v22, vcc_lo, s6, v22, vcc_lo
	s_clause 0x1
	global_load_b32 v5, v[4:5], off
	global_load_b32 v6, v[21:22], off
	v_add_f32_e64 v4, |v3|, |v3|
	s_waitcnt vmcnt(0)
	v_sub_f32_e32 v5, v5, v6
	s_delay_alu instid0(VALU_DEP_1) | instskip(NEXT) | instid1(VALU_DEP_1)
	v_max_f32_e64 v6, |v5|, |v4|
	v_cvt_f64_f32_e32 v[21:22], v6
	s_delay_alu instid0(VALU_DEP_1) | instskip(NEXT) | instid1(VALU_DEP_1)
	v_frexp_exp_i32_f64_e32 v21, v[21:22]
	v_sub_nc_u32_e32 v22, 0, v21
	s_delay_alu instid0(VALU_DEP_1) | instskip(SKIP_1) | instid1(VALU_DEP_2)
	v_ldexp_f32 v23, |v4|, v22
	v_ldexp_f32 v22, |v5|, v22
	v_mul_f32_e32 v23, v23, v23
	s_delay_alu instid0(VALU_DEP_1) | instskip(NEXT) | instid1(VALU_DEP_1)
	v_fmac_f32_e32 v23, v22, v22
                                        ; implicit-def: $vgpr22
	v_sqrt_f32_e32 v23, v23
	v_cmpx_ngt_f32_e32 0, v5
	s_xor_b32 s4, exec_lo, s4
; %bb.14:                               ;   in Loop: Header=BB6_11 Depth=1
	s_waitcnt_depctr 0xfff
	v_ldexp_f32 v21, v23, v21
	v_cmp_neq_f32_e32 vcc_lo, 0x7f800000, v6
                                        ; implicit-def: $vgpr23
                                        ; implicit-def: $vgpr6
	s_delay_alu instid0(VALU_DEP_2)
	v_cndmask_b32_e32 v22, 0x7f800000, v21, vcc_lo
                                        ; implicit-def: $vgpr21
; %bb.15:                               ;   in Loop: Header=BB6_11 Depth=1
	s_and_not1_saveexec_b32 s4, s4
; %bb.16:                               ;   in Loop: Header=BB6_11 Depth=1
	v_ldexp_f32 v21, -v23, v21
	v_cmp_neq_f32_e32 vcc_lo, 0x7f800000, v6
	s_delay_alu instid0(VALU_DEP_2)
	v_cndmask_b32_e32 v22, 0xff800000, v21, vcc_lo
; %bb.17:                               ;   in Loop: Header=BB6_11 Depth=1
	s_or_b32 exec_lo, exec_lo, s4
	v_dual_mov_b32 v6, 0 :: v_dual_mov_b32 v21, 1.0
	s_mov_b32 s19, exec_lo
	v_cmpx_neq_f32_e32 0, v4
	s_cbranch_execz .LBB6_25
; %bb.18:                               ;   in Loop: Header=BB6_11 Depth=1
	v_dual_add_f32 v5, v5, v22 :: v_dual_mov_b32 v6, 1.0
	v_mov_b32_e32 v21, 0
	s_mov_b32 s20, exec_lo
	s_delay_alu instid0(VALU_DEP_2)
	v_cmpx_neq_f32_e32 0, v5
	s_cbranch_execz .LBB6_24
; %bb.19:                               ;   in Loop: Header=BB6_11 Depth=1
	s_mov_b32 s21, exec_lo
                                        ; implicit-def: $vgpr21
                                        ; implicit-def: $vgpr6
	v_cmpx_ngt_f32_e64 |v4|, |v5|
	s_xor_b32 s21, exec_lo, s21
	s_cbranch_execz .LBB6_21
; %bb.20:                               ;   in Loop: Header=BB6_11 Depth=1
	v_div_scale_f32 v6, null, v5, v5, -v4
	v_div_scale_f32 v23, vcc_lo, -v4, v5, -v4
	s_delay_alu instid0(VALU_DEP_2) | instskip(SKIP_2) | instid1(VALU_DEP_1)
	v_rcp_f32_e32 v21, v6
	s_waitcnt_depctr 0xfff
	v_fma_f32 v22, -v6, v21, 1.0
	v_fmac_f32_e32 v21, v22, v21
	s_delay_alu instid0(VALU_DEP_1) | instskip(NEXT) | instid1(VALU_DEP_1)
	v_mul_f32_e32 v22, v23, v21
	v_fma_f32 v24, -v6, v22, v23
	s_delay_alu instid0(VALU_DEP_1) | instskip(NEXT) | instid1(VALU_DEP_1)
	v_fmac_f32_e32 v22, v24, v21
	v_fma_f32 v6, -v6, v22, v23
	s_delay_alu instid0(VALU_DEP_1) | instskip(NEXT) | instid1(VALU_DEP_1)
	v_div_fmas_f32 v6, v6, v21, v22
	v_div_fixup_f32 v4, v6, v5, -v4
	s_delay_alu instid0(VALU_DEP_1) | instskip(NEXT) | instid1(VALU_DEP_1)
	v_fma_f32 v5, v4, v4, 1.0
	v_mul_f32_e32 v6, 0x4f800000, v5
	v_cmp_gt_f32_e32 vcc_lo, 0xf800000, v5
	s_delay_alu instid0(VALU_DEP_2) | instskip(NEXT) | instid1(VALU_DEP_1)
	v_cndmask_b32_e32 v5, v5, v6, vcc_lo
	v_sqrt_f32_e32 v6, v5
	s_waitcnt_depctr 0xfff
	v_add_nc_u32_e32 v21, -1, v6
	v_add_nc_u32_e32 v22, 1, v6
	s_delay_alu instid0(VALU_DEP_2) | instskip(NEXT) | instid1(VALU_DEP_2)
	v_fma_f32 v23, -v21, v6, v5
	v_fma_f32 v24, -v22, v6, v5
	s_delay_alu instid0(VALU_DEP_2) | instskip(NEXT) | instid1(VALU_DEP_1)
	v_cmp_ge_f32_e64 s4, 0, v23
	v_cndmask_b32_e64 v6, v6, v21, s4
	s_delay_alu instid0(VALU_DEP_3) | instskip(NEXT) | instid1(VALU_DEP_1)
	v_cmp_lt_f32_e64 s4, 0, v24
	v_cndmask_b32_e64 v6, v6, v22, s4
	s_delay_alu instid0(VALU_DEP_1) | instskip(NEXT) | instid1(VALU_DEP_1)
	v_mul_f32_e32 v21, 0x37800000, v6
	v_cndmask_b32_e32 v6, v6, v21, vcc_lo
	v_cmp_class_f32_e64 vcc_lo, v5, 0x260
	s_delay_alu instid0(VALU_DEP_2) | instskip(NEXT) | instid1(VALU_DEP_1)
	v_cndmask_b32_e32 v5, v6, v5, vcc_lo
	v_div_scale_f32 v6, null, v5, v5, 1.0
	s_delay_alu instid0(VALU_DEP_1) | instskip(SKIP_2) | instid1(VALU_DEP_1)
	v_rcp_f32_e32 v21, v6
	s_waitcnt_depctr 0xfff
	v_fma_f32 v22, -v6, v21, 1.0
	v_fmac_f32_e32 v21, v22, v21
	v_div_scale_f32 v22, vcc_lo, 1.0, v5, 1.0
	s_delay_alu instid0(VALU_DEP_1) | instskip(NEXT) | instid1(VALU_DEP_1)
	v_mul_f32_e32 v23, v22, v21
	v_fma_f32 v24, -v6, v23, v22
	s_delay_alu instid0(VALU_DEP_1) | instskip(NEXT) | instid1(VALU_DEP_1)
	v_fmac_f32_e32 v23, v24, v21
	v_fma_f32 v6, -v6, v23, v22
	s_delay_alu instid0(VALU_DEP_1) | instskip(NEXT) | instid1(VALU_DEP_1)
	v_div_fmas_f32 v6, v6, v21, v23
	v_div_fixup_f32 v21, v6, v5, 1.0
                                        ; implicit-def: $vgpr5
	s_delay_alu instid0(VALU_DEP_1)
	v_mul_f32_e32 v6, v4, v21
                                        ; implicit-def: $vgpr4
.LBB6_21:                               ;   in Loop: Header=BB6_11 Depth=1
	s_and_not1_saveexec_b32 s21, s21
	s_cbranch_execz .LBB6_23
; %bb.22:                               ;   in Loop: Header=BB6_11 Depth=1
	v_div_scale_f32 v6, null, v4, v4, -v5
	v_div_scale_f32 v23, vcc_lo, -v5, v4, -v5
	s_delay_alu instid0(VALU_DEP_2) | instskip(SKIP_2) | instid1(VALU_DEP_1)
	v_rcp_f32_e32 v21, v6
	s_waitcnt_depctr 0xfff
	v_fma_f32 v22, -v6, v21, 1.0
	v_fmac_f32_e32 v21, v22, v21
	s_delay_alu instid0(VALU_DEP_1) | instskip(NEXT) | instid1(VALU_DEP_1)
	v_mul_f32_e32 v22, v23, v21
	v_fma_f32 v24, -v6, v22, v23
	s_delay_alu instid0(VALU_DEP_1) | instskip(NEXT) | instid1(VALU_DEP_1)
	v_fmac_f32_e32 v22, v24, v21
	v_fma_f32 v6, -v6, v22, v23
	s_delay_alu instid0(VALU_DEP_1) | instskip(NEXT) | instid1(VALU_DEP_1)
	v_div_fmas_f32 v6, v6, v21, v22
	v_div_fixup_f32 v4, v6, v4, -v5
	s_delay_alu instid0(VALU_DEP_1) | instskip(NEXT) | instid1(VALU_DEP_1)
	v_fma_f32 v5, v4, v4, 1.0
	v_mul_f32_e32 v6, 0x4f800000, v5
	v_cmp_gt_f32_e32 vcc_lo, 0xf800000, v5
	s_delay_alu instid0(VALU_DEP_2) | instskip(NEXT) | instid1(VALU_DEP_1)
	v_cndmask_b32_e32 v5, v5, v6, vcc_lo
	v_sqrt_f32_e32 v6, v5
	s_waitcnt_depctr 0xfff
	v_add_nc_u32_e32 v21, -1, v6
	v_add_nc_u32_e32 v22, 1, v6
	s_delay_alu instid0(VALU_DEP_2) | instskip(NEXT) | instid1(VALU_DEP_2)
	v_fma_f32 v23, -v21, v6, v5
	v_fma_f32 v24, -v22, v6, v5
	s_delay_alu instid0(VALU_DEP_2) | instskip(NEXT) | instid1(VALU_DEP_1)
	v_cmp_ge_f32_e64 s4, 0, v23
	v_cndmask_b32_e64 v6, v6, v21, s4
	s_delay_alu instid0(VALU_DEP_3) | instskip(NEXT) | instid1(VALU_DEP_1)
	v_cmp_lt_f32_e64 s4, 0, v24
	v_cndmask_b32_e64 v6, v6, v22, s4
	s_delay_alu instid0(VALU_DEP_1) | instskip(NEXT) | instid1(VALU_DEP_1)
	v_mul_f32_e32 v21, 0x37800000, v6
	v_cndmask_b32_e32 v6, v6, v21, vcc_lo
	v_cmp_class_f32_e64 vcc_lo, v5, 0x260
	s_delay_alu instid0(VALU_DEP_2) | instskip(NEXT) | instid1(VALU_DEP_1)
	v_cndmask_b32_e32 v5, v6, v5, vcc_lo
	v_div_scale_f32 v6, null, v5, v5, 1.0
	s_delay_alu instid0(VALU_DEP_1) | instskip(SKIP_2) | instid1(VALU_DEP_1)
	v_rcp_f32_e32 v21, v6
	s_waitcnt_depctr 0xfff
	v_fma_f32 v22, -v6, v21, 1.0
	v_fmac_f32_e32 v21, v22, v21
	v_div_scale_f32 v22, vcc_lo, 1.0, v5, 1.0
	s_delay_alu instid0(VALU_DEP_1) | instskip(NEXT) | instid1(VALU_DEP_1)
	v_mul_f32_e32 v23, v22, v21
	v_fma_f32 v24, -v6, v23, v22
	s_delay_alu instid0(VALU_DEP_1) | instskip(NEXT) | instid1(VALU_DEP_1)
	v_fmac_f32_e32 v23, v24, v21
	v_fma_f32 v6, -v6, v23, v22
	s_delay_alu instid0(VALU_DEP_1) | instskip(NEXT) | instid1(VALU_DEP_1)
	v_div_fmas_f32 v6, v6, v21, v23
	v_div_fixup_f32 v6, v6, v5, 1.0
	s_delay_alu instid0(VALU_DEP_1)
	v_mul_f32_e32 v21, v4, v6
.LBB6_23:                               ;   in Loop: Header=BB6_11 Depth=1
	s_or_b32 exec_lo, exec_lo, s21
.LBB6_24:                               ;   in Loop: Header=BB6_11 Depth=1
	s_delay_alu instid0(SALU_CYCLE_1)
	s_or_b32 exec_lo, exec_lo, s20
.LBB6_25:                               ;   in Loop: Header=BB6_11 Depth=1
	s_delay_alu instid0(SALU_CYCLE_1) | instskip(SKIP_1) | instid1(VALU_DEP_1)
	s_or_b32 exec_lo, exec_lo, s19
	v_dual_mul_f32 v4, v3, v6 :: v_dual_and_b32 v5, 0x7fffffff, v3
	v_div_scale_f32 v6, null, v5, v5, v4
	v_div_scale_f32 v5, vcc_lo, v4, v5, v4
	s_delay_alu instid0(VALU_DEP_2) | instskip(SKIP_2) | instid1(VALU_DEP_1)
	v_rcp_f32_e32 v22, v6
	s_waitcnt_depctr 0xfff
	v_fma_f32 v23, -v6, v22, 1.0
	v_fmac_f32_e32 v22, v23, v22
	s_delay_alu instid0(VALU_DEP_1) | instskip(NEXT) | instid1(VALU_DEP_1)
	v_mul_f32_e32 v23, v5, v22
	v_fma_f32 v24, -v6, v23, v5
	s_delay_alu instid0(VALU_DEP_1) | instskip(NEXT) | instid1(VALU_DEP_1)
	v_fmac_f32_e32 v23, v24, v22
	v_fma_f32 v5, -v6, v23, v5
	s_delay_alu instid0(VALU_DEP_1) | instskip(NEXT) | instid1(VALU_DEP_1)
	v_div_fmas_f32 v5, v5, v22, v23
	v_div_fixup_f32 v4, v5, |v3|, v4
.LBB6_26:                               ;   in Loop: Header=BB6_11 Depth=1
	s_or_b32 exec_lo, exec_lo, s18
	ds_store_b32 v8, v21
	ds_store_b32 v9, v4
.LBB6_27:                               ;   in Loop: Header=BB6_11 Depth=1
	s_or_b32 exec_lo, exec_lo, s17
	s_and_b32 s1, s1, s3
	s_waitcnt lgkmcnt(0)
	s_waitcnt_vscnt null, 0x0
	s_barrier
	buffer_gl0_inv
	s_and_saveexec_b32 s3, s1
	s_cbranch_execz .LBB6_35
; %bb.28:                               ;   in Loop: Header=BB6_11 Depth=1
	ds_load_b32 v21, v8
	ds_load_b32 v20, v9
	s_and_not1_b32 vcc_lo, exec_lo, s14
	s_cbranch_vccnz .LBB6_32
; %bb.29:                               ;   in Loop: Header=BB6_11 Depth=1
	v_subrev_nc_u32_e32 v4, s13, v1
	v_subrev_nc_u32_e32 v3, s13, v0
	s_delay_alu instid0(VALU_DEP_2) | instskip(NEXT) | instid1(VALU_DEP_2)
	v_add_nc_u32_e32 v5, v4, v10
	v_add_nc_u32_e32 v22, v3, v10
	s_delay_alu instid0(VALU_DEP_2) | instskip(NEXT) | instid1(VALU_DEP_2)
	v_ashrrev_i32_e32 v6, 31, v5
	v_ashrrev_i32_e32 v23, 31, v22
	s_delay_alu instid0(VALU_DEP_2) | instskip(NEXT) | instid1(VALU_DEP_2)
	v_lshlrev_b64 v[5:6], 2, v[5:6]
	v_lshlrev_b64 v[22:23], 2, v[22:23]
	s_delay_alu instid0(VALU_DEP_2) | instskip(NEXT) | instid1(VALU_DEP_3)
	v_add_co_u32 v5, vcc_lo, s8, v5
	v_add_co_ci_u32_e32 v6, vcc_lo, s9, v6, vcc_lo
	s_delay_alu instid0(VALU_DEP_3) | instskip(NEXT) | instid1(VALU_DEP_4)
	v_add_co_u32 v22, vcc_lo, s8, v22
	v_add_co_ci_u32_e32 v23, vcc_lo, s9, v23, vcc_lo
	s_clause 0x1
	flat_load_b32 v24, v[5:6]
	flat_load_b32 v25, v[22:23]
	s_waitcnt vmcnt(1) lgkmcnt(1)
	v_mul_f32_e32 v26, v20, v24
	s_waitcnt vmcnt(0) lgkmcnt(0)
	v_mul_f32_e32 v27, v20, v25
	s_delay_alu instid0(VALU_DEP_2) | instskip(NEXT) | instid1(VALU_DEP_2)
	v_fmac_f32_e32 v26, v21, v25
	v_fma_f32 v24, v21, v24, -v27
	s_clause 0x1
	flat_store_b32 v[22:23], v26
	flat_store_b32 v[5:6], v24
	s_and_saveexec_b32 s4, s0
	s_cbranch_execz .LBB6_31
; %bb.30:                               ;   in Loop: Header=BB6_11 Depth=1
	v_add_nc_u32_e32 v4, v4, v12
	v_add_nc_u32_e32 v22, v3, v12
	s_delay_alu instid0(VALU_DEP_2) | instskip(NEXT) | instid1(VALU_DEP_2)
	v_ashrrev_i32_e32 v5, 31, v4
	v_ashrrev_i32_e32 v23, 31, v22
	s_delay_alu instid0(VALU_DEP_2) | instskip(NEXT) | instid1(VALU_DEP_2)
	v_lshlrev_b64 v[3:4], 2, v[4:5]
	v_lshlrev_b64 v[5:6], 2, v[22:23]
	s_delay_alu instid0(VALU_DEP_2) | instskip(NEXT) | instid1(VALU_DEP_3)
	v_add_co_u32 v3, vcc_lo, s8, v3
	v_add_co_ci_u32_e32 v4, vcc_lo, s9, v4, vcc_lo
	s_delay_alu instid0(VALU_DEP_3) | instskip(NEXT) | instid1(VALU_DEP_4)
	v_add_co_u32 v5, vcc_lo, s8, v5
	v_add_co_ci_u32_e32 v6, vcc_lo, s9, v6, vcc_lo
	s_clause 0x1
	flat_load_b32 v22, v[3:4]
	flat_load_b32 v23, v[5:6]
	s_waitcnt vmcnt(1) lgkmcnt(1)
	v_mul_f32_e32 v24, v20, v22
	s_waitcnt vmcnt(0) lgkmcnt(0)
	v_mul_f32_e32 v25, v20, v23
	s_delay_alu instid0(VALU_DEP_2) | instskip(NEXT) | instid1(VALU_DEP_2)
	v_fmac_f32_e32 v24, v21, v23
	v_fma_f32 v22, v21, v22, -v25
	s_clause 0x1
	flat_store_b32 v[5:6], v24
	flat_store_b32 v[3:4], v22
.LBB6_31:                               ;   in Loop: Header=BB6_11 Depth=1
	s_or_b32 exec_lo, exec_lo, s4
.LBB6_32:                               ;   in Loop: Header=BB6_11 Depth=1
	v_mad_u64_u32 v[3:4], null, v1, s7, v[2:3]
	s_delay_alu instid0(VALU_DEP_1) | instskip(SKIP_1) | instid1(VALU_DEP_1)
	v_mad_u64_u32 v[5:6], null, v0, s7, v[2:3]
	v_ashrrev_i32_e32 v4, 31, v3
	v_lshlrev_b64 v[3:4], 2, v[3:4]
	s_delay_alu instid0(VALU_DEP_3) | instskip(NEXT) | instid1(VALU_DEP_2)
	v_ashrrev_i32_e32 v6, 31, v5
	v_add_co_u32 v3, vcc_lo, s5, v3
	s_delay_alu instid0(VALU_DEP_2) | instskip(NEXT) | instid1(VALU_DEP_4)
	v_lshlrev_b64 v[5:6], 2, v[5:6]
	v_add_co_ci_u32_e32 v4, vcc_lo, s6, v4, vcc_lo
	s_delay_alu instid0(VALU_DEP_2) | instskip(NEXT) | instid1(VALU_DEP_3)
	v_add_co_u32 v5, vcc_lo, s5, v5
	v_add_co_ci_u32_e32 v6, vcc_lo, s6, v6, vcc_lo
	s_clause 0x1
	global_load_b32 v22, v[3:4], off
	global_load_b32 v23, v[5:6], off
	s_waitcnt vmcnt(1) lgkmcnt(0)
	v_mul_f32_e32 v24, v20, v22
	s_waitcnt vmcnt(0)
	v_mul_f32_e32 v25, v20, v23
	s_delay_alu instid0(VALU_DEP_2) | instskip(NEXT) | instid1(VALU_DEP_2)
	v_fmac_f32_e32 v24, v21, v23
	v_fma_f32 v22, v21, v22, -v25
	s_clause 0x1
	global_store_b32 v[5:6], v24, off
	global_store_b32 v[3:4], v22, off
	s_and_saveexec_b32 s4, s0
	s_cbranch_execz .LBB6_34
; %bb.33:                               ;   in Loop: Header=BB6_11 Depth=1
	s_clause 0x1
	global_load_b32 v22, v[3:4], off offset:4
	global_load_b32 v23, v[5:6], off offset:4
	s_waitcnt vmcnt(1)
	v_mul_f32_e32 v24, v20, v22
	s_waitcnt vmcnt(0)
	v_mul_f32_e32 v25, v20, v23
	s_delay_alu instid0(VALU_DEP_2) | instskip(NEXT) | instid1(VALU_DEP_2)
	v_fmac_f32_e32 v24, v21, v23
	v_fma_f32 v22, v21, v22, -v25
	s_clause 0x1
	global_store_b32 v[5:6], v24, off offset:4
	global_store_b32 v[3:4], v22, off offset:4
.LBB6_34:                               ;   in Loop: Header=BB6_11 Depth=1
	s_or_b32 exec_lo, exec_lo, s4
	v_mov_b32_e32 v4, v20
.LBB6_35:                               ;   in Loop: Header=BB6_11 Depth=1
	s_or_b32 exec_lo, exec_lo, s3
	s_waitcnt_vscnt null, 0x0
	s_barrier
	buffer_gl0_inv
	s_and_saveexec_b32 s3, s1
	s_cbranch_execz .LBB6_38
; %bb.36:                               ;   in Loop: Header=BB6_11 Depth=1
	v_add_nc_u32_e32 v5, v1, v15
	v_add_nc_u32_e32 v22, v0, v15
	s_delay_alu instid0(VALU_DEP_2) | instskip(NEXT) | instid1(VALU_DEP_2)
	v_ashrrev_i32_e32 v6, 31, v5
	v_ashrrev_i32_e32 v23, 31, v22
	s_delay_alu instid0(VALU_DEP_2) | instskip(NEXT) | instid1(VALU_DEP_2)
	v_lshlrev_b64 v[5:6], 2, v[5:6]
	v_lshlrev_b64 v[22:23], 2, v[22:23]
	s_delay_alu instid0(VALU_DEP_2) | instskip(NEXT) | instid1(VALU_DEP_3)
	v_add_co_u32 v5, vcc_lo, s5, v5
	v_add_co_ci_u32_e32 v6, vcc_lo, s6, v6, vcc_lo
	s_delay_alu instid0(VALU_DEP_3) | instskip(NEXT) | instid1(VALU_DEP_4)
	v_add_co_u32 v22, vcc_lo, s5, v22
	v_add_co_ci_u32_e32 v23, vcc_lo, s6, v23, vcc_lo
	s_clause 0x1
	global_load_b32 v3, v[5:6], off
	global_load_b32 v24, v[22:23], off
	s_waitcnt vmcnt(1)
	v_mul_f32_e32 v25, v4, v3
	s_waitcnt vmcnt(0)
	v_mul_f32_e32 v26, v20, v24
	s_delay_alu instid0(VALU_DEP_2) | instskip(NEXT) | instid1(VALU_DEP_2)
	v_fmac_f32_e32 v25, v21, v24
	v_fma_f32 v3, v21, v3, -v26
	s_clause 0x1
	global_store_b32 v[22:23], v25, off
	global_store_b32 v[5:6], v3, off
	s_and_b32 exec_lo, exec_lo, s0
	s_cbranch_execz .LBB6_38
; %bb.37:                               ;   in Loop: Header=BB6_11 Depth=1
	v_add_nc_u32_e32 v5, v1, v16
	v_add_nc_u32_e32 v22, v0, v16
	s_delay_alu instid0(VALU_DEP_2) | instskip(NEXT) | instid1(VALU_DEP_2)
	v_ashrrev_i32_e32 v6, 31, v5
	v_ashrrev_i32_e32 v23, 31, v22
	s_delay_alu instid0(VALU_DEP_2) | instskip(NEXT) | instid1(VALU_DEP_2)
	v_lshlrev_b64 v[5:6], 2, v[5:6]
	v_lshlrev_b64 v[22:23], 2, v[22:23]
	s_delay_alu instid0(VALU_DEP_2) | instskip(NEXT) | instid1(VALU_DEP_3)
	v_add_co_u32 v5, vcc_lo, s5, v5
	v_add_co_ci_u32_e32 v6, vcc_lo, s6, v6, vcc_lo
	s_delay_alu instid0(VALU_DEP_3) | instskip(NEXT) | instid1(VALU_DEP_4)
	v_add_co_u32 v22, vcc_lo, s5, v22
	v_add_co_ci_u32_e32 v23, vcc_lo, s6, v23, vcc_lo
	s_clause 0x1
	global_load_b32 v3, v[5:6], off
	global_load_b32 v24, v[22:23], off
	s_waitcnt vmcnt(1)
	v_mul_f32_e32 v25, v4, v3
	s_waitcnt vmcnt(0)
	v_mul_f32_e32 v26, v20, v24
	s_delay_alu instid0(VALU_DEP_2) | instskip(NEXT) | instid1(VALU_DEP_2)
	v_fmac_f32_e32 v25, v21, v24
	v_fma_f32 v3, v21, v3, -v26
	s_clause 0x1
	global_store_b32 v[22:23], v25, off
	global_store_b32 v[5:6], v3, off
.LBB6_38:                               ;   in Loop: Header=BB6_11 Depth=1
	s_or_b32 exec_lo, exec_lo, s3
	s_waitcnt_vscnt null, 0x0
	s_barrier
	buffer_gl0_inv
	s_and_saveexec_b32 s1, s16
; %bb.39:                               ;   in Loop: Header=BB6_11 Depth=1
	v_mad_u64_u32 v[5:6], null, v1, s7, v[0:1]
	v_mad_u64_u32 v[22:23], null, v0, s7, v[1:2]
	s_delay_alu instid0(VALU_DEP_2) | instskip(NEXT) | instid1(VALU_DEP_2)
	v_ashrrev_i32_e32 v6, 31, v5
	v_ashrrev_i32_e32 v23, 31, v22
	s_delay_alu instid0(VALU_DEP_2) | instskip(NEXT) | instid1(VALU_DEP_2)
	v_lshlrev_b64 v[5:6], 2, v[5:6]
	v_lshlrev_b64 v[22:23], 2, v[22:23]
	s_delay_alu instid0(VALU_DEP_2) | instskip(NEXT) | instid1(VALU_DEP_3)
	v_add_co_u32 v5, vcc_lo, s5, v5
	v_add_co_ci_u32_e32 v6, vcc_lo, s6, v6, vcc_lo
	s_delay_alu instid0(VALU_DEP_3) | instskip(NEXT) | instid1(VALU_DEP_4)
	v_add_co_u32 v22, vcc_lo, s5, v22
	v_add_co_ci_u32_e32 v23, vcc_lo, s6, v23, vcc_lo
	s_clause 0x1
	global_store_b32 v[5:6], v19, off
	global_store_b32 v[22:23], v19, off
; %bb.40:                               ;   in Loop: Header=BB6_11 Depth=1
	s_or_b32 exec_lo, exec_lo, s1
	s_delay_alu instid0(SALU_CYCLE_1)
	s_mov_b32 s1, exec_lo
	v_cmpx_lt_i32_e32 0, v7
	s_cbranch_execz .LBB6_44
; %bb.41:                               ;   in Loop: Header=BB6_11 Depth=1
	v_mov_b32_e32 v0, s15
	s_mov_b32 s3, exec_lo
	v_cmpx_ne_u32_e32 1, v7
; %bb.42:                               ;   in Loop: Header=BB6_11 Depth=1
	v_mov_b32_e32 v0, v14
; %bb.43:                               ;   in Loop: Header=BB6_11 Depth=1
	s_or_b32 exec_lo, exec_lo, s3
	ds_load_b32 v0, v0
.LBB6_44:                               ;   in Loop: Header=BB6_11 Depth=1
	s_or_b32 exec_lo, exec_lo, s1
	ds_load_b32 v1, v17
	s_waitcnt lgkmcnt(0)
	s_waitcnt_vscnt null, 0x0
	s_barrier
	buffer_gl0_inv
	s_and_saveexec_b32 s1, s2
	s_cbranch_execz .LBB6_10
; %bb.45:                               ;   in Loop: Header=BB6_11 Depth=1
	ds_store_b32 v11, v0
	ds_store_b32 v13, v1
	s_branch .LBB6_10
.LBB6_46:
	s_endpgm
	.section	.rodata,"a",@progbits
	.p2align	6, 0x0
	.amdhsa_kernel _ZN9rocsolver6v33100L17syevj_diag_kernelIffPfEEviT1_iilT0_PT_Pi
		.amdhsa_group_segment_fixed_size 0
		.amdhsa_private_segment_fixed_size 0
		.amdhsa_kernarg_size 312
		.amdhsa_user_sgpr_count 14
		.amdhsa_user_sgpr_dispatch_ptr 0
		.amdhsa_user_sgpr_queue_ptr 0
		.amdhsa_user_sgpr_kernarg_segment_ptr 1
		.amdhsa_user_sgpr_dispatch_id 0
		.amdhsa_user_sgpr_private_segment_size 0
		.amdhsa_wavefront_size32 1
		.amdhsa_uses_dynamic_stack 0
		.amdhsa_enable_private_segment 0
		.amdhsa_system_sgpr_workgroup_id_x 1
		.amdhsa_system_sgpr_workgroup_id_y 0
		.amdhsa_system_sgpr_workgroup_id_z 1
		.amdhsa_system_sgpr_workgroup_info 0
		.amdhsa_system_vgpr_workitem_id 1
		.amdhsa_next_free_vgpr 28
		.amdhsa_next_free_sgpr 23
		.amdhsa_reserve_vcc 1
		.amdhsa_float_round_mode_32 0
		.amdhsa_float_round_mode_16_64 0
		.amdhsa_float_denorm_mode_32 3
		.amdhsa_float_denorm_mode_16_64 3
		.amdhsa_dx10_clamp 1
		.amdhsa_ieee_mode 1
		.amdhsa_fp16_overflow 0
		.amdhsa_workgroup_processor_mode 1
		.amdhsa_memory_ordered 1
		.amdhsa_forward_progress 0
		.amdhsa_shared_vgpr_count 0
		.amdhsa_exception_fp_ieee_invalid_op 0
		.amdhsa_exception_fp_denorm_src 0
		.amdhsa_exception_fp_ieee_div_zero 0
		.amdhsa_exception_fp_ieee_overflow 0
		.amdhsa_exception_fp_ieee_underflow 0
		.amdhsa_exception_fp_ieee_inexact 0
		.amdhsa_exception_int_div_zero 0
	.end_amdhsa_kernel
	.section	.text._ZN9rocsolver6v33100L17syevj_diag_kernelIffPfEEviT1_iilT0_PT_Pi,"axG",@progbits,_ZN9rocsolver6v33100L17syevj_diag_kernelIffPfEEviT1_iilT0_PT_Pi,comdat
.Lfunc_end6:
	.size	_ZN9rocsolver6v33100L17syevj_diag_kernelIffPfEEviT1_iilT0_PT_Pi, .Lfunc_end6-_ZN9rocsolver6v33100L17syevj_diag_kernelIffPfEEviT1_iilT0_PT_Pi
                                        ; -- End function
	.section	.AMDGPU.csdata,"",@progbits
; Kernel info:
; codeLenInByte = 3252
; NumSgprs: 25
; NumVgprs: 28
; ScratchSize: 0
; MemoryBound: 0
; FloatMode: 240
; IeeeMode: 1
; LDSByteSize: 0 bytes/workgroup (compile time only)
; SGPRBlocks: 3
; VGPRBlocks: 3
; NumSGPRsForWavesPerEU: 25
; NumVGPRsForWavesPerEU: 28
; Occupancy: 16
; WaveLimiterHint : 0
; COMPUTE_PGM_RSRC2:SCRATCH_EN: 0
; COMPUTE_PGM_RSRC2:USER_SGPR: 14
; COMPUTE_PGM_RSRC2:TRAP_HANDLER: 0
; COMPUTE_PGM_RSRC2:TGID_X_EN: 1
; COMPUTE_PGM_RSRC2:TGID_Y_EN: 0
; COMPUTE_PGM_RSRC2:TGID_Z_EN: 1
; COMPUTE_PGM_RSRC2:TIDIG_COMP_CNT: 1
	.section	.text._ZN9rocsolver6v33100L21syevj_diag_rotate_orgILb0EffPfEEvbiT2_iilPT0_Pi,"axG",@progbits,_ZN9rocsolver6v33100L21syevj_diag_rotate_orgILb0EffPfEEvbiT2_iilPT0_Pi,comdat
	.globl	_ZN9rocsolver6v33100L21syevj_diag_rotate_orgILb0EffPfEEvbiT2_iilPT0_Pi ; -- Begin function _ZN9rocsolver6v33100L21syevj_diag_rotate_orgILb0EffPfEEvbiT2_iilPT0_Pi
	.p2align	8
	.type	_ZN9rocsolver6v33100L21syevj_diag_rotate_orgILb0EffPfEEvbiT2_iilPT0_Pi,@function
_ZN9rocsolver6v33100L21syevj_diag_rotate_orgILb0EffPfEEvbiT2_iilPT0_Pi: ; @_ZN9rocsolver6v33100L21syevj_diag_rotate_orgILb0EffPfEEvbiT2_iilPT0_Pi
; %bb.0:
	s_clause 0x1
	s_load_b64 s[10:11], s[0:1], 0x0
	s_load_b64 s[2:3], s[0:1], 0x28
	s_mov_b32 s8, s15
	s_waitcnt lgkmcnt(0)
	s_bitcmp1_b32 s10, 0
	s_cselect_b32 s6, -1, 0
	s_ashr_i32 s9, s15, 31
	s_delay_alu instid0(SALU_CYCLE_1) | instskip(NEXT) | instid1(SALU_CYCLE_1)
	s_lshl_b64 s[4:5], s[8:9], 2
	s_add_u32 s2, s2, s4
	s_addc_u32 s3, s3, s5
	s_load_b32 s2, s[2:3], 0x4
	s_waitcnt lgkmcnt(0)
	s_cmp_lg_u32 s2, 0
	s_cselect_b32 s2, -1, 0
	s_cmp_eq_u32 s13, s14
	s_cselect_b32 s3, -1, 0
	s_delay_alu instid0(SALU_CYCLE_1) | instskip(NEXT) | instid1(SALU_CYCLE_1)
	s_and_b32 s3, s3, s6
	s_or_b32 s2, s3, s2
	s_delay_alu instid0(SALU_CYCLE_1)
	s_and_b32 vcc_lo, exec_lo, s2
	s_cbranch_vccnz .LBB7_7
; %bb.1:
	s_load_b32 s2, s[0:1], 0x3c
	v_and_b32_e32 v3, 0x3ff, v0
	v_bfe_u32 v2, v0, 10, 10
	s_add_u32 s16, s0, 48
	s_addc_u32 s17, s1, 0
	s_waitcnt lgkmcnt(0)
	s_and_b32 s12, s2, 0xffff
	s_mov_b32 s2, exec_lo
	v_mad_u64_u32 v[0:1], null, s14, s12, v[2:3]
	s_mul_i32 s10, s13, s12
	s_delay_alu instid0(SALU_CYCLE_1) | instskip(NEXT) | instid1(VALU_DEP_1)
	v_add_nc_u32_e32 v5, s10, v3
	v_max_i32_e32 v1, v5, v0
	s_delay_alu instid0(VALU_DEP_1)
	v_cmpx_gt_i32_e64 s11, v1
	s_cbranch_execz .LBB7_7
; %bb.2:
	s_load_b256 s[0:7], s[0:1], 0x8
	s_sub_i32 s10, s11, s10
	s_delay_alu instid0(SALU_CYCLE_1)
	s_min_i32 s10, s10, s12
	s_waitcnt lgkmcnt(0)
	s_mul_i32 s5, s8, s5
	s_mul_hi_u32 s11, s8, s4
	s_mul_i32 s9, s9, s4
	s_add_i32 s5, s11, s5
	s_mul_i32 s4, s8, s4
	s_add_i32 s5, s5, s9
	s_ashr_i32 s19, s2, 31
	s_lshl_b64 s[4:5], s[4:5], 2
	s_mov_b32 s18, s2
	s_add_u32 s2, s0, s4
	s_addc_u32 s4, s1, s5
	s_lshl_b64 s[0:1], s[18:19], 2
	s_delay_alu instid0(SALU_CYCLE_1)
	s_add_u32 s0, s2, s0
	s_addc_u32 s1, s4, s1
	s_cmp_lt_i32 s10, 1
	s_cbranch_scc1 .LBB7_5
; %bb.3:
	s_load_b32 s2, s[16:17], 0x0
	v_dual_mov_b32 v6, 0 :: v_dual_lshlrev_b32 v1, 2, v3
	s_waitcnt lgkmcnt(0)
	s_mul_i32 s2, s2, s8
	s_delay_alu instid0(SALU_CYCLE_1)
	s_add_i32 s2, s2, s13
	s_mul_i32 s13, s13, s3
	s_mul_i32 s2, s2, s12
	s_add_i32 s14, s14, s13
	s_mul_i32 s4, s2, s12
	v_mad_u64_u32 v[3:4], null, s14, s12, v[2:3]
	s_ashr_i32 s5, s4, 31
	s_delay_alu instid0(SALU_CYCLE_1) | instskip(NEXT) | instid1(SALU_CYCLE_1)
	s_lshl_b64 s[4:5], s[4:5], 2
	s_add_u32 s2, s6, s4
	s_addc_u32 s4, s7, s5
	v_add_co_u32 v1, s2, s2, v1
	s_delay_alu instid0(VALU_DEP_1)
	v_add_co_ci_u32_e64 v2, null, s4, 0, s2
	s_lshl_b32 s2, s12, 2
	.p2align	6
.LBB7_4:                                ; =>This Inner Loop Header: Depth=1
	v_ashrrev_i32_e32 v4, 31, v3
	s_add_i32 s10, s10, -1
	s_delay_alu instid0(SALU_CYCLE_1) | instskip(NEXT) | instid1(VALU_DEP_1)
	s_cmp_lg_u32 s10, 0
	v_lshlrev_b64 v[7:8], 2, v[3:4]
	v_add_nc_u32_e32 v3, s3, v3
	s_delay_alu instid0(VALU_DEP_2) | instskip(NEXT) | instid1(VALU_DEP_3)
	v_add_co_u32 v7, vcc_lo, s0, v7
	v_add_co_ci_u32_e32 v8, vcc_lo, s1, v8, vcc_lo
	global_load_b32 v4, v[1:2], off
	global_load_b32 v7, v[7:8], off
	v_add_co_u32 v1, vcc_lo, v1, s2
	v_add_co_ci_u32_e32 v2, vcc_lo, 0, v2, vcc_lo
	s_waitcnt vmcnt(0)
	v_fmac_f32_e32 v6, v4, v7
	s_cbranch_scc1 .LBB7_4
	s_branch .LBB7_6
.LBB7_5:
	v_mov_b32_e32 v6, 0
.LBB7_6:
	v_mad_u64_u32 v[1:2], null, v5, s3, v[0:1]
	s_barrier
	buffer_gl0_inv
	v_ashrrev_i32_e32 v2, 31, v1
	s_delay_alu instid0(VALU_DEP_1) | instskip(NEXT) | instid1(VALU_DEP_1)
	v_lshlrev_b64 v[0:1], 2, v[1:2]
	v_add_co_u32 v0, vcc_lo, s0, v0
	s_delay_alu instid0(VALU_DEP_2)
	v_add_co_ci_u32_e32 v1, vcc_lo, s1, v1, vcc_lo
	global_store_b32 v[0:1], v6, off
.LBB7_7:
	s_nop 0
	s_sendmsg sendmsg(MSG_DEALLOC_VGPRS)
	s_endpgm
	.section	.rodata,"a",@progbits
	.p2align	6, 0x0
	.amdhsa_kernel _ZN9rocsolver6v33100L21syevj_diag_rotate_orgILb0EffPfEEvbiT2_iilPT0_Pi
		.amdhsa_group_segment_fixed_size 0
		.amdhsa_private_segment_fixed_size 0
		.amdhsa_kernarg_size 304
		.amdhsa_user_sgpr_count 13
		.amdhsa_user_sgpr_dispatch_ptr 0
		.amdhsa_user_sgpr_queue_ptr 0
		.amdhsa_user_sgpr_kernarg_segment_ptr 1
		.amdhsa_user_sgpr_dispatch_id 0
		.amdhsa_user_sgpr_private_segment_size 0
		.amdhsa_wavefront_size32 1
		.amdhsa_uses_dynamic_stack 0
		.amdhsa_enable_private_segment 0
		.amdhsa_system_sgpr_workgroup_id_x 1
		.amdhsa_system_sgpr_workgroup_id_y 1
		.amdhsa_system_sgpr_workgroup_id_z 1
		.amdhsa_system_sgpr_workgroup_info 0
		.amdhsa_system_vgpr_workitem_id 1
		.amdhsa_next_free_vgpr 9
		.amdhsa_next_free_sgpr 20
		.amdhsa_reserve_vcc 1
		.amdhsa_float_round_mode_32 0
		.amdhsa_float_round_mode_16_64 0
		.amdhsa_float_denorm_mode_32 3
		.amdhsa_float_denorm_mode_16_64 3
		.amdhsa_dx10_clamp 1
		.amdhsa_ieee_mode 1
		.amdhsa_fp16_overflow 0
		.amdhsa_workgroup_processor_mode 1
		.amdhsa_memory_ordered 1
		.amdhsa_forward_progress 0
		.amdhsa_shared_vgpr_count 0
		.amdhsa_exception_fp_ieee_invalid_op 0
		.amdhsa_exception_fp_denorm_src 0
		.amdhsa_exception_fp_ieee_div_zero 0
		.amdhsa_exception_fp_ieee_overflow 0
		.amdhsa_exception_fp_ieee_underflow 0
		.amdhsa_exception_fp_ieee_inexact 0
		.amdhsa_exception_int_div_zero 0
	.end_amdhsa_kernel
	.section	.text._ZN9rocsolver6v33100L21syevj_diag_rotate_orgILb0EffPfEEvbiT2_iilPT0_Pi,"axG",@progbits,_ZN9rocsolver6v33100L21syevj_diag_rotate_orgILb0EffPfEEvbiT2_iilPT0_Pi,comdat
.Lfunc_end7:
	.size	_ZN9rocsolver6v33100L21syevj_diag_rotate_orgILb0EffPfEEvbiT2_iilPT0_Pi, .Lfunc_end7-_ZN9rocsolver6v33100L21syevj_diag_rotate_orgILb0EffPfEEvbiT2_iilPT0_Pi
                                        ; -- End function
	.section	.AMDGPU.csdata,"",@progbits
; Kernel info:
; codeLenInByte = 552
; NumSgprs: 22
; NumVgprs: 9
; ScratchSize: 0
; MemoryBound: 0
; FloatMode: 240
; IeeeMode: 1
; LDSByteSize: 0 bytes/workgroup (compile time only)
; SGPRBlocks: 2
; VGPRBlocks: 1
; NumSGPRsForWavesPerEU: 22
; NumVGPRsForWavesPerEU: 9
; Occupancy: 16
; WaveLimiterHint : 0
; COMPUTE_PGM_RSRC2:SCRATCH_EN: 0
; COMPUTE_PGM_RSRC2:USER_SGPR: 13
; COMPUTE_PGM_RSRC2:TRAP_HANDLER: 0
; COMPUTE_PGM_RSRC2:TGID_X_EN: 1
; COMPUTE_PGM_RSRC2:TGID_Y_EN: 1
; COMPUTE_PGM_RSRC2:TGID_Z_EN: 1
; COMPUTE_PGM_RSRC2:TIDIG_COMP_CNT: 1
	.section	.text._ZN9rocsolver6v33100L21syevj_diag_rotate_orgILb1EffPfEEvbiT2_iilPT0_Pi,"axG",@progbits,_ZN9rocsolver6v33100L21syevj_diag_rotate_orgILb1EffPfEEvbiT2_iilPT0_Pi,comdat
	.globl	_ZN9rocsolver6v33100L21syevj_diag_rotate_orgILb1EffPfEEvbiT2_iilPT0_Pi ; -- Begin function _ZN9rocsolver6v33100L21syevj_diag_rotate_orgILb1EffPfEEvbiT2_iilPT0_Pi
	.p2align	8
	.type	_ZN9rocsolver6v33100L21syevj_diag_rotate_orgILb1EffPfEEvbiT2_iilPT0_Pi,@function
_ZN9rocsolver6v33100L21syevj_diag_rotate_orgILb1EffPfEEvbiT2_iilPT0_Pi: ; @_ZN9rocsolver6v33100L21syevj_diag_rotate_orgILb1EffPfEEvbiT2_iilPT0_Pi
; %bb.0:
	s_clause 0x1
	s_load_b64 s[16:17], s[0:1], 0x0
	s_load_b64 s[2:3], s[0:1], 0x28
	s_mov_b32 s8, s15
	s_waitcnt lgkmcnt(0)
	s_bitcmp1_b32 s16, 0
	s_cselect_b32 s6, -1, 0
	s_ashr_i32 s9, s15, 31
	s_delay_alu instid0(SALU_CYCLE_1) | instskip(NEXT) | instid1(SALU_CYCLE_1)
	s_lshl_b64 s[4:5], s[8:9], 2
	s_add_u32 s2, s2, s4
	s_addc_u32 s3, s3, s5
	s_load_b32 s2, s[2:3], 0x4
	s_waitcnt lgkmcnt(0)
	s_cmp_lg_u32 s2, 0
	s_cselect_b32 s2, -1, 0
	s_cmp_eq_u32 s13, s14
	s_cselect_b32 s3, -1, 0
	s_delay_alu instid0(SALU_CYCLE_1) | instskip(NEXT) | instid1(SALU_CYCLE_1)
	s_and_b32 s3, s3, s6
	s_or_b32 s2, s3, s2
	s_delay_alu instid0(SALU_CYCLE_1)
	s_and_b32 vcc_lo, exec_lo, s2
	s_cbranch_vccnz .LBB8_7
; %bb.1:
	s_load_b32 s2, s[0:1], 0x3c
	v_bfe_u32 v3, v0, 10, 10
	s_add_u32 s10, s0, 48
	v_and_b32_e32 v2, 0x3ff, v0
	s_addc_u32 s11, s1, 0
	s_waitcnt lgkmcnt(0)
	s_and_b32 s15, s2, 0xffff
	s_mov_b32 s2, exec_lo
	v_mad_u64_u32 v[0:1], null, s14, s15, v[3:4]
	s_mul_i32 s14, s13, s15
	s_delay_alu instid0(SALU_CYCLE_1) | instskip(NEXT) | instid1(VALU_DEP_1)
	v_add_nc_u32_e32 v4, s14, v2
	v_max_i32_e32 v1, v4, v0
	s_delay_alu instid0(VALU_DEP_1)
	v_cmpx_gt_i32_e64 s17, v1
	s_cbranch_execz .LBB8_7
; %bb.2:
	s_load_b256 s[0:7], s[0:1], 0x8
	s_sub_i32 s12, s17, s14
	s_delay_alu instid0(SALU_CYCLE_1)
	s_min_i32 s12, s12, s15
	s_waitcnt lgkmcnt(0)
	s_mul_i32 s5, s8, s5
	s_mul_hi_u32 s16, s8, s4
	s_mul_i32 s9, s9, s4
	s_add_i32 s5, s16, s5
	s_mul_i32 s4, s8, s4
	s_add_i32 s5, s5, s9
	s_ashr_i32 s17, s2, 31
	s_lshl_b64 s[4:5], s[4:5], 2
	s_mov_b32 s16, s2
	v_mul_lo_u32 v5, v0, s3
	s_add_u32 s2, s0, s4
	s_addc_u32 s3, s1, s5
	s_lshl_b64 s[0:1], s[16:17], 2
	s_delay_alu instid0(SALU_CYCLE_1)
	s_add_u32 s0, s2, s0
	s_addc_u32 s1, s3, s1
	s_cmp_lt_i32 s12, 1
	s_cbranch_scc1 .LBB8_5
; %bb.3:
	s_load_b32 s2, s[10:11], 0x0
	v_dual_mov_b32 v6, 0 :: v_dual_lshlrev_b32 v1, 2, v2
	v_add_nc_u32_e32 v0, s14, v5
	s_waitcnt lgkmcnt(0)
	s_mul_i32 s2, s2, s8
	s_delay_alu instid0(SALU_CYCLE_1) | instskip(NEXT) | instid1(SALU_CYCLE_1)
	s_add_i32 s2, s2, s13
	s_mul_i32 s2, s2, s15
	s_delay_alu instid0(SALU_CYCLE_1) | instskip(NEXT) | instid1(SALU_CYCLE_1)
	s_mul_i32 s2, s2, s15
	s_ashr_i32 s3, s2, 31
	s_delay_alu instid0(SALU_CYCLE_1) | instskip(NEXT) | instid1(SALU_CYCLE_1)
	s_lshl_b64 s[2:3], s[2:3], 2
	s_add_u32 s2, s6, s2
	s_addc_u32 s3, s7, s3
	v_add_co_u32 v2, s2, s2, v1
	s_delay_alu instid0(VALU_DEP_1)
	v_add_co_ci_u32_e64 v3, null, s3, 0, s2
	s_lshl_b32 s2, s15, 2
	.p2align	6
.LBB8_4:                                ; =>This Inner Loop Header: Depth=1
	v_ashrrev_i32_e32 v1, 31, v0
	s_add_i32 s12, s12, -1
	s_delay_alu instid0(SALU_CYCLE_1) | instskip(NEXT) | instid1(VALU_DEP_1)
	s_cmp_lg_u32 s12, 0
	v_lshlrev_b64 v[7:8], 2, v[0:1]
	v_add_nc_u32_e32 v0, 1, v0
	s_delay_alu instid0(VALU_DEP_2) | instskip(NEXT) | instid1(VALU_DEP_3)
	v_add_co_u32 v7, vcc_lo, s0, v7
	v_add_co_ci_u32_e32 v8, vcc_lo, s1, v8, vcc_lo
	global_load_b32 v1, v[2:3], off
	global_load_b32 v7, v[7:8], off
	v_add_co_u32 v2, vcc_lo, v2, s2
	v_add_co_ci_u32_e32 v3, vcc_lo, 0, v3, vcc_lo
	s_waitcnt vmcnt(0)
	v_fmac_f32_e32 v6, v1, v7
	s_cbranch_scc1 .LBB8_4
	s_branch .LBB8_6
.LBB8_5:
	v_mov_b32_e32 v6, 0
.LBB8_6:
	v_add_nc_u32_e32 v0, v5, v4
	s_barrier
	buffer_gl0_inv
	v_ashrrev_i32_e32 v1, 31, v0
	s_delay_alu instid0(VALU_DEP_1) | instskip(NEXT) | instid1(VALU_DEP_1)
	v_lshlrev_b64 v[0:1], 2, v[0:1]
	v_add_co_u32 v0, vcc_lo, s0, v0
	s_delay_alu instid0(VALU_DEP_2)
	v_add_co_ci_u32_e32 v1, vcc_lo, s1, v1, vcc_lo
	global_store_b32 v[0:1], v6, off
.LBB8_7:
	s_nop 0
	s_sendmsg sendmsg(MSG_DEALLOC_VGPRS)
	s_endpgm
	.section	.rodata,"a",@progbits
	.p2align	6, 0x0
	.amdhsa_kernel _ZN9rocsolver6v33100L21syevj_diag_rotate_orgILb1EffPfEEvbiT2_iilPT0_Pi
		.amdhsa_group_segment_fixed_size 0
		.amdhsa_private_segment_fixed_size 0
		.amdhsa_kernarg_size 304
		.amdhsa_user_sgpr_count 13
		.amdhsa_user_sgpr_dispatch_ptr 0
		.amdhsa_user_sgpr_queue_ptr 0
		.amdhsa_user_sgpr_kernarg_segment_ptr 1
		.amdhsa_user_sgpr_dispatch_id 0
		.amdhsa_user_sgpr_private_segment_size 0
		.amdhsa_wavefront_size32 1
		.amdhsa_uses_dynamic_stack 0
		.amdhsa_enable_private_segment 0
		.amdhsa_system_sgpr_workgroup_id_x 1
		.amdhsa_system_sgpr_workgroup_id_y 1
		.amdhsa_system_sgpr_workgroup_id_z 1
		.amdhsa_system_sgpr_workgroup_info 0
		.amdhsa_system_vgpr_workitem_id 1
		.amdhsa_next_free_vgpr 9
		.amdhsa_next_free_sgpr 18
		.amdhsa_reserve_vcc 1
		.amdhsa_float_round_mode_32 0
		.amdhsa_float_round_mode_16_64 0
		.amdhsa_float_denorm_mode_32 3
		.amdhsa_float_denorm_mode_16_64 3
		.amdhsa_dx10_clamp 1
		.amdhsa_ieee_mode 1
		.amdhsa_fp16_overflow 0
		.amdhsa_workgroup_processor_mode 1
		.amdhsa_memory_ordered 1
		.amdhsa_forward_progress 0
		.amdhsa_shared_vgpr_count 0
		.amdhsa_exception_fp_ieee_invalid_op 0
		.amdhsa_exception_fp_denorm_src 0
		.amdhsa_exception_fp_ieee_div_zero 0
		.amdhsa_exception_fp_ieee_overflow 0
		.amdhsa_exception_fp_ieee_underflow 0
		.amdhsa_exception_fp_ieee_inexact 0
		.amdhsa_exception_int_div_zero 0
	.end_amdhsa_kernel
	.section	.text._ZN9rocsolver6v33100L21syevj_diag_rotate_orgILb1EffPfEEvbiT2_iilPT0_Pi,"axG",@progbits,_ZN9rocsolver6v33100L21syevj_diag_rotate_orgILb1EffPfEEvbiT2_iilPT0_Pi,comdat
.Lfunc_end8:
	.size	_ZN9rocsolver6v33100L21syevj_diag_rotate_orgILb1EffPfEEvbiT2_iilPT0_Pi, .Lfunc_end8-_ZN9rocsolver6v33100L21syevj_diag_rotate_orgILb1EffPfEEvbiT2_iilPT0_Pi
                                        ; -- End function
	.section	.AMDGPU.csdata,"",@progbits
; Kernel info:
; codeLenInByte = 548
; NumSgprs: 20
; NumVgprs: 9
; ScratchSize: 0
; MemoryBound: 0
; FloatMode: 240
; IeeeMode: 1
; LDSByteSize: 0 bytes/workgroup (compile time only)
; SGPRBlocks: 2
; VGPRBlocks: 1
; NumSGPRsForWavesPerEU: 20
; NumVGPRsForWavesPerEU: 9
; Occupancy: 16
; WaveLimiterHint : 0
; COMPUTE_PGM_RSRC2:SCRATCH_EN: 0
; COMPUTE_PGM_RSRC2:USER_SGPR: 13
; COMPUTE_PGM_RSRC2:TRAP_HANDLER: 0
; COMPUTE_PGM_RSRC2:TGID_X_EN: 1
; COMPUTE_PGM_RSRC2:TGID_Y_EN: 1
; COMPUTE_PGM_RSRC2:TGID_Z_EN: 1
; COMPUTE_PGM_RSRC2:TIDIG_COMP_CNT: 1
	.text
	.p2align	2                               ; -- Begin function __ockl_fprintf_append_string_n
	.type	__ockl_fprintf_append_string_n,@function
__ockl_fprintf_append_string_n:         ; @__ockl_fprintf_append_string_n
; %bb.0:
	s_waitcnt vmcnt(0) expcnt(0) lgkmcnt(0)
	v_dual_mov_b32 v8, v3 :: v_dual_mov_b32 v7, v2
	v_or_b32_e32 v2, 2, v0
	v_cmp_eq_u32_e32 vcc_lo, 0, v6
	v_mbcnt_lo_u32_b32 v33, -1, 0
	s_mov_b32 s11, 0
	s_mov_b32 s0, exec_lo
	v_cndmask_b32_e32 v0, v2, v0, vcc_lo
	v_cmpx_ne_u64_e32 0, v[7:8]
	s_xor_b32 s10, exec_lo, s0
	s_cbranch_execz .LBB9_86
; %bb.1:
	s_load_b64 s[2:3], s[8:9], 0x50
	v_dual_mov_b32 v11, 2 :: v_dual_and_b32 v6, 2, v0
	v_mov_b32_e32 v10, 0
	v_and_b32_e32 v0, -3, v0
	v_mov_b32_e32 v12, 1
	s_mov_b32 s12, 0
	s_branch .LBB9_3
.LBB9_2:                                ;   in Loop: Header=BB9_3 Depth=1
	s_or_b32 exec_lo, exec_lo, s1
	v_sub_co_u32 v4, vcc_lo, v4, v29
	v_sub_co_ci_u32_e32 v5, vcc_lo, v5, v30, vcc_lo
	v_add_co_u32 v7, s0, v7, v29
	s_delay_alu instid0(VALU_DEP_1) | instskip(NEXT) | instid1(VALU_DEP_3)
	v_add_co_ci_u32_e64 v8, s0, v8, v30, s0
	v_cmp_eq_u64_e32 vcc_lo, 0, v[4:5]
	s_or_b32 s12, vcc_lo, s12
	s_delay_alu instid0(SALU_CYCLE_1)
	s_and_not1_b32 exec_lo, exec_lo, s12
	s_cbranch_execz .LBB9_85
.LBB9_3:                                ; =>This Loop Header: Depth=1
                                        ;     Child Loop BB9_6 Depth 2
                                        ;     Child Loop BB9_14 Depth 2
	;; [unrolled: 1-line block ×11, first 2 shown]
	v_cmp_gt_u64_e32 vcc_lo, 56, v[4:5]
	s_mov_b32 s1, exec_lo
                                        ; implicit-def: $vgpr2_vgpr3
                                        ; implicit-def: $sgpr4
	v_dual_cndmask_b32 v30, 0, v5 :: v_dual_cndmask_b32 v29, 56, v4
	v_cmpx_gt_u64_e32 8, v[4:5]
	s_xor_b32 s1, exec_lo, s1
	s_cbranch_execz .LBB9_9
; %bb.4:                                ;   in Loop: Header=BB9_3 Depth=1
	s_waitcnt vmcnt(0)
	v_mov_b32_e32 v2, 0
	v_mov_b32_e32 v3, 0
	s_mov_b64 s[4:5], 0
	s_mov_b32 s6, exec_lo
	v_cmpx_ne_u64_e32 0, v[4:5]
	s_cbranch_execz .LBB9_8
; %bb.5:                                ;   in Loop: Header=BB9_3 Depth=1
	v_lshlrev_b64 v[13:14], 3, v[29:30]
	v_dual_mov_b32 v2, 0 :: v_dual_mov_b32 v15, v8
	v_dual_mov_b32 v3, 0 :: v_dual_mov_b32 v14, v7
	s_mov_b32 s7, 0
	.p2align	6
.LBB9_6:                                ;   Parent Loop BB9_3 Depth=1
                                        ; =>  This Inner Loop Header: Depth=2
	flat_load_u8 v9, v[14:15]
	v_mov_b32_e32 v17, s11
	v_add_co_u32 v14, vcc_lo, v14, 1
	v_add_co_ci_u32_e32 v15, vcc_lo, 0, v15, vcc_lo
	s_waitcnt vmcnt(0) lgkmcnt(0)
	v_and_b32_e32 v16, 0xffff, v9
	s_delay_alu instid0(VALU_DEP_1) | instskip(SKIP_3) | instid1(VALU_DEP_2)
	v_lshlrev_b64 v[16:17], s4, v[16:17]
	s_add_u32 s4, s4, 8
	s_addc_u32 s5, s5, 0
	v_cmp_eq_u32_e64 s0, s4, v13
	v_or_b32_e32 v3, v17, v3
	s_delay_alu instid0(VALU_DEP_3) | instskip(NEXT) | instid1(VALU_DEP_3)
	v_or_b32_e32 v2, v16, v2
	s_or_b32 s7, s0, s7
	s_delay_alu instid0(SALU_CYCLE_1)
	s_and_not1_b32 exec_lo, exec_lo, s7
	s_cbranch_execnz .LBB9_6
; %bb.7:                                ;   in Loop: Header=BB9_3 Depth=1
	s_or_b32 exec_lo, exec_lo, s7
.LBB9_8:                                ;   in Loop: Header=BB9_3 Depth=1
	s_delay_alu instid0(SALU_CYCLE_1)
	s_or_b32 exec_lo, exec_lo, s6
	s_mov_b32 s4, 0
.LBB9_9:                                ;   in Loop: Header=BB9_3 Depth=1
	s_or_saveexec_b32 s0, s1
	v_dual_mov_b32 v9, s4 :: v_dual_mov_b32 v26, v8
	v_mov_b32_e32 v25, v7
	s_xor_b32 exec_lo, exec_lo, s0
	s_cbranch_execz .LBB9_11
; %bb.10:                               ;   in Loop: Header=BB9_3 Depth=1
	s_waitcnt vmcnt(0)
	flat_load_b64 v[2:3], v[7:8]
	v_add_co_u32 v25, vcc_lo, v7, 8
	v_add_co_ci_u32_e32 v26, vcc_lo, 0, v8, vcc_lo
	s_waitcnt vmcnt(0) lgkmcnt(0)
	v_and_b32_e32 v9, 0xff, v3
	v_and_b32_e32 v13, 0xff00, v3
	;; [unrolled: 1-line block ×4, first 2 shown]
	v_or3_b32 v2, v2, 0, 0
	s_delay_alu instid0(VALU_DEP_4) | instskip(SKIP_1) | instid1(VALU_DEP_2)
	v_or_b32_e32 v13, v9, v13
	v_add_nc_u32_e32 v9, -8, v29
	v_or3_b32 v3, v13, v14, v3
.LBB9_11:                               ;   in Loop: Header=BB9_3 Depth=1
	s_or_b32 exec_lo, exec_lo, s0
                                        ; implicit-def: $vgpr13_vgpr14
                                        ; implicit-def: $sgpr1
	s_delay_alu instid0(SALU_CYCLE_1) | instskip(NEXT) | instid1(VALU_DEP_2)
	s_mov_b32 s0, exec_lo
	v_cmpx_gt_u32_e32 8, v9
	s_xor_b32 s6, exec_lo, s0
	s_cbranch_execz .LBB9_17
; %bb.12:                               ;   in Loop: Header=BB9_3 Depth=1
	v_mov_b32_e32 v13, 0
	v_mov_b32_e32 v14, 0
	s_mov_b32 s7, exec_lo
	v_cmpx_ne_u32_e32 0, v9
	s_cbranch_execz .LBB9_16
; %bb.13:                               ;   in Loop: Header=BB9_3 Depth=1
	v_mov_b32_e32 v13, 0
	v_mov_b32_e32 v14, 0
	s_mov_b64 s[0:1], 0
	s_mov_b32 s13, 0
	s_mov_b64 s[4:5], 0
	.p2align	6
.LBB9_14:                               ;   Parent Loop BB9_3 Depth=1
                                        ; =>  This Inner Loop Header: Depth=2
	s_delay_alu instid0(SALU_CYCLE_1)
	v_add_co_u32 v15, vcc_lo, v25, s4
	v_add_co_ci_u32_e32 v16, vcc_lo, s5, v26, vcc_lo
	s_add_u32 s4, s4, 1
	s_addc_u32 s5, s5, 0
	v_cmp_eq_u32_e32 vcc_lo, s4, v9
	flat_load_u8 v15, v[15:16]
	s_waitcnt vmcnt(0) lgkmcnt(0)
	v_dual_mov_b32 v16, s11 :: v_dual_and_b32 v15, 0xffff, v15
	s_delay_alu instid0(VALU_DEP_1) | instskip(SKIP_3) | instid1(VALU_DEP_1)
	v_lshlrev_b64 v[15:16], s0, v[15:16]
	s_add_u32 s0, s0, 8
	s_addc_u32 s1, s1, 0
	s_or_b32 s13, vcc_lo, s13
	v_or_b32_e32 v14, v16, v14
	s_delay_alu instid0(VALU_DEP_2)
	v_or_b32_e32 v13, v15, v13
	s_and_not1_b32 exec_lo, exec_lo, s13
	s_cbranch_execnz .LBB9_14
; %bb.15:                               ;   in Loop: Header=BB9_3 Depth=1
	s_or_b32 exec_lo, exec_lo, s13
.LBB9_16:                               ;   in Loop: Header=BB9_3 Depth=1
	s_delay_alu instid0(SALU_CYCLE_1)
	s_or_b32 exec_lo, exec_lo, s7
	s_mov_b32 s1, 0
                                        ; implicit-def: $vgpr9
.LBB9_17:                               ;   in Loop: Header=BB9_3 Depth=1
	s_or_saveexec_b32 s0, s6
	v_mov_b32_e32 v17, s1
	s_xor_b32 exec_lo, exec_lo, s0
	s_cbranch_execz .LBB9_19
; %bb.18:                               ;   in Loop: Header=BB9_3 Depth=1
	flat_load_b64 v[13:14], v[25:26]
	v_add_co_u32 v25, vcc_lo, v25, 8
	v_add_nc_u32_e32 v17, -8, v9
	v_add_co_ci_u32_e32 v26, vcc_lo, 0, v26, vcc_lo
	s_waitcnt vmcnt(0) lgkmcnt(0)
	v_and_b32_e32 v15, 0xff, v14
	v_and_b32_e32 v16, 0xff00, v14
	;; [unrolled: 1-line block ×4, first 2 shown]
	v_or3_b32 v13, v13, 0, 0
	s_delay_alu instid0(VALU_DEP_4) | instskip(NEXT) | instid1(VALU_DEP_1)
	v_or_b32_e32 v15, v15, v16
	v_or3_b32 v14, v15, v18, v14
.LBB9_19:                               ;   in Loop: Header=BB9_3 Depth=1
	s_or_b32 exec_lo, exec_lo, s0
                                        ; implicit-def: $sgpr1
	s_delay_alu instid0(SALU_CYCLE_1)
	s_mov_b32 s0, exec_lo
	v_cmpx_gt_u32_e32 8, v17
	s_xor_b32 s6, exec_lo, s0
	s_cbranch_execz .LBB9_25
; %bb.20:                               ;   in Loop: Header=BB9_3 Depth=1
	v_mov_b32_e32 v15, 0
	v_mov_b32_e32 v16, 0
	s_mov_b32 s7, exec_lo
	v_cmpx_ne_u32_e32 0, v17
	s_cbranch_execz .LBB9_24
; %bb.21:                               ;   in Loop: Header=BB9_3 Depth=1
	v_mov_b32_e32 v15, 0
	v_mov_b32_e32 v16, 0
	s_mov_b64 s[0:1], 0
	s_mov_b32 s13, 0
	s_mov_b64 s[4:5], 0
	.p2align	6
.LBB9_22:                               ;   Parent Loop BB9_3 Depth=1
                                        ; =>  This Inner Loop Header: Depth=2
	s_delay_alu instid0(SALU_CYCLE_1)
	v_add_co_u32 v18, vcc_lo, v25, s4
	v_add_co_ci_u32_e32 v19, vcc_lo, s5, v26, vcc_lo
	s_add_u32 s4, s4, 1
	s_addc_u32 s5, s5, 0
	v_cmp_eq_u32_e32 vcc_lo, s4, v17
	flat_load_u8 v9, v[18:19]
	s_waitcnt vmcnt(0) lgkmcnt(0)
	v_dual_mov_b32 v19, s11 :: v_dual_and_b32 v18, 0xffff, v9
	s_delay_alu instid0(VALU_DEP_1) | instskip(SKIP_3) | instid1(VALU_DEP_1)
	v_lshlrev_b64 v[18:19], s0, v[18:19]
	s_add_u32 s0, s0, 8
	s_addc_u32 s1, s1, 0
	s_or_b32 s13, vcc_lo, s13
	v_or_b32_e32 v16, v19, v16
	s_delay_alu instid0(VALU_DEP_2)
	v_or_b32_e32 v15, v18, v15
	s_and_not1_b32 exec_lo, exec_lo, s13
	s_cbranch_execnz .LBB9_22
; %bb.23:                               ;   in Loop: Header=BB9_3 Depth=1
	s_or_b32 exec_lo, exec_lo, s13
.LBB9_24:                               ;   in Loop: Header=BB9_3 Depth=1
	s_delay_alu instid0(SALU_CYCLE_1)
	s_or_b32 exec_lo, exec_lo, s7
	s_mov_b32 s1, 0
                                        ; implicit-def: $vgpr17
.LBB9_25:                               ;   in Loop: Header=BB9_3 Depth=1
	s_or_saveexec_b32 s0, s6
	v_mov_b32_e32 v9, s1
	s_xor_b32 exec_lo, exec_lo, s0
	s_cbranch_execz .LBB9_27
; %bb.26:                               ;   in Loop: Header=BB9_3 Depth=1
	flat_load_b64 v[15:16], v[25:26]
	v_add_co_u32 v25, vcc_lo, v25, 8
	v_add_co_ci_u32_e32 v26, vcc_lo, 0, v26, vcc_lo
	s_waitcnt vmcnt(0) lgkmcnt(0)
	v_and_b32_e32 v9, 0xff, v16
	v_and_b32_e32 v18, 0xff00, v16
	;; [unrolled: 1-line block ×4, first 2 shown]
	v_or3_b32 v15, v15, 0, 0
	s_delay_alu instid0(VALU_DEP_4) | instskip(SKIP_1) | instid1(VALU_DEP_2)
	v_or_b32_e32 v18, v9, v18
	v_add_nc_u32_e32 v9, -8, v17
	v_or3_b32 v16, v18, v19, v16
.LBB9_27:                               ;   in Loop: Header=BB9_3 Depth=1
	s_or_b32 exec_lo, exec_lo, s0
                                        ; implicit-def: $vgpr17_vgpr18
                                        ; implicit-def: $sgpr1
	s_delay_alu instid0(SALU_CYCLE_1) | instskip(NEXT) | instid1(VALU_DEP_1)
	s_mov_b32 s0, exec_lo
	v_cmpx_gt_u32_e32 8, v9
	s_xor_b32 s6, exec_lo, s0
	s_cbranch_execz .LBB9_33
; %bb.28:                               ;   in Loop: Header=BB9_3 Depth=1
	v_mov_b32_e32 v17, 0
	v_mov_b32_e32 v18, 0
	s_mov_b32 s7, exec_lo
	v_cmpx_ne_u32_e32 0, v9
	s_cbranch_execz .LBB9_32
; %bb.29:                               ;   in Loop: Header=BB9_3 Depth=1
	v_mov_b32_e32 v17, 0
	v_mov_b32_e32 v18, 0
	s_mov_b64 s[0:1], 0
	s_mov_b32 s13, 0
	s_mov_b64 s[4:5], 0
	.p2align	6
.LBB9_30:                               ;   Parent Loop BB9_3 Depth=1
                                        ; =>  This Inner Loop Header: Depth=2
	s_delay_alu instid0(SALU_CYCLE_1)
	v_add_co_u32 v19, vcc_lo, v25, s4
	v_add_co_ci_u32_e32 v20, vcc_lo, s5, v26, vcc_lo
	s_add_u32 s4, s4, 1
	s_addc_u32 s5, s5, 0
	v_cmp_eq_u32_e32 vcc_lo, s4, v9
	flat_load_u8 v19, v[19:20]
	s_waitcnt vmcnt(0) lgkmcnt(0)
	v_dual_mov_b32 v20, s11 :: v_dual_and_b32 v19, 0xffff, v19
	s_delay_alu instid0(VALU_DEP_1) | instskip(SKIP_3) | instid1(VALU_DEP_1)
	v_lshlrev_b64 v[19:20], s0, v[19:20]
	s_add_u32 s0, s0, 8
	s_addc_u32 s1, s1, 0
	s_or_b32 s13, vcc_lo, s13
	v_or_b32_e32 v18, v20, v18
	s_delay_alu instid0(VALU_DEP_2)
	v_or_b32_e32 v17, v19, v17
	s_and_not1_b32 exec_lo, exec_lo, s13
	s_cbranch_execnz .LBB9_30
; %bb.31:                               ;   in Loop: Header=BB9_3 Depth=1
	s_or_b32 exec_lo, exec_lo, s13
.LBB9_32:                               ;   in Loop: Header=BB9_3 Depth=1
	s_delay_alu instid0(SALU_CYCLE_1)
	s_or_b32 exec_lo, exec_lo, s7
	s_mov_b32 s1, 0
                                        ; implicit-def: $vgpr9
.LBB9_33:                               ;   in Loop: Header=BB9_3 Depth=1
	s_or_saveexec_b32 s0, s6
	v_mov_b32_e32 v21, s1
	s_xor_b32 exec_lo, exec_lo, s0
	s_cbranch_execz .LBB9_35
; %bb.34:                               ;   in Loop: Header=BB9_3 Depth=1
	flat_load_b64 v[17:18], v[25:26]
	v_add_co_u32 v25, vcc_lo, v25, 8
	v_add_nc_u32_e32 v21, -8, v9
	v_add_co_ci_u32_e32 v26, vcc_lo, 0, v26, vcc_lo
	s_waitcnt vmcnt(0) lgkmcnt(0)
	v_and_b32_e32 v19, 0xff, v18
	v_and_b32_e32 v20, 0xff00, v18
	;; [unrolled: 1-line block ×4, first 2 shown]
	v_or3_b32 v17, v17, 0, 0
	s_delay_alu instid0(VALU_DEP_4) | instskip(NEXT) | instid1(VALU_DEP_1)
	v_or_b32_e32 v19, v19, v20
	v_or3_b32 v18, v19, v22, v18
.LBB9_35:                               ;   in Loop: Header=BB9_3 Depth=1
	s_or_b32 exec_lo, exec_lo, s0
                                        ; implicit-def: $sgpr1
	s_delay_alu instid0(SALU_CYCLE_1)
	s_mov_b32 s0, exec_lo
	v_cmpx_gt_u32_e32 8, v21
	s_xor_b32 s6, exec_lo, s0
	s_cbranch_execz .LBB9_41
; %bb.36:                               ;   in Loop: Header=BB9_3 Depth=1
	v_mov_b32_e32 v19, 0
	v_mov_b32_e32 v20, 0
	s_mov_b32 s7, exec_lo
	v_cmpx_ne_u32_e32 0, v21
	s_cbranch_execz .LBB9_40
; %bb.37:                               ;   in Loop: Header=BB9_3 Depth=1
	v_mov_b32_e32 v19, 0
	v_mov_b32_e32 v20, 0
	s_mov_b64 s[0:1], 0
	s_mov_b32 s13, 0
	s_mov_b64 s[4:5], 0
	.p2align	6
.LBB9_38:                               ;   Parent Loop BB9_3 Depth=1
                                        ; =>  This Inner Loop Header: Depth=2
	s_delay_alu instid0(SALU_CYCLE_1)
	v_add_co_u32 v22, vcc_lo, v25, s4
	v_add_co_ci_u32_e32 v23, vcc_lo, s5, v26, vcc_lo
	s_add_u32 s4, s4, 1
	s_addc_u32 s5, s5, 0
	v_cmp_eq_u32_e32 vcc_lo, s4, v21
	flat_load_u8 v9, v[22:23]
	s_waitcnt vmcnt(0) lgkmcnt(0)
	v_dual_mov_b32 v23, s11 :: v_dual_and_b32 v22, 0xffff, v9
	s_delay_alu instid0(VALU_DEP_1) | instskip(SKIP_3) | instid1(VALU_DEP_1)
	v_lshlrev_b64 v[22:23], s0, v[22:23]
	s_add_u32 s0, s0, 8
	s_addc_u32 s1, s1, 0
	s_or_b32 s13, vcc_lo, s13
	v_or_b32_e32 v20, v23, v20
	s_delay_alu instid0(VALU_DEP_2)
	v_or_b32_e32 v19, v22, v19
	s_and_not1_b32 exec_lo, exec_lo, s13
	s_cbranch_execnz .LBB9_38
; %bb.39:                               ;   in Loop: Header=BB9_3 Depth=1
	s_or_b32 exec_lo, exec_lo, s13
.LBB9_40:                               ;   in Loop: Header=BB9_3 Depth=1
	s_delay_alu instid0(SALU_CYCLE_1)
	s_or_b32 exec_lo, exec_lo, s7
	s_mov_b32 s1, 0
                                        ; implicit-def: $vgpr21
.LBB9_41:                               ;   in Loop: Header=BB9_3 Depth=1
	s_or_saveexec_b32 s0, s6
	v_mov_b32_e32 v9, s1
	s_xor_b32 exec_lo, exec_lo, s0
	s_cbranch_execz .LBB9_43
; %bb.42:                               ;   in Loop: Header=BB9_3 Depth=1
	flat_load_b64 v[19:20], v[25:26]
	v_add_co_u32 v25, vcc_lo, v25, 8
	v_add_co_ci_u32_e32 v26, vcc_lo, 0, v26, vcc_lo
	s_waitcnt vmcnt(0) lgkmcnt(0)
	v_and_b32_e32 v9, 0xff, v20
	v_and_b32_e32 v22, 0xff00, v20
	;; [unrolled: 1-line block ×4, first 2 shown]
	v_or3_b32 v19, v19, 0, 0
	s_delay_alu instid0(VALU_DEP_4) | instskip(SKIP_1) | instid1(VALU_DEP_2)
	v_or_b32_e32 v22, v9, v22
	v_add_nc_u32_e32 v9, -8, v21
	v_or3_b32 v20, v22, v23, v20
.LBB9_43:                               ;   in Loop: Header=BB9_3 Depth=1
	s_or_b32 exec_lo, exec_lo, s0
                                        ; implicit-def: $vgpr21_vgpr22
                                        ; implicit-def: $sgpr1
	s_delay_alu instid0(SALU_CYCLE_1) | instskip(NEXT) | instid1(VALU_DEP_1)
	s_mov_b32 s0, exec_lo
	v_cmpx_gt_u32_e32 8, v9
	s_xor_b32 s6, exec_lo, s0
	s_cbranch_execz .LBB9_49
; %bb.44:                               ;   in Loop: Header=BB9_3 Depth=1
	v_mov_b32_e32 v21, 0
	v_mov_b32_e32 v22, 0
	s_mov_b32 s7, exec_lo
	v_cmpx_ne_u32_e32 0, v9
	s_cbranch_execz .LBB9_48
; %bb.45:                               ;   in Loop: Header=BB9_3 Depth=1
	v_mov_b32_e32 v21, 0
	v_mov_b32_e32 v22, 0
	s_mov_b64 s[0:1], 0
	s_mov_b32 s13, 0
	s_mov_b64 s[4:5], 0
	.p2align	6
.LBB9_46:                               ;   Parent Loop BB9_3 Depth=1
                                        ; =>  This Inner Loop Header: Depth=2
	s_delay_alu instid0(SALU_CYCLE_1)
	v_add_co_u32 v23, vcc_lo, v25, s4
	v_add_co_ci_u32_e32 v24, vcc_lo, s5, v26, vcc_lo
	s_add_u32 s4, s4, 1
	s_addc_u32 s5, s5, 0
	v_cmp_eq_u32_e32 vcc_lo, s4, v9
	flat_load_u8 v23, v[23:24]
	s_waitcnt vmcnt(0) lgkmcnt(0)
	v_dual_mov_b32 v24, s11 :: v_dual_and_b32 v23, 0xffff, v23
	s_delay_alu instid0(VALU_DEP_1) | instskip(SKIP_3) | instid1(VALU_DEP_1)
	v_lshlrev_b64 v[23:24], s0, v[23:24]
	s_add_u32 s0, s0, 8
	s_addc_u32 s1, s1, 0
	s_or_b32 s13, vcc_lo, s13
	v_or_b32_e32 v22, v24, v22
	s_delay_alu instid0(VALU_DEP_2)
	v_or_b32_e32 v21, v23, v21
	s_and_not1_b32 exec_lo, exec_lo, s13
	s_cbranch_execnz .LBB9_46
; %bb.47:                               ;   in Loop: Header=BB9_3 Depth=1
	s_or_b32 exec_lo, exec_lo, s13
.LBB9_48:                               ;   in Loop: Header=BB9_3 Depth=1
	s_delay_alu instid0(SALU_CYCLE_1)
	s_or_b32 exec_lo, exec_lo, s7
	s_mov_b32 s1, 0
                                        ; implicit-def: $vgpr9
.LBB9_49:                               ;   in Loop: Header=BB9_3 Depth=1
	s_or_saveexec_b32 s0, s6
	v_mov_b32_e32 v27, s1
	s_xor_b32 exec_lo, exec_lo, s0
	s_cbranch_execz .LBB9_51
; %bb.50:                               ;   in Loop: Header=BB9_3 Depth=1
	flat_load_b64 v[21:22], v[25:26]
	v_add_co_u32 v25, vcc_lo, v25, 8
	v_add_nc_u32_e32 v27, -8, v9
	v_add_co_ci_u32_e32 v26, vcc_lo, 0, v26, vcc_lo
	s_waitcnt vmcnt(0) lgkmcnt(0)
	v_and_b32_e32 v23, 0xff, v22
	v_and_b32_e32 v24, 0xff00, v22
	;; [unrolled: 1-line block ×4, first 2 shown]
	v_or3_b32 v21, v21, 0, 0
	s_delay_alu instid0(VALU_DEP_4) | instskip(NEXT) | instid1(VALU_DEP_1)
	v_or_b32_e32 v23, v23, v24
	v_or3_b32 v22, v23, v28, v22
.LBB9_51:                               ;   in Loop: Header=BB9_3 Depth=1
	s_or_b32 exec_lo, exec_lo, s0
	s_delay_alu instid0(SALU_CYCLE_1)
	s_mov_b32 s0, exec_lo
	v_cmpx_gt_u32_e32 8, v27
	s_xor_b32 s4, exec_lo, s0
	s_cbranch_execz .LBB9_57
; %bb.52:                               ;   in Loop: Header=BB9_3 Depth=1
	v_mov_b32_e32 v23, 0
	v_mov_b32_e32 v24, 0
	s_mov_b32 s5, exec_lo
	v_cmpx_ne_u32_e32 0, v27
	s_cbranch_execz .LBB9_56
; %bb.53:                               ;   in Loop: Header=BB9_3 Depth=1
	v_mov_b32_e32 v23, 0
	v_mov_b32_e32 v24, 0
	s_mov_b64 s[0:1], 0
	s_mov_b32 s6, 0
	.p2align	6
.LBB9_54:                               ;   Parent Loop BB9_3 Depth=1
                                        ; =>  This Inner Loop Header: Depth=2
	flat_load_u8 v9, v[25:26]
	v_dual_mov_b32 v32, s11 :: v_dual_add_nc_u32 v27, -1, v27
	v_add_co_u32 v25, vcc_lo, v25, 1
	v_add_co_ci_u32_e32 v26, vcc_lo, 0, v26, vcc_lo
	s_delay_alu instid0(VALU_DEP_3) | instskip(SKIP_2) | instid1(VALU_DEP_1)
	v_cmp_eq_u32_e32 vcc_lo, 0, v27
	s_waitcnt vmcnt(0) lgkmcnt(0)
	v_and_b32_e32 v31, 0xffff, v9
	v_lshlrev_b64 v[31:32], s0, v[31:32]
	s_add_u32 s0, s0, 8
	s_addc_u32 s1, s1, 0
	s_or_b32 s6, vcc_lo, s6
	s_delay_alu instid0(VALU_DEP_1) | instskip(NEXT) | instid1(VALU_DEP_2)
	v_or_b32_e32 v24, v32, v24
	v_or_b32_e32 v23, v31, v23
	s_and_not1_b32 exec_lo, exec_lo, s6
	s_cbranch_execnz .LBB9_54
; %bb.55:                               ;   in Loop: Header=BB9_3 Depth=1
	s_or_b32 exec_lo, exec_lo, s6
.LBB9_56:                               ;   in Loop: Header=BB9_3 Depth=1
	s_delay_alu instid0(SALU_CYCLE_1)
	s_or_b32 exec_lo, exec_lo, s5
                                        ; implicit-def: $vgpr25_vgpr26
.LBB9_57:                               ;   in Loop: Header=BB9_3 Depth=1
	s_and_not1_saveexec_b32 s0, s4
	s_cbranch_execz .LBB9_59
; %bb.58:                               ;   in Loop: Header=BB9_3 Depth=1
	flat_load_b64 v[23:24], v[25:26]
	s_waitcnt vmcnt(0) lgkmcnt(0)
	v_and_b32_e32 v9, 0xff, v24
	v_and_b32_e32 v25, 0xff00, v24
	v_and_b32_e32 v26, 0xff0000, v24
	v_and_b32_e32 v24, 0xff000000, v24
	v_or3_b32 v23, v23, 0, 0
	s_delay_alu instid0(VALU_DEP_4) | instskip(NEXT) | instid1(VALU_DEP_1)
	v_or_b32_e32 v9, v9, v25
	v_or3_b32 v24, v9, v26, v24
.LBB9_59:                               ;   in Loop: Header=BB9_3 Depth=1
	s_or_b32 exec_lo, exec_lo, s0
	v_readfirstlane_b32 s0, v33
	v_mov_b32_e32 v31, 0
	v_mov_b32_e32 v32, 0
	s_delay_alu instid0(VALU_DEP_3) | instskip(NEXT) | instid1(VALU_DEP_1)
	v_cmp_eq_u32_e64 s0, s0, v33
	s_and_saveexec_b32 s1, s0
	s_cbranch_execz .LBB9_65
; %bb.60:                               ;   in Loop: Header=BB9_3 Depth=1
	s_waitcnt lgkmcnt(0)
	global_load_b64 v[27:28], v10, s[2:3] offset:24 glc
	s_waitcnt vmcnt(0)
	buffer_gl1_inv
	buffer_gl0_inv
	s_clause 0x1
	global_load_b64 v[25:26], v10, s[2:3] offset:40
	global_load_b64 v[31:32], v10, s[2:3]
	s_mov_b32 s4, exec_lo
	s_waitcnt vmcnt(1)
	v_and_b32_e32 v9, v26, v28
	v_and_b32_e32 v25, v25, v27
	s_delay_alu instid0(VALU_DEP_2) | instskip(NEXT) | instid1(VALU_DEP_2)
	v_mul_lo_u32 v9, v9, 24
	v_mul_hi_u32 v26, v25, 24
	v_mul_lo_u32 v25, v25, 24
	s_delay_alu instid0(VALU_DEP_2) | instskip(SKIP_1) | instid1(VALU_DEP_2)
	v_add_nc_u32_e32 v9, v26, v9
	s_waitcnt vmcnt(0)
	v_add_co_u32 v25, vcc_lo, v31, v25
	s_delay_alu instid0(VALU_DEP_2)
	v_add_co_ci_u32_e32 v26, vcc_lo, v32, v9, vcc_lo
	global_load_b64 v[25:26], v[25:26], off glc
	s_waitcnt vmcnt(0)
	global_atomic_cmpswap_b64 v[31:32], v10, v[25:28], s[2:3] offset:24 glc
	s_waitcnt vmcnt(0)
	buffer_gl1_inv
	buffer_gl0_inv
	v_cmpx_ne_u64_e64 v[31:32], v[27:28]
	s_cbranch_execz .LBB9_64
; %bb.61:                               ;   in Loop: Header=BB9_3 Depth=1
	s_mov_b32 s5, 0
	.p2align	6
.LBB9_62:                               ;   Parent Loop BB9_3 Depth=1
                                        ; =>  This Inner Loop Header: Depth=2
	s_sleep 1
	s_clause 0x1
	global_load_b64 v[25:26], v10, s[2:3] offset:40
	global_load_b64 v[34:35], v10, s[2:3]
	v_dual_mov_b32 v27, v31 :: v_dual_mov_b32 v28, v32
	s_waitcnt vmcnt(1)
	s_delay_alu instid0(VALU_DEP_1) | instskip(SKIP_1) | instid1(VALU_DEP_1)
	v_and_b32_e32 v9, v25, v27
	s_waitcnt vmcnt(0)
	v_mad_u64_u32 v[31:32], null, v9, 24, v[34:35]
	s_delay_alu instid0(VALU_DEP_1) | instskip(NEXT) | instid1(VALU_DEP_1)
	v_dual_mov_b32 v9, v32 :: v_dual_and_b32 v34, v26, v28
	v_mad_u64_u32 v[25:26], null, v34, 24, v[9:10]
	s_delay_alu instid0(VALU_DEP_1)
	v_mov_b32_e32 v32, v25
	global_load_b64 v[25:26], v[31:32], off glc
	s_waitcnt vmcnt(0)
	global_atomic_cmpswap_b64 v[31:32], v10, v[25:28], s[2:3] offset:24 glc
	s_waitcnt vmcnt(0)
	buffer_gl1_inv
	buffer_gl0_inv
	v_cmp_eq_u64_e32 vcc_lo, v[31:32], v[27:28]
	s_or_b32 s5, vcc_lo, s5
	s_delay_alu instid0(SALU_CYCLE_1)
	s_and_not1_b32 exec_lo, exec_lo, s5
	s_cbranch_execnz .LBB9_62
; %bb.63:                               ;   in Loop: Header=BB9_3 Depth=1
	s_or_b32 exec_lo, exec_lo, s5
.LBB9_64:                               ;   in Loop: Header=BB9_3 Depth=1
	s_delay_alu instid0(SALU_CYCLE_1)
	s_or_b32 exec_lo, exec_lo, s4
.LBB9_65:                               ;   in Loop: Header=BB9_3 Depth=1
	s_delay_alu instid0(SALU_CYCLE_1)
	s_or_b32 exec_lo, exec_lo, s1
	s_waitcnt lgkmcnt(0)
	s_clause 0x1
	global_load_b64 v[34:35], v10, s[2:3] offset:40
	global_load_b128 v[25:28], v10, s[2:3]
	v_readfirstlane_b32 s4, v31
	v_readfirstlane_b32 s5, v32
	s_mov_b32 s1, exec_lo
	s_waitcnt vmcnt(1)
	v_readfirstlane_b32 s6, v34
	v_readfirstlane_b32 s7, v35
	s_delay_alu instid0(VALU_DEP_1) | instskip(NEXT) | instid1(SALU_CYCLE_1)
	s_and_b64 s[6:7], s[4:5], s[6:7]
	s_mul_i32 s13, s7, 24
	s_mul_hi_u32 s14, s6, 24
	s_mul_i32 s15, s6, 24
	s_add_i32 s14, s14, s13
	s_waitcnt vmcnt(0)
	v_add_co_u32 v31, vcc_lo, v25, s15
	v_add_co_ci_u32_e32 v32, vcc_lo, s14, v26, vcc_lo
	s_and_saveexec_b32 s13, s0
	s_cbranch_execz .LBB9_67
; %bb.66:                               ;   in Loop: Header=BB9_3 Depth=1
	v_mov_b32_e32 v9, s1
	global_store_b128 v[31:32], v[9:12], off offset:8
.LBB9_67:                               ;   in Loop: Header=BB9_3 Depth=1
	s_or_b32 exec_lo, exec_lo, s13
	v_cmp_lt_u64_e32 vcc_lo, 56, v[4:5]
	v_or_b32_e32 v9, 0, v1
	v_or_b32_e32 v34, v0, v6
	v_lshl_add_u32 v35, v29, 2, 28
	s_lshl_b64 s[6:7], s[6:7], 12
	s_delay_alu instid0(SALU_CYCLE_1) | instskip(NEXT) | instid1(VALU_DEP_1)
	v_add_co_u32 v27, s1, v27, s6
	v_add_co_ci_u32_e64 v28, s1, s7, v28, s1
	v_dual_cndmask_b32 v1, v9, v1 :: v_dual_cndmask_b32 v0, v34, v0
	v_and_b32_e32 v9, 0x1e0, v35
	v_lshlrev_b32_e32 v34, 6, v33
	v_readfirstlane_b32 s6, v27
	v_readfirstlane_b32 s7, v28
	s_delay_alu instid0(VALU_DEP_4)
	v_and_or_b32 v0, 0xffffff1f, v0, v9
	s_clause 0x3
	global_store_b128 v34, v[0:3], s[6:7]
	global_store_b128 v34, v[13:16], s[6:7] offset:16
	global_store_b128 v34, v[17:20], s[6:7] offset:32
	;; [unrolled: 1-line block ×3, first 2 shown]
	s_and_saveexec_b32 s1, s0
	s_cbranch_execz .LBB9_75
; %bb.68:                               ;   in Loop: Header=BB9_3 Depth=1
	s_clause 0x1
	global_load_b64 v[17:18], v10, s[2:3] offset:32 glc
	global_load_b64 v[0:1], v10, s[2:3] offset:40
	v_dual_mov_b32 v15, s4 :: v_dual_mov_b32 v16, s5
	s_waitcnt vmcnt(0)
	v_readfirstlane_b32 s6, v0
	v_readfirstlane_b32 s7, v1
	s_delay_alu instid0(VALU_DEP_1) | instskip(NEXT) | instid1(SALU_CYCLE_1)
	s_and_b64 s[6:7], s[6:7], s[4:5]
	s_mul_i32 s7, s7, 24
	s_mul_hi_u32 s13, s6, 24
	s_mul_i32 s6, s6, 24
	s_add_i32 s13, s13, s7
	v_add_co_u32 v13, vcc_lo, v25, s6
	v_add_co_ci_u32_e32 v14, vcc_lo, s13, v26, vcc_lo
	s_mov_b32 s6, exec_lo
	global_store_b64 v[13:14], v[17:18], off
	s_waitcnt_vscnt null, 0x0
	global_atomic_cmpswap_b64 v[2:3], v10, v[15:18], s[2:3] offset:32 glc
	s_waitcnt vmcnt(0)
	v_cmpx_ne_u64_e64 v[2:3], v[17:18]
	s_cbranch_execz .LBB9_71
; %bb.69:                               ;   in Loop: Header=BB9_3 Depth=1
	s_mov_b32 s7, 0
.LBB9_70:                               ;   Parent Loop BB9_3 Depth=1
                                        ; =>  This Inner Loop Header: Depth=2
	v_dual_mov_b32 v0, s4 :: v_dual_mov_b32 v1, s5
	s_sleep 1
	global_store_b64 v[13:14], v[2:3], off
	s_waitcnt_vscnt null, 0x0
	global_atomic_cmpswap_b64 v[0:1], v10, v[0:3], s[2:3] offset:32 glc
	s_waitcnt vmcnt(0)
	v_cmp_eq_u64_e32 vcc_lo, v[0:1], v[2:3]
	v_dual_mov_b32 v3, v1 :: v_dual_mov_b32 v2, v0
	s_or_b32 s7, vcc_lo, s7
	s_delay_alu instid0(SALU_CYCLE_1)
	s_and_not1_b32 exec_lo, exec_lo, s7
	s_cbranch_execnz .LBB9_70
.LBB9_71:                               ;   in Loop: Header=BB9_3 Depth=1
	s_or_b32 exec_lo, exec_lo, s6
	global_load_b64 v[0:1], v10, s[2:3] offset:16
	s_mov_b32 s7, exec_lo
	s_mov_b32 s6, exec_lo
	v_mbcnt_lo_u32_b32 v2, s7, 0
	s_delay_alu instid0(VALU_DEP_1)
	v_cmpx_eq_u32_e32 0, v2
	s_cbranch_execz .LBB9_73
; %bb.72:                               ;   in Loop: Header=BB9_3 Depth=1
	s_bcnt1_i32_b32 s7, s7
	s_delay_alu instid0(SALU_CYCLE_1)
	v_mov_b32_e32 v9, s7
	s_waitcnt vmcnt(0)
	global_atomic_add_u64 v[0:1], v[9:10], off offset:8
.LBB9_73:                               ;   in Loop: Header=BB9_3 Depth=1
	s_or_b32 exec_lo, exec_lo, s6
	s_waitcnt vmcnt(0)
	global_load_b64 v[2:3], v[0:1], off offset:16
	s_waitcnt vmcnt(0)
	v_cmp_eq_u64_e32 vcc_lo, 0, v[2:3]
	s_cbranch_vccnz .LBB9_75
; %bb.74:                               ;   in Loop: Header=BB9_3 Depth=1
	global_load_b32 v9, v[0:1], off offset:24
	s_waitcnt vmcnt(0)
	v_and_b32_e32 v0, 0xffffff, v9
	s_waitcnt_vscnt null, 0x0
	global_store_b64 v[2:3], v[9:10], off
	v_readfirstlane_b32 m0, v0
	s_sendmsg sendmsg(MSG_INTERRUPT)
.LBB9_75:                               ;   in Loop: Header=BB9_3 Depth=1
	s_or_b32 exec_lo, exec_lo, s1
	v_add_co_u32 v0, vcc_lo, v27, v34
	v_add_co_ci_u32_e32 v1, vcc_lo, 0, v28, vcc_lo
	s_branch .LBB9_79
	.p2align	6
.LBB9_76:                               ;   in Loop: Header=BB9_79 Depth=2
	s_or_b32 exec_lo, exec_lo, s1
	s_delay_alu instid0(VALU_DEP_1) | instskip(NEXT) | instid1(VALU_DEP_1)
	v_readfirstlane_b32 s1, v2
	s_cmp_eq_u32 s1, 0
	s_cbranch_scc1 .LBB9_78
; %bb.77:                               ;   in Loop: Header=BB9_79 Depth=2
	s_sleep 1
	s_cbranch_execnz .LBB9_79
	s_branch .LBB9_81
	.p2align	6
.LBB9_78:                               ;   in Loop: Header=BB9_3 Depth=1
	s_branch .LBB9_81
.LBB9_79:                               ;   Parent Loop BB9_3 Depth=1
                                        ; =>  This Inner Loop Header: Depth=2
	v_mov_b32_e32 v2, 1
	s_and_saveexec_b32 s1, s0
	s_cbranch_execz .LBB9_76
; %bb.80:                               ;   in Loop: Header=BB9_79 Depth=2
	global_load_b32 v2, v[31:32], off offset:20 glc
	s_waitcnt vmcnt(0)
	buffer_gl1_inv
	buffer_gl0_inv
	v_and_b32_e32 v2, 1, v2
	s_branch .LBB9_76
.LBB9_81:                               ;   in Loop: Header=BB9_3 Depth=1
	global_load_b128 v[0:3], v[0:1], off
	s_and_saveexec_b32 s1, s0
	s_cbranch_execz .LBB9_2
; %bb.82:                               ;   in Loop: Header=BB9_3 Depth=1
	s_clause 0x2
	global_load_b64 v[2:3], v10, s[2:3] offset:40
	global_load_b64 v[17:18], v10, s[2:3] offset:24 glc
	global_load_b64 v[15:16], v10, s[2:3]
	s_waitcnt vmcnt(2)
	v_add_co_u32 v9, vcc_lo, v2, 1
	v_add_co_ci_u32_e32 v19, vcc_lo, 0, v3, vcc_lo
	s_delay_alu instid0(VALU_DEP_2) | instskip(NEXT) | instid1(VALU_DEP_2)
	v_add_co_u32 v13, vcc_lo, v9, s4
	v_add_co_ci_u32_e32 v14, vcc_lo, s5, v19, vcc_lo
	s_delay_alu instid0(VALU_DEP_1) | instskip(SKIP_1) | instid1(VALU_DEP_1)
	v_cmp_eq_u64_e32 vcc_lo, 0, v[13:14]
	v_dual_cndmask_b32 v14, v14, v19 :: v_dual_cndmask_b32 v13, v13, v9
	v_and_b32_e32 v3, v14, v3
	s_delay_alu instid0(VALU_DEP_2) | instskip(NEXT) | instid1(VALU_DEP_2)
	v_and_b32_e32 v2, v13, v2
	v_mul_lo_u32 v3, v3, 24
	s_delay_alu instid0(VALU_DEP_2) | instskip(SKIP_1) | instid1(VALU_DEP_2)
	v_mul_hi_u32 v9, v2, 24
	v_mul_lo_u32 v2, v2, 24
	v_add_nc_u32_e32 v3, v9, v3
	s_waitcnt vmcnt(0)
	s_delay_alu instid0(VALU_DEP_2) | instskip(SKIP_1) | instid1(VALU_DEP_3)
	v_add_co_u32 v2, vcc_lo, v15, v2
	v_mov_b32_e32 v15, v17
	v_add_co_ci_u32_e32 v3, vcc_lo, v16, v3, vcc_lo
	v_mov_b32_e32 v16, v18
	global_store_b64 v[2:3], v[17:18], off
	s_waitcnt_vscnt null, 0x0
	global_atomic_cmpswap_b64 v[15:16], v10, v[13:16], s[2:3] offset:24 glc
	s_waitcnt vmcnt(0)
	v_cmp_ne_u64_e32 vcc_lo, v[15:16], v[17:18]
	s_and_b32 exec_lo, exec_lo, vcc_lo
	s_cbranch_execz .LBB9_2
; %bb.83:                               ;   in Loop: Header=BB9_3 Depth=1
	s_mov_b32 s0, 0
.LBB9_84:                               ;   Parent Loop BB9_3 Depth=1
                                        ; =>  This Inner Loop Header: Depth=2
	s_sleep 1
	global_store_b64 v[2:3], v[15:16], off
	s_waitcnt_vscnt null, 0x0
	global_atomic_cmpswap_b64 v[17:18], v10, v[13:16], s[2:3] offset:24 glc
	s_waitcnt vmcnt(0)
	v_cmp_eq_u64_e32 vcc_lo, v[17:18], v[15:16]
	v_dual_mov_b32 v15, v17 :: v_dual_mov_b32 v16, v18
	s_or_b32 s0, vcc_lo, s0
	s_delay_alu instid0(SALU_CYCLE_1)
	s_and_not1_b32 exec_lo, exec_lo, s0
	s_cbranch_execnz .LBB9_84
	s_branch .LBB9_2
.LBB9_85:
	s_or_b32 exec_lo, exec_lo, s12
                                        ; implicit-def: $vgpr0
                                        ; implicit-def: $vgpr33
                                        ; implicit-def: $vgpr1
.LBB9_86:
	s_and_not1_saveexec_b32 s1, s10
	s_cbranch_execz .LBB9_108
; %bb.87:
	s_load_b64 s[2:3], s[8:9], 0x50
	v_readfirstlane_b32 s0, v33
	v_mov_b32_e32 v8, 0
	v_mov_b32_e32 v9, 0
	s_delay_alu instid0(VALU_DEP_3) | instskip(NEXT) | instid1(VALU_DEP_1)
	v_cmp_eq_u32_e64 s0, s0, v33
	s_and_saveexec_b32 s4, s0
	s_cbranch_execz .LBB9_93
; %bb.88:
	s_waitcnt vmcnt(0)
	v_mov_b32_e32 v2, 0
	s_mov_b32 s5, exec_lo
	s_waitcnt lgkmcnt(0)
	global_load_b64 v[5:6], v2, s[2:3] offset:24 glc
	s_waitcnt vmcnt(0)
	buffer_gl1_inv
	buffer_gl0_inv
	s_clause 0x1
	global_load_b64 v[3:4], v2, s[2:3] offset:40
	global_load_b64 v[7:8], v2, s[2:3]
	s_waitcnt vmcnt(1)
	v_and_b32_e32 v3, v3, v5
	v_and_b32_e32 v4, v4, v6
	s_delay_alu instid0(VALU_DEP_2) | instskip(NEXT) | instid1(VALU_DEP_2)
	v_mul_hi_u32 v9, v3, 24
	v_mul_lo_u32 v4, v4, 24
	v_mul_lo_u32 v3, v3, 24
	s_delay_alu instid0(VALU_DEP_2) | instskip(SKIP_1) | instid1(VALU_DEP_2)
	v_add_nc_u32_e32 v4, v9, v4
	s_waitcnt vmcnt(0)
	v_add_co_u32 v3, vcc_lo, v7, v3
	s_delay_alu instid0(VALU_DEP_2)
	v_add_co_ci_u32_e32 v4, vcc_lo, v8, v4, vcc_lo
	global_load_b64 v[3:4], v[3:4], off glc
	s_waitcnt vmcnt(0)
	global_atomic_cmpswap_b64 v[8:9], v2, v[3:6], s[2:3] offset:24 glc
	s_waitcnt vmcnt(0)
	buffer_gl1_inv
	buffer_gl0_inv
	v_cmpx_ne_u64_e64 v[8:9], v[5:6]
	s_cbranch_execz .LBB9_92
; %bb.89:
	s_mov_b32 s6, 0
	.p2align	6
.LBB9_90:                               ; =>This Inner Loop Header: Depth=1
	s_sleep 1
	s_clause 0x1
	global_load_b64 v[3:4], v2, s[2:3] offset:40
	global_load_b64 v[10:11], v2, s[2:3]
	v_dual_mov_b32 v5, v8 :: v_dual_mov_b32 v6, v9
	s_waitcnt vmcnt(1)
	s_delay_alu instid0(VALU_DEP_1) | instskip(NEXT) | instid1(VALU_DEP_2)
	v_and_b32_e32 v3, v3, v5
	v_and_b32_e32 v4, v4, v6
	s_waitcnt vmcnt(0)
	s_delay_alu instid0(VALU_DEP_2) | instskip(NEXT) | instid1(VALU_DEP_1)
	v_mad_u64_u32 v[7:8], null, v3, 24, v[10:11]
	v_mov_b32_e32 v3, v8
	s_delay_alu instid0(VALU_DEP_1)
	v_mad_u64_u32 v[8:9], null, v4, 24, v[3:4]
	global_load_b64 v[3:4], v[7:8], off glc
	s_waitcnt vmcnt(0)
	global_atomic_cmpswap_b64 v[8:9], v2, v[3:6], s[2:3] offset:24 glc
	s_waitcnt vmcnt(0)
	buffer_gl1_inv
	buffer_gl0_inv
	v_cmp_eq_u64_e32 vcc_lo, v[8:9], v[5:6]
	s_or_b32 s6, vcc_lo, s6
	s_delay_alu instid0(SALU_CYCLE_1)
	s_and_not1_b32 exec_lo, exec_lo, s6
	s_cbranch_execnz .LBB9_90
; %bb.91:
	s_or_b32 exec_lo, exec_lo, s6
.LBB9_92:
	s_delay_alu instid0(SALU_CYCLE_1)
	s_or_b32 exec_lo, exec_lo, s5
.LBB9_93:
	s_delay_alu instid0(SALU_CYCLE_1)
	s_or_b32 exec_lo, exec_lo, s4
	s_waitcnt vmcnt(0)
	v_mov_b32_e32 v2, 0
	v_readfirstlane_b32 s4, v8
	v_readfirstlane_b32 s5, v9
	s_mov_b32 s8, exec_lo
	s_waitcnt lgkmcnt(0)
	s_clause 0x1
	global_load_b64 v[10:11], v2, s[2:3] offset:40
	global_load_b128 v[4:7], v2, s[2:3]
	s_waitcnt vmcnt(1)
	v_readfirstlane_b32 s6, v10
	v_readfirstlane_b32 s7, v11
	s_delay_alu instid0(VALU_DEP_1) | instskip(NEXT) | instid1(SALU_CYCLE_1)
	s_and_b64 s[6:7], s[4:5], s[6:7]
	s_mul_i32 s9, s7, 24
	s_mul_hi_u32 s10, s6, 24
	s_mul_i32 s11, s6, 24
	s_add_i32 s10, s10, s9
	s_waitcnt vmcnt(0)
	v_add_co_u32 v8, vcc_lo, v4, s11
	v_add_co_ci_u32_e32 v9, vcc_lo, s10, v5, vcc_lo
	s_and_saveexec_b32 s9, s0
	s_cbranch_execz .LBB9_95
; %bb.94:
	v_dual_mov_b32 v10, s8 :: v_dual_mov_b32 v11, v2
	v_dual_mov_b32 v12, 2 :: v_dual_mov_b32 v13, 1
	global_store_b128 v[8:9], v[10:13], off offset:8
.LBB9_95:
	s_or_b32 exec_lo, exec_lo, s9
	s_lshl_b64 s[6:7], s[6:7], 12
	s_mov_b32 s8, 0
	v_add_co_u32 v6, vcc_lo, v6, s6
	v_add_co_ci_u32_e32 v7, vcc_lo, s7, v7, vcc_lo
	s_mov_b32 s11, s8
	s_mov_b32 s9, s8
	;; [unrolled: 1-line block ×3, first 2 shown]
	v_and_or_b32 v0, 0xffffff1f, v0, 32
	v_dual_mov_b32 v3, v2 :: v_dual_lshlrev_b32 v14, 6, v33
	v_readfirstlane_b32 s6, v6
	v_readfirstlane_b32 s7, v7
	v_dual_mov_b32 v13, s11 :: v_dual_mov_b32 v12, s10
	v_dual_mov_b32 v11, s9 :: v_dual_mov_b32 v10, s8
	s_clause 0x3
	global_store_b128 v14, v[0:3], s[6:7]
	global_store_b128 v14, v[10:13], s[6:7] offset:16
	global_store_b128 v14, v[10:13], s[6:7] offset:32
	;; [unrolled: 1-line block ×3, first 2 shown]
	s_and_saveexec_b32 s6, s0
	s_cbranch_execz .LBB9_102
; %bb.96:
	v_mov_b32_e32 v6, 0
	s_mov_b32 s7, exec_lo
	s_clause 0x1
	global_load_b64 v[12:13], v6, s[2:3] offset:32 glc
	global_load_b64 v[0:1], v6, s[2:3] offset:40
	v_dual_mov_b32 v11, s5 :: v_dual_mov_b32 v10, s4
	s_waitcnt vmcnt(0)
	v_and_b32_e32 v1, s5, v1
	v_and_b32_e32 v0, s4, v0
	s_delay_alu instid0(VALU_DEP_2) | instskip(NEXT) | instid1(VALU_DEP_2)
	v_mul_lo_u32 v1, v1, 24
	v_mul_hi_u32 v2, v0, 24
	v_mul_lo_u32 v0, v0, 24
	s_delay_alu instid0(VALU_DEP_2) | instskip(NEXT) | instid1(VALU_DEP_2)
	v_add_nc_u32_e32 v1, v2, v1
	v_add_co_u32 v4, vcc_lo, v4, v0
	s_delay_alu instid0(VALU_DEP_2)
	v_add_co_ci_u32_e32 v5, vcc_lo, v5, v1, vcc_lo
	global_store_b64 v[4:5], v[12:13], off
	s_waitcnt_vscnt null, 0x0
	global_atomic_cmpswap_b64 v[2:3], v6, v[10:13], s[2:3] offset:32 glc
	s_waitcnt vmcnt(0)
	v_cmpx_ne_u64_e64 v[2:3], v[12:13]
	s_cbranch_execz .LBB9_98
.LBB9_97:                               ; =>This Inner Loop Header: Depth=1
	v_dual_mov_b32 v0, s4 :: v_dual_mov_b32 v1, s5
	s_sleep 1
	global_store_b64 v[4:5], v[2:3], off
	s_waitcnt_vscnt null, 0x0
	global_atomic_cmpswap_b64 v[0:1], v6, v[0:3], s[2:3] offset:32 glc
	s_waitcnt vmcnt(0)
	v_cmp_eq_u64_e32 vcc_lo, v[0:1], v[2:3]
	v_dual_mov_b32 v3, v1 :: v_dual_mov_b32 v2, v0
	s_or_b32 s8, vcc_lo, s8
	s_delay_alu instid0(SALU_CYCLE_1)
	s_and_not1_b32 exec_lo, exec_lo, s8
	s_cbranch_execnz .LBB9_97
.LBB9_98:
	s_or_b32 exec_lo, exec_lo, s7
	v_mov_b32_e32 v3, 0
	s_mov_b32 s8, exec_lo
	s_mov_b32 s7, exec_lo
	v_mbcnt_lo_u32_b32 v2, s8, 0
	global_load_b64 v[0:1], v3, s[2:3] offset:16
	v_cmpx_eq_u32_e32 0, v2
	s_cbranch_execz .LBB9_100
; %bb.99:
	s_bcnt1_i32_b32 s8, s8
	s_delay_alu instid0(SALU_CYCLE_1)
	v_mov_b32_e32 v2, s8
	s_waitcnt vmcnt(0)
	global_atomic_add_u64 v[0:1], v[2:3], off offset:8
.LBB9_100:
	s_or_b32 exec_lo, exec_lo, s7
	s_waitcnt vmcnt(0)
	global_load_b64 v[2:3], v[0:1], off offset:16
	s_waitcnt vmcnt(0)
	v_cmp_eq_u64_e32 vcc_lo, 0, v[2:3]
	s_cbranch_vccnz .LBB9_102
; %bb.101:
	global_load_b32 v0, v[0:1], off offset:24
	s_waitcnt vmcnt(0)
	v_dual_mov_b32 v1, 0 :: v_dual_and_b32 v4, 0xffffff, v0
	s_waitcnt_vscnt null, 0x0
	global_store_b64 v[2:3], v[0:1], off
	v_readfirstlane_b32 m0, v4
	s_sendmsg sendmsg(MSG_INTERRUPT)
.LBB9_102:
	s_or_b32 exec_lo, exec_lo, s6
	s_branch .LBB9_106
	.p2align	6
.LBB9_103:                              ;   in Loop: Header=BB9_106 Depth=1
	s_or_b32 exec_lo, exec_lo, s6
	s_delay_alu instid0(VALU_DEP_1) | instskip(NEXT) | instid1(VALU_DEP_1)
	v_readfirstlane_b32 s6, v0
	s_cmp_eq_u32 s6, 0
	s_cbranch_scc1 .LBB9_105
; %bb.104:                              ;   in Loop: Header=BB9_106 Depth=1
	s_sleep 1
	s_cbranch_execnz .LBB9_106
	s_branch .LBB9_109
	.p2align	6
.LBB9_105:
	s_branch .LBB9_109
.LBB9_106:                              ; =>This Inner Loop Header: Depth=1
	v_mov_b32_e32 v0, 1
	s_and_saveexec_b32 s6, s0
	s_cbranch_execz .LBB9_103
; %bb.107:                              ;   in Loop: Header=BB9_106 Depth=1
	global_load_b32 v0, v[8:9], off offset:20 glc
	s_waitcnt vmcnt(0)
	buffer_gl1_inv
	buffer_gl0_inv
	v_and_b32_e32 v0, 1, v0
	s_branch .LBB9_103
.LBB9_108:
	s_or_b32 exec_lo, exec_lo, s1
	s_waitcnt vmcnt(0) lgkmcnt(0)
	s_setpc_b64 s[30:31]
.LBB9_109:
	s_and_saveexec_b32 s6, s0
	s_cbranch_execz .LBB9_113
; %bb.110:
	v_mov_b32_e32 v6, 0
	s_clause 0x2
	global_load_b64 v[2:3], v6, s[2:3] offset:40
	global_load_b64 v[7:8], v6, s[2:3] offset:24 glc
	global_load_b64 v[4:5], v6, s[2:3]
	s_waitcnt vmcnt(2)
	v_add_co_u32 v9, vcc_lo, v2, 1
	v_add_co_ci_u32_e32 v10, vcc_lo, 0, v3, vcc_lo
	s_delay_alu instid0(VALU_DEP_2) | instskip(NEXT) | instid1(VALU_DEP_2)
	v_add_co_u32 v0, vcc_lo, v9, s4
	v_add_co_ci_u32_e32 v1, vcc_lo, s5, v10, vcc_lo
	s_delay_alu instid0(VALU_DEP_1) | instskip(SKIP_1) | instid1(VALU_DEP_1)
	v_cmp_eq_u64_e32 vcc_lo, 0, v[0:1]
	v_dual_cndmask_b32 v1, v1, v10 :: v_dual_cndmask_b32 v0, v0, v9
	v_and_b32_e32 v3, v1, v3
	s_delay_alu instid0(VALU_DEP_2) | instskip(NEXT) | instid1(VALU_DEP_2)
	v_and_b32_e32 v2, v0, v2
	v_mul_lo_u32 v3, v3, 24
	s_delay_alu instid0(VALU_DEP_2) | instskip(SKIP_1) | instid1(VALU_DEP_2)
	v_mul_hi_u32 v9, v2, 24
	v_mul_lo_u32 v2, v2, 24
	v_add_nc_u32_e32 v3, v9, v3
	s_waitcnt vmcnt(0)
	s_delay_alu instid0(VALU_DEP_2) | instskip(SKIP_1) | instid1(VALU_DEP_3)
	v_add_co_u32 v4, vcc_lo, v4, v2
	v_mov_b32_e32 v2, v7
	v_add_co_ci_u32_e32 v5, vcc_lo, v5, v3, vcc_lo
	v_mov_b32_e32 v3, v8
	global_store_b64 v[4:5], v[7:8], off
	s_waitcnt_vscnt null, 0x0
	global_atomic_cmpswap_b64 v[2:3], v6, v[0:3], s[2:3] offset:24 glc
	s_waitcnt vmcnt(0)
	v_cmp_ne_u64_e32 vcc_lo, v[2:3], v[7:8]
	s_and_b32 exec_lo, exec_lo, vcc_lo
	s_cbranch_execz .LBB9_113
; %bb.111:
	s_mov_b32 s0, 0
.LBB9_112:                              ; =>This Inner Loop Header: Depth=1
	s_sleep 1
	global_store_b64 v[4:5], v[2:3], off
	s_waitcnt_vscnt null, 0x0
	global_atomic_cmpswap_b64 v[7:8], v6, v[0:3], s[2:3] offset:24 glc
	s_waitcnt vmcnt(0)
	v_cmp_eq_u64_e32 vcc_lo, v[7:8], v[2:3]
	v_dual_mov_b32 v2, v7 :: v_dual_mov_b32 v3, v8
	s_or_b32 s0, vcc_lo, s0
	s_delay_alu instid0(SALU_CYCLE_1)
	s_and_not1_b32 exec_lo, exec_lo, s0
	s_cbranch_execnz .LBB9_112
.LBB9_113:
	s_or_b32 exec_lo, exec_lo, s6
	s_delay_alu instid0(SALU_CYCLE_1)
	s_or_b32 exec_lo, exec_lo, s1
	s_waitcnt lgkmcnt(0)
	s_setpc_b64 s[30:31]
.Lfunc_end9:
	.size	__ockl_fprintf_append_string_n, .Lfunc_end9-__ockl_fprintf_append_string_n
                                        ; -- End function
	.section	.AMDGPU.csdata,"",@progbits
; Function info:
; codeLenInByte = 4740
; NumSgprs: 34
; NumVgprs: 36
; ScratchSize: 0
; MemoryBound: 0
	.text
	.p2align	2                               ; -- Begin function __assert_fail
	.type	__assert_fail,@function
__assert_fail:                          ; @__assert_fail
; %bb.0:
	s_waitcnt vmcnt(0) expcnt(0) lgkmcnt(0)
	s_mov_b32 s20, s33
	s_mov_b32 s33, s32
	s_or_saveexec_b32 s0, -1
	scratch_store_b32 off, v40, s33 offset:48 ; 4-byte Folded Spill
	s_mov_b32 exec_lo, s0
	v_writelane_b32 v40, s30, 0
	s_add_i32 s32, s32, 64
	v_writelane_b32 v40, s31, 1
	s_getpc_b64 s[0:1]
	s_add_u32 s0, s0, __const.__assert_fail.fmt@rel32@lo+4
	s_addc_u32 s1, s1, __const.__assert_fail.fmt@rel32@hi+12
	s_getpc_b64 s[2:3]
	s_add_u32 s2, s2, __const.__assert_fail.fmt@rel32@lo+20
	s_addc_u32 s3, s3, __const.__assert_fail.fmt@rel32@hi+28
	v_mbcnt_lo_u32_b32 v35, -1, 0
	s_clause 0x1
	s_load_b128 s[4:7], s[0:1], 0x0
	s_load_b128 s[12:15], s[2:3], 0x0
	s_load_b64 s[2:3], s[8:9], 0x50
	v_dual_mov_b32 v5, v1 :: v_dual_mov_b32 v4, v0
	v_mov_b32_e32 v14, 0x73256020
	v_readfirstlane_b32 s0, v35
	v_mov_b32_e32 v0, 0
	v_dual_mov_b32 v2, 0 :: v_dual_mov_b32 v3, 0xa2e
	v_mov_b32_e32 v15, 0x61662027
	v_dual_mov_b32 v16, 0x64656c69 :: v_dual_mov_b32 v1, 0
	v_cmp_eq_u32_e64 s0, s0, v35
	s_waitcnt lgkmcnt(0)
	v_dual_mov_b32 v9, s7 :: v_dual_mov_b32 v8, s6
	v_dual_mov_b32 v7, s5 :: v_dual_mov_b32 v6, s4
	;; [unrolled: 1-line block ×4, first 2 shown]
	s_clause 0x4
	scratch_store_b128 off, v[6:9], s33
	scratch_store_b128 off, v[10:13], s33 offset:16
	scratch_store_b8 off, v2, s33 offset:46
	scratch_store_b16 off, v3, s33 offset:44
	scratch_store_b96 off, v[14:16], s33 offset:32
	s_and_saveexec_b32 s1, s0
	s_cbranch_execz .LBB10_6
; %bb.1:
	global_load_b64 v[8:9], v2, s[2:3] offset:24 glc
	s_waitcnt vmcnt(0)
	buffer_gl1_inv
	buffer_gl0_inv
	s_clause 0x1
	global_load_b64 v[0:1], v2, s[2:3] offset:40
	global_load_b64 v[6:7], v2, s[2:3]
	s_mov_b32 s4, exec_lo
	s_waitcnt vmcnt(1)
	v_and_b32_e32 v1, v1, v9
	v_and_b32_e32 v0, v0, v8
	s_delay_alu instid0(VALU_DEP_2) | instskip(NEXT) | instid1(VALU_DEP_2)
	v_mul_lo_u32 v1, v1, 24
	v_mul_hi_u32 v3, v0, 24
	v_mul_lo_u32 v0, v0, 24
	s_delay_alu instid0(VALU_DEP_2) | instskip(SKIP_1) | instid1(VALU_DEP_2)
	v_add_nc_u32_e32 v1, v3, v1
	s_waitcnt vmcnt(0)
	v_add_co_u32 v0, vcc_lo, v6, v0
	s_delay_alu instid0(VALU_DEP_2)
	v_add_co_ci_u32_e32 v1, vcc_lo, v7, v1, vcc_lo
	global_load_b64 v[6:7], v[0:1], off glc
	s_waitcnt vmcnt(0)
	global_atomic_cmpswap_b64 v[0:1], v2, v[6:9], s[2:3] offset:24 glc
	s_waitcnt vmcnt(0)
	buffer_gl1_inv
	buffer_gl0_inv
	v_cmpx_ne_u64_e64 v[0:1], v[8:9]
	s_cbranch_execz .LBB10_5
; %bb.2:
	s_mov_b32 s5, 0
	.p2align	6
.LBB10_3:                               ; =>This Inner Loop Header: Depth=1
	s_sleep 1
	s_clause 0x1
	global_load_b64 v[6:7], v2, s[2:3] offset:40
	global_load_b64 v[10:11], v2, s[2:3]
	v_dual_mov_b32 v9, v1 :: v_dual_mov_b32 v8, v0
	s_waitcnt vmcnt(1)
	s_delay_alu instid0(VALU_DEP_1) | instskip(SKIP_1) | instid1(VALU_DEP_1)
	v_and_b32_e32 v3, v6, v8
	s_waitcnt vmcnt(0)
	v_mad_u64_u32 v[0:1], null, v3, 24, v[10:11]
	v_and_b32_e32 v3, v7, v9
	s_delay_alu instid0(VALU_DEP_1) | instskip(NEXT) | instid1(VALU_DEP_1)
	v_mad_u64_u32 v[6:7], null, v3, 24, v[1:2]
	v_mov_b32_e32 v1, v6
	global_load_b64 v[6:7], v[0:1], off glc
	s_waitcnt vmcnt(0)
	global_atomic_cmpswap_b64 v[0:1], v2, v[6:9], s[2:3] offset:24 glc
	s_waitcnt vmcnt(0)
	buffer_gl1_inv
	buffer_gl0_inv
	v_cmp_eq_u64_e32 vcc_lo, v[0:1], v[8:9]
	s_or_b32 s5, vcc_lo, s5
	s_delay_alu instid0(SALU_CYCLE_1)
	s_and_not1_b32 exec_lo, exec_lo, s5
	s_cbranch_execnz .LBB10_3
; %bb.4:
	s_or_b32 exec_lo, exec_lo, s5
.LBB10_5:
	s_delay_alu instid0(SALU_CYCLE_1)
	s_or_b32 exec_lo, exec_lo, s4
.LBB10_6:
	s_delay_alu instid0(SALU_CYCLE_1)
	s_or_b32 exec_lo, exec_lo, s1
	s_clause 0x1
	global_load_b64 v[10:11], v2, s[2:3] offset:40
	global_load_b128 v[6:9], v2, s[2:3]
	v_readfirstlane_b32 s4, v0
	v_readfirstlane_b32 s5, v1
	s_mov_b32 s1, exec_lo
	s_waitcnt vmcnt(1)
	v_readfirstlane_b32 s6, v10
	v_readfirstlane_b32 s7, v11
	s_delay_alu instid0(VALU_DEP_1) | instskip(NEXT) | instid1(SALU_CYCLE_1)
	s_and_b64 s[6:7], s[4:5], s[6:7]
	s_mul_i32 s10, s7, 24
	s_mul_hi_u32 s11, s6, 24
	s_mul_i32 s12, s6, 24
	s_add_i32 s11, s11, s10
	s_waitcnt vmcnt(0)
	v_add_co_u32 v10, vcc_lo, v6, s12
	v_add_co_ci_u32_e32 v11, vcc_lo, s11, v7, vcc_lo
	s_and_saveexec_b32 s10, s0
	s_cbranch_execz .LBB10_8
; %bb.7:
	v_dual_mov_b32 v0, s1 :: v_dual_mov_b32 v1, 0
	v_dual_mov_b32 v2, 2 :: v_dual_mov_b32 v3, 1
	global_store_b128 v[10:11], v[0:3], off offset:8
.LBB10_8:
	s_or_b32 exec_lo, exec_lo, s10
	s_lshl_b64 s[6:7], s[6:7], 12
	v_dual_mov_b32 v1, 0 :: v_dual_lshlrev_b32 v34, 6, v35
	v_add_co_u32 v8, vcc_lo, v8, s6
	v_add_co_ci_u32_e32 v9, vcc_lo, s7, v9, vcc_lo
	s_mov_b32 s12, 0
	s_delay_alu instid0(VALU_DEP_2)
	v_add_co_u32 v12, vcc_lo, v8, v34
	s_mov_b32 s15, s12
	s_mov_b32 s13, s12
	;; [unrolled: 1-line block ×3, first 2 shown]
	v_dual_mov_b32 v0, 33 :: v_dual_mov_b32 v3, v1
	v_dual_mov_b32 v2, 1 :: v_dual_mov_b32 v17, s15
	v_readfirstlane_b32 s6, v8
	v_readfirstlane_b32 s7, v9
	v_add_co_ci_u32_e32 v13, vcc_lo, 0, v9, vcc_lo
	v_dual_mov_b32 v16, s14 :: v_dual_mov_b32 v15, s13
	v_mov_b32_e32 v14, s12
	s_clause 0x3
	global_store_b128 v34, v[0:3], s[6:7]
	global_store_b128 v34, v[14:17], s[6:7] offset:16
	global_store_b128 v34, v[14:17], s[6:7] offset:32
	;; [unrolled: 1-line block ×3, first 2 shown]
	s_and_saveexec_b32 s1, s0
	s_cbranch_execz .LBB10_16
; %bb.9:
	s_clause 0x1
	global_load_b64 v[16:17], v1, s[2:3] offset:32 glc
	global_load_b64 v[2:3], v1, s[2:3] offset:40
	v_mov_b32_e32 v14, s4
	s_mov_b32 s6, exec_lo
	s_waitcnt vmcnt(0)
	v_dual_mov_b32 v15, s5 :: v_dual_and_b32 v0, s5, v3
	v_and_b32_e32 v2, s4, v2
	s_delay_alu instid0(VALU_DEP_2) | instskip(NEXT) | instid1(VALU_DEP_2)
	v_mul_lo_u32 v0, v0, 24
	v_mul_hi_u32 v3, v2, 24
	v_mul_lo_u32 v2, v2, 24
	s_delay_alu instid0(VALU_DEP_2) | instskip(NEXT) | instid1(VALU_DEP_2)
	v_add_nc_u32_e32 v0, v3, v0
	v_add_co_u32 v2, vcc_lo, v6, v2
	s_delay_alu instid0(VALU_DEP_2)
	v_add_co_ci_u32_e32 v3, vcc_lo, v7, v0, vcc_lo
	global_store_b64 v[2:3], v[16:17], off
	s_waitcnt_vscnt null, 0x0
	global_atomic_cmpswap_b64 v[8:9], v1, v[14:17], s[2:3] offset:32 glc
	s_waitcnt vmcnt(0)
	v_cmpx_ne_u64_e64 v[8:9], v[16:17]
	s_cbranch_execz .LBB10_12
; %bb.10:
	s_mov_b32 s7, 0
.LBB10_11:                              ; =>This Inner Loop Header: Depth=1
	v_dual_mov_b32 v6, s4 :: v_dual_mov_b32 v7, s5
	s_sleep 1
	global_store_b64 v[2:3], v[8:9], off
	s_waitcnt_vscnt null, 0x0
	global_atomic_cmpswap_b64 v[6:7], v1, v[6:9], s[2:3] offset:32 glc
	s_waitcnt vmcnt(0)
	v_cmp_eq_u64_e32 vcc_lo, v[6:7], v[8:9]
	v_dual_mov_b32 v9, v7 :: v_dual_mov_b32 v8, v6
	s_or_b32 s7, vcc_lo, s7
	s_delay_alu instid0(SALU_CYCLE_1)
	s_and_not1_b32 exec_lo, exec_lo, s7
	s_cbranch_execnz .LBB10_11
.LBB10_12:
	s_or_b32 exec_lo, exec_lo, s6
	v_mov_b32_e32 v3, 0
	s_mov_b32 s7, exec_lo
	s_mov_b32 s6, exec_lo
	v_mbcnt_lo_u32_b32 v2, s7, 0
	global_load_b64 v[0:1], v3, s[2:3] offset:16
	v_cmpx_eq_u32_e32 0, v2
	s_cbranch_execz .LBB10_14
; %bb.13:
	s_bcnt1_i32_b32 s7, s7
	s_delay_alu instid0(SALU_CYCLE_1)
	v_mov_b32_e32 v2, s7
	s_waitcnt vmcnt(0)
	global_atomic_add_u64 v[0:1], v[2:3], off offset:8
.LBB10_14:
	s_or_b32 exec_lo, exec_lo, s6
	s_waitcnt vmcnt(0)
	global_load_b64 v[2:3], v[0:1], off offset:16
	s_waitcnt vmcnt(0)
	v_cmp_eq_u64_e32 vcc_lo, 0, v[2:3]
	s_cbranch_vccnz .LBB10_16
; %bb.15:
	global_load_b32 v0, v[0:1], off offset:24
	s_waitcnt vmcnt(0)
	v_dual_mov_b32 v1, 0 :: v_dual_and_b32 v6, 0xffffff, v0
	s_waitcnt_vscnt null, 0x0
	global_store_b64 v[2:3], v[0:1], off
	v_readfirstlane_b32 m0, v6
	s_sendmsg sendmsg(MSG_INTERRUPT)
.LBB10_16:
	s_or_b32 exec_lo, exec_lo, s1
	s_branch .LBB10_20
	.p2align	6
.LBB10_17:                              ;   in Loop: Header=BB10_20 Depth=1
	s_or_b32 exec_lo, exec_lo, s1
	s_delay_alu instid0(VALU_DEP_1) | instskip(NEXT) | instid1(VALU_DEP_1)
	v_readfirstlane_b32 s1, v0
	s_cmp_eq_u32 s1, 0
	s_cbranch_scc1 .LBB10_19
; %bb.18:                               ;   in Loop: Header=BB10_20 Depth=1
	s_sleep 1
	s_cbranch_execnz .LBB10_20
	s_branch .LBB10_22
	.p2align	6
.LBB10_19:
	s_branch .LBB10_22
.LBB10_20:                              ; =>This Inner Loop Header: Depth=1
	v_mov_b32_e32 v0, 1
	s_and_saveexec_b32 s1, s0
	s_cbranch_execz .LBB10_17
; %bb.21:                               ;   in Loop: Header=BB10_20 Depth=1
	global_load_b32 v0, v[10:11], off offset:20 glc
	s_waitcnt vmcnt(0)
	buffer_gl1_inv
	buffer_gl0_inv
	v_and_b32_e32 v0, 1, v0
	s_branch .LBB10_17
.LBB10_22:
	global_load_b64 v[6:7], v[12:13], off
	s_and_saveexec_b32 s1, s0
	s_cbranch_execz .LBB10_26
; %bb.23:
	v_mov_b32_e32 v10, 0
	s_clause 0x2
	global_load_b64 v[2:3], v10, s[2:3] offset:40
	global_load_b64 v[11:12], v10, s[2:3] offset:24 glc
	global_load_b64 v[8:9], v10, s[2:3]
	s_waitcnt vmcnt(2)
	v_add_co_u32 v13, vcc_lo, v2, 1
	v_add_co_ci_u32_e32 v14, vcc_lo, 0, v3, vcc_lo
	s_delay_alu instid0(VALU_DEP_2) | instskip(NEXT) | instid1(VALU_DEP_2)
	v_add_co_u32 v0, vcc_lo, v13, s4
	v_add_co_ci_u32_e32 v1, vcc_lo, s5, v14, vcc_lo
	s_delay_alu instid0(VALU_DEP_1) | instskip(SKIP_1) | instid1(VALU_DEP_1)
	v_cmp_eq_u64_e32 vcc_lo, 0, v[0:1]
	v_dual_cndmask_b32 v1, v1, v14 :: v_dual_cndmask_b32 v0, v0, v13
	v_and_b32_e32 v3, v1, v3
	s_delay_alu instid0(VALU_DEP_2) | instskip(NEXT) | instid1(VALU_DEP_2)
	v_and_b32_e32 v2, v0, v2
	v_mul_lo_u32 v3, v3, 24
	s_delay_alu instid0(VALU_DEP_2) | instskip(SKIP_1) | instid1(VALU_DEP_2)
	v_mul_hi_u32 v13, v2, 24
	v_mul_lo_u32 v2, v2, 24
	v_add_nc_u32_e32 v3, v13, v3
	s_waitcnt vmcnt(0)
	s_delay_alu instid0(VALU_DEP_2) | instskip(SKIP_1) | instid1(VALU_DEP_3)
	v_add_co_u32 v8, vcc_lo, v8, v2
	v_mov_b32_e32 v2, v11
	v_add_co_ci_u32_e32 v9, vcc_lo, v9, v3, vcc_lo
	v_mov_b32_e32 v3, v12
	global_store_b64 v[8:9], v[11:12], off
	s_waitcnt_vscnt null, 0x0
	global_atomic_cmpswap_b64 v[2:3], v10, v[0:3], s[2:3] offset:24 glc
	s_waitcnt vmcnt(0)
	v_cmp_ne_u64_e32 vcc_lo, v[2:3], v[11:12]
	s_and_b32 exec_lo, exec_lo, vcc_lo
	s_cbranch_execz .LBB10_26
; %bb.24:
	s_mov_b32 s0, 0
.LBB10_25:                              ; =>This Inner Loop Header: Depth=1
	s_sleep 1
	global_store_b64 v[8:9], v[2:3], off
	s_waitcnt_vscnt null, 0x0
	global_atomic_cmpswap_b64 v[11:12], v10, v[0:3], s[2:3] offset:24 glc
	s_waitcnt vmcnt(0)
	v_cmp_eq_u64_e32 vcc_lo, v[11:12], v[2:3]
	v_dual_mov_b32 v2, v11 :: v_dual_mov_b32 v3, v12
	s_or_b32 s0, vcc_lo, s0
	s_delay_alu instid0(SALU_CYCLE_1)
	s_and_not1_b32 exec_lo, exec_lo, s0
	s_cbranch_execnz .LBB10_25
.LBB10_26:
	s_or_b32 exec_lo, exec_lo, s1
	v_mov_b32_e32 v1, s33
	s_mov_b32 s0, 0
.LBB10_27:                              ; =>This Inner Loop Header: Depth=1
	scratch_load_u8 v2, v1, off
	v_add_nc_u32_e32 v0, 1, v1
	s_delay_alu instid0(VALU_DEP_1) | instskip(SKIP_3) | instid1(SALU_CYCLE_1)
	v_mov_b32_e32 v1, v0
	s_waitcnt vmcnt(0)
	v_cmp_eq_u16_e32 vcc_lo, 0, v2
	s_or_b32 s0, vcc_lo, s0
	s_and_not1_b32 exec_lo, exec_lo, s0
	s_cbranch_execnz .LBB10_27
; %bb.28:
	s_or_b32 exec_lo, exec_lo, s0
	v_cmp_ne_u32_e64 s0, -1, s33
	s_delay_alu instid0(VALU_DEP_1)
	s_and_b32 vcc_lo, exec_lo, s0
	s_cbranch_vccz .LBB10_113
; %bb.29:
	v_subrev_nc_u32_e32 v28, s33, v0
	v_dual_mov_b32 v9, 0 :: v_dual_and_b32 v36, 2, v6
	v_dual_mov_b32 v1, v7 :: v_dual_and_b32 v0, -3, v6
	s_delay_alu instid0(VALU_DEP_3)
	v_ashrrev_i32_e32 v29, 31, v28
	v_dual_mov_b32 v37, s33 :: v_dual_mov_b32 v10, 2
	v_mov_b32_e32 v11, 1
	s_mov_b32 s11, 0
	s_mov_b32 s10, 0
	s_branch .LBB10_31
.LBB10_30:                              ;   in Loop: Header=BB10_31 Depth=1
	s_or_b32 exec_lo, exec_lo, s1
	v_sub_co_u32 v28, vcc_lo, v28, v30
	v_sub_co_ci_u32_e32 v29, vcc_lo, v29, v31, vcc_lo
	v_add_nc_u32_e32 v37, v37, v30
	s_delay_alu instid0(VALU_DEP_2) | instskip(SKIP_1) | instid1(SALU_CYCLE_1)
	v_cmp_eq_u64_e32 vcc_lo, 0, v[28:29]
	s_or_b32 s10, vcc_lo, s10
	s_and_not1_b32 exec_lo, exec_lo, s10
	s_cbranch_execz .LBB10_114
.LBB10_31:                              ; =>This Loop Header: Depth=1
                                        ;     Child Loop BB10_34 Depth 2
                                        ;     Child Loop BB10_42 Depth 2
	;; [unrolled: 1-line block ×11, first 2 shown]
	v_cmp_gt_u64_e32 vcc_lo, 56, v[28:29]
	s_mov_b32 s4, exec_lo
                                        ; implicit-def: $vgpr2_vgpr3
                                        ; implicit-def: $sgpr1
	v_dual_cndmask_b32 v31, 0, v29 :: v_dual_cndmask_b32 v30, 56, v28
	v_cmpx_gt_u64_e32 8, v[28:29]
	s_xor_b32 s4, exec_lo, s4
	s_cbranch_execz .LBB10_37
; %bb.32:                               ;   in Loop: Header=BB10_31 Depth=1
	s_waitcnt vmcnt(0)
	v_mov_b32_e32 v2, 0
	v_mov_b32_e32 v3, 0
	s_mov_b64 s[0:1], 0
	s_mov_b32 s5, exec_lo
	v_cmpx_ne_u64_e32 0, v[28:29]
	s_cbranch_execz .LBB10_36
; %bb.33:                               ;   in Loop: Header=BB10_31 Depth=1
	v_lshlrev_b64 v[12:13], 3, v[30:31]
	v_mov_b32_e32 v2, 0
	v_dual_mov_b32 v3, 0 :: v_dual_mov_b32 v8, v37
	s_mov_b32 s6, 0
.LBB10_34:                              ;   Parent Loop BB10_31 Depth=1
                                        ; =>  This Inner Loop Header: Depth=2
	scratch_load_u8 v13, v8, off
	v_mov_b32_e32 v14, s11
	v_add_nc_u32_e32 v8, 1, v8
	s_waitcnt vmcnt(0)
	v_and_b32_e32 v13, 0xffff, v13
	s_delay_alu instid0(VALU_DEP_1) | instskip(SKIP_3) | instid1(VALU_DEP_2)
	v_lshlrev_b64 v[13:14], s0, v[13:14]
	s_add_u32 s0, s0, 8
	s_addc_u32 s1, s1, 0
	v_cmp_eq_u32_e32 vcc_lo, s0, v12
	v_or_b32_e32 v3, v14, v3
	s_delay_alu instid0(VALU_DEP_3) | instskip(SKIP_1) | instid1(SALU_CYCLE_1)
	v_or_b32_e32 v2, v13, v2
	s_or_b32 s6, vcc_lo, s6
	s_and_not1_b32 exec_lo, exec_lo, s6
	s_cbranch_execnz .LBB10_34
; %bb.35:                               ;   in Loop: Header=BB10_31 Depth=1
	s_or_b32 exec_lo, exec_lo, s6
.LBB10_36:                              ;   in Loop: Header=BB10_31 Depth=1
	s_delay_alu instid0(SALU_CYCLE_1)
	s_or_b32 exec_lo, exec_lo, s5
	s_mov_b32 s1, 0
.LBB10_37:                              ;   in Loop: Header=BB10_31 Depth=1
	s_or_saveexec_b32 s0, s4
	v_mov_b32_e32 v14, s1
	v_mov_b32_e32 v8, v37
	s_xor_b32 exec_lo, exec_lo, s0
	s_cbranch_execz .LBB10_39
; %bb.38:                               ;   in Loop: Header=BB10_31 Depth=1
	scratch_load_b64 v[2:3], v37, off
	v_add_nc_u32_e32 v14, -8, v30
	s_waitcnt vmcnt(0)
	v_and_b32_e32 v8, 0xff, v3
	v_and_b32_e32 v12, 0xff00, v3
	;; [unrolled: 1-line block ×4, first 2 shown]
	v_or3_b32 v2, v2, 0, 0
	s_delay_alu instid0(VALU_DEP_4) | instskip(NEXT) | instid1(VALU_DEP_1)
	v_or_b32_e32 v8, v8, v12
	v_or3_b32 v3, v8, v13, v3
	v_add_nc_u32_e32 v8, 8, v37
.LBB10_39:                              ;   in Loop: Header=BB10_31 Depth=1
	s_or_b32 exec_lo, exec_lo, s0
                                        ; implicit-def: $vgpr12_vgpr13
                                        ; implicit-def: $sgpr1
	s_delay_alu instid0(SALU_CYCLE_1)
	s_mov_b32 s0, exec_lo
	v_cmpx_gt_u32_e32 8, v14
	s_xor_b32 s4, exec_lo, s0
	s_cbranch_execz .LBB10_45
; %bb.40:                               ;   in Loop: Header=BB10_31 Depth=1
	v_mov_b32_e32 v12, 0
	v_mov_b32_e32 v13, 0
	s_mov_b32 s5, exec_lo
	v_cmpx_ne_u32_e32 0, v14
	s_cbranch_execz .LBB10_44
; %bb.41:                               ;   in Loop: Header=BB10_31 Depth=1
	v_mov_b32_e32 v12, 0
	v_mov_b32_e32 v13, 0
	s_mov_b64 s[0:1], 0
	s_mov_b32 s6, 0
	s_mov_b32 s7, 0
	.p2align	6
.LBB10_42:                              ;   Parent Loop BB10_31 Depth=1
                                        ; =>  This Inner Loop Header: Depth=2
	s_delay_alu instid0(SALU_CYCLE_1) | instskip(SKIP_1) | instid1(SALU_CYCLE_1)
	v_dual_mov_b32 v16, s11 :: v_dual_add_nc_u32 v15, s7, v8
	s_add_i32 s7, s7, 1
	v_cmp_eq_u32_e32 vcc_lo, s7, v14
	scratch_load_u8 v15, v15, off
	s_waitcnt vmcnt(0)
	v_and_b32_e32 v15, 0xffff, v15
	s_delay_alu instid0(VALU_DEP_1) | instskip(SKIP_3) | instid1(VALU_DEP_1)
	v_lshlrev_b64 v[15:16], s0, v[15:16]
	s_add_u32 s0, s0, 8
	s_addc_u32 s1, s1, 0
	s_or_b32 s6, vcc_lo, s6
	v_or_b32_e32 v13, v16, v13
	s_delay_alu instid0(VALU_DEP_2)
	v_or_b32_e32 v12, v15, v12
	s_and_not1_b32 exec_lo, exec_lo, s6
	s_cbranch_execnz .LBB10_42
; %bb.43:                               ;   in Loop: Header=BB10_31 Depth=1
	s_or_b32 exec_lo, exec_lo, s6
.LBB10_44:                              ;   in Loop: Header=BB10_31 Depth=1
	s_delay_alu instid0(SALU_CYCLE_1)
	s_or_b32 exec_lo, exec_lo, s5
	s_mov_b32 s1, 0
                                        ; implicit-def: $vgpr14
.LBB10_45:                              ;   in Loop: Header=BB10_31 Depth=1
	s_or_saveexec_b32 s0, s4
	v_mov_b32_e32 v16, s1
	s_xor_b32 exec_lo, exec_lo, s0
	s_cbranch_execz .LBB10_47
; %bb.46:                               ;   in Loop: Header=BB10_31 Depth=1
	scratch_load_b64 v[12:13], v8, off
	v_add_nc_u32_e32 v8, 8, v8
	s_waitcnt vmcnt(0)
	v_and_b32_e32 v15, 0xff, v13
	v_and_b32_e32 v16, 0xff00, v13
	;; [unrolled: 1-line block ×4, first 2 shown]
	v_or3_b32 v12, v12, 0, 0
	s_delay_alu instid0(VALU_DEP_4) | instskip(SKIP_1) | instid1(VALU_DEP_2)
	v_or_b32_e32 v15, v15, v16
	v_add_nc_u32_e32 v16, -8, v14
	v_or3_b32 v13, v15, v17, v13
.LBB10_47:                              ;   in Loop: Header=BB10_31 Depth=1
	s_or_b32 exec_lo, exec_lo, s0
                                        ; implicit-def: $sgpr1
	s_delay_alu instid0(SALU_CYCLE_1) | instskip(NEXT) | instid1(VALU_DEP_1)
	s_mov_b32 s0, exec_lo
	v_cmpx_gt_u32_e32 8, v16
	s_xor_b32 s4, exec_lo, s0
	s_cbranch_execz .LBB10_53
; %bb.48:                               ;   in Loop: Header=BB10_31 Depth=1
	v_mov_b32_e32 v14, 0
	v_mov_b32_e32 v15, 0
	s_mov_b32 s5, exec_lo
	v_cmpx_ne_u32_e32 0, v16
	s_cbranch_execz .LBB10_52
; %bb.49:                               ;   in Loop: Header=BB10_31 Depth=1
	v_mov_b32_e32 v14, 0
	v_mov_b32_e32 v15, 0
	s_mov_b64 s[0:1], 0
	s_mov_b32 s6, 0
	s_mov_b32 s7, 0
	.p2align	6
.LBB10_50:                              ;   Parent Loop BB10_31 Depth=1
                                        ; =>  This Inner Loop Header: Depth=2
	s_delay_alu instid0(SALU_CYCLE_1) | instskip(SKIP_1) | instid1(SALU_CYCLE_1)
	v_dual_mov_b32 v18, s11 :: v_dual_add_nc_u32 v17, s7, v8
	s_add_i32 s7, s7, 1
	v_cmp_eq_u32_e32 vcc_lo, s7, v16
	scratch_load_u8 v17, v17, off
	s_waitcnt vmcnt(0)
	v_and_b32_e32 v17, 0xffff, v17
	s_delay_alu instid0(VALU_DEP_1) | instskip(SKIP_3) | instid1(VALU_DEP_1)
	v_lshlrev_b64 v[17:18], s0, v[17:18]
	s_add_u32 s0, s0, 8
	s_addc_u32 s1, s1, 0
	s_or_b32 s6, vcc_lo, s6
	v_or_b32_e32 v15, v18, v15
	s_delay_alu instid0(VALU_DEP_2)
	v_or_b32_e32 v14, v17, v14
	s_and_not1_b32 exec_lo, exec_lo, s6
	s_cbranch_execnz .LBB10_50
; %bb.51:                               ;   in Loop: Header=BB10_31 Depth=1
	s_or_b32 exec_lo, exec_lo, s6
.LBB10_52:                              ;   in Loop: Header=BB10_31 Depth=1
	s_delay_alu instid0(SALU_CYCLE_1)
	s_or_b32 exec_lo, exec_lo, s5
	s_mov_b32 s1, 0
                                        ; implicit-def: $vgpr16
.LBB10_53:                              ;   in Loop: Header=BB10_31 Depth=1
	s_or_saveexec_b32 s0, s4
	v_mov_b32_e32 v18, s1
	s_xor_b32 exec_lo, exec_lo, s0
	s_cbranch_execz .LBB10_55
; %bb.54:                               ;   in Loop: Header=BB10_31 Depth=1
	scratch_load_b64 v[14:15], v8, off
	v_add_nc_u32_e32 v8, 8, v8
	s_waitcnt vmcnt(0)
	v_and_b32_e32 v17, 0xff, v15
	v_and_b32_e32 v18, 0xff00, v15
	;; [unrolled: 1-line block ×4, first 2 shown]
	v_or3_b32 v14, v14, 0, 0
	s_delay_alu instid0(VALU_DEP_4) | instskip(SKIP_1) | instid1(VALU_DEP_2)
	v_or_b32_e32 v17, v17, v18
	v_add_nc_u32_e32 v18, -8, v16
	v_or3_b32 v15, v17, v19, v15
.LBB10_55:                              ;   in Loop: Header=BB10_31 Depth=1
	s_or_b32 exec_lo, exec_lo, s0
                                        ; implicit-def: $vgpr16_vgpr17
                                        ; implicit-def: $sgpr1
	s_delay_alu instid0(SALU_CYCLE_1) | instskip(NEXT) | instid1(VALU_DEP_1)
	s_mov_b32 s0, exec_lo
	v_cmpx_gt_u32_e32 8, v18
	s_xor_b32 s4, exec_lo, s0
	s_cbranch_execz .LBB10_61
; %bb.56:                               ;   in Loop: Header=BB10_31 Depth=1
	v_mov_b32_e32 v16, 0
	v_mov_b32_e32 v17, 0
	s_mov_b32 s5, exec_lo
	v_cmpx_ne_u32_e32 0, v18
	s_cbranch_execz .LBB10_60
; %bb.57:                               ;   in Loop: Header=BB10_31 Depth=1
	v_mov_b32_e32 v16, 0
	v_mov_b32_e32 v17, 0
	s_mov_b64 s[0:1], 0
	s_mov_b32 s6, 0
	s_mov_b32 s7, 0
	.p2align	6
.LBB10_58:                              ;   Parent Loop BB10_31 Depth=1
                                        ; =>  This Inner Loop Header: Depth=2
	s_delay_alu instid0(SALU_CYCLE_1) | instskip(SKIP_1) | instid1(SALU_CYCLE_1)
	v_dual_mov_b32 v20, s11 :: v_dual_add_nc_u32 v19, s7, v8
	s_add_i32 s7, s7, 1
	v_cmp_eq_u32_e32 vcc_lo, s7, v18
	scratch_load_u8 v19, v19, off
	s_waitcnt vmcnt(0)
	v_and_b32_e32 v19, 0xffff, v19
	s_delay_alu instid0(VALU_DEP_1) | instskip(SKIP_3) | instid1(VALU_DEP_1)
	v_lshlrev_b64 v[19:20], s0, v[19:20]
	s_add_u32 s0, s0, 8
	s_addc_u32 s1, s1, 0
	s_or_b32 s6, vcc_lo, s6
	v_or_b32_e32 v17, v20, v17
	s_delay_alu instid0(VALU_DEP_2)
	v_or_b32_e32 v16, v19, v16
	s_and_not1_b32 exec_lo, exec_lo, s6
	s_cbranch_execnz .LBB10_58
; %bb.59:                               ;   in Loop: Header=BB10_31 Depth=1
	s_or_b32 exec_lo, exec_lo, s6
.LBB10_60:                              ;   in Loop: Header=BB10_31 Depth=1
	s_delay_alu instid0(SALU_CYCLE_1)
	s_or_b32 exec_lo, exec_lo, s5
	s_mov_b32 s1, 0
                                        ; implicit-def: $vgpr18
.LBB10_61:                              ;   in Loop: Header=BB10_31 Depth=1
	s_or_saveexec_b32 s0, s4
	v_mov_b32_e32 v20, s1
	s_xor_b32 exec_lo, exec_lo, s0
	s_cbranch_execz .LBB10_63
; %bb.62:                               ;   in Loop: Header=BB10_31 Depth=1
	scratch_load_b64 v[16:17], v8, off
	v_add_nc_u32_e32 v8, 8, v8
	s_waitcnt vmcnt(0)
	v_and_b32_e32 v19, 0xff, v17
	v_and_b32_e32 v20, 0xff00, v17
	;; [unrolled: 1-line block ×4, first 2 shown]
	v_or3_b32 v16, v16, 0, 0
	s_delay_alu instid0(VALU_DEP_4) | instskip(SKIP_1) | instid1(VALU_DEP_2)
	v_or_b32_e32 v19, v19, v20
	v_add_nc_u32_e32 v20, -8, v18
	v_or3_b32 v17, v19, v21, v17
.LBB10_63:                              ;   in Loop: Header=BB10_31 Depth=1
	s_or_b32 exec_lo, exec_lo, s0
                                        ; implicit-def: $sgpr1
	s_delay_alu instid0(SALU_CYCLE_1) | instskip(NEXT) | instid1(VALU_DEP_1)
	s_mov_b32 s0, exec_lo
	v_cmpx_gt_u32_e32 8, v20
	s_xor_b32 s4, exec_lo, s0
	s_cbranch_execz .LBB10_69
; %bb.64:                               ;   in Loop: Header=BB10_31 Depth=1
	v_mov_b32_e32 v18, 0
	v_mov_b32_e32 v19, 0
	s_mov_b32 s5, exec_lo
	v_cmpx_ne_u32_e32 0, v20
	s_cbranch_execz .LBB10_68
; %bb.65:                               ;   in Loop: Header=BB10_31 Depth=1
	v_mov_b32_e32 v18, 0
	v_mov_b32_e32 v19, 0
	s_mov_b64 s[0:1], 0
	s_mov_b32 s6, 0
	s_mov_b32 s7, 0
	.p2align	6
.LBB10_66:                              ;   Parent Loop BB10_31 Depth=1
                                        ; =>  This Inner Loop Header: Depth=2
	s_delay_alu instid0(SALU_CYCLE_1) | instskip(SKIP_1) | instid1(SALU_CYCLE_1)
	v_dual_mov_b32 v22, s11 :: v_dual_add_nc_u32 v21, s7, v8
	s_add_i32 s7, s7, 1
	v_cmp_eq_u32_e32 vcc_lo, s7, v20
	scratch_load_u8 v21, v21, off
	s_waitcnt vmcnt(0)
	v_and_b32_e32 v21, 0xffff, v21
	s_delay_alu instid0(VALU_DEP_1) | instskip(SKIP_3) | instid1(VALU_DEP_1)
	v_lshlrev_b64 v[21:22], s0, v[21:22]
	s_add_u32 s0, s0, 8
	s_addc_u32 s1, s1, 0
	s_or_b32 s6, vcc_lo, s6
	v_or_b32_e32 v19, v22, v19
	s_delay_alu instid0(VALU_DEP_2)
	v_or_b32_e32 v18, v21, v18
	s_and_not1_b32 exec_lo, exec_lo, s6
	s_cbranch_execnz .LBB10_66
; %bb.67:                               ;   in Loop: Header=BB10_31 Depth=1
	s_or_b32 exec_lo, exec_lo, s6
.LBB10_68:                              ;   in Loop: Header=BB10_31 Depth=1
	s_delay_alu instid0(SALU_CYCLE_1)
	s_or_b32 exec_lo, exec_lo, s5
	s_mov_b32 s1, 0
                                        ; implicit-def: $vgpr20
.LBB10_69:                              ;   in Loop: Header=BB10_31 Depth=1
	s_or_saveexec_b32 s0, s4
	v_mov_b32_e32 v22, s1
	s_xor_b32 exec_lo, exec_lo, s0
	s_cbranch_execz .LBB10_71
; %bb.70:                               ;   in Loop: Header=BB10_31 Depth=1
	scratch_load_b64 v[18:19], v8, off
	v_add_nc_u32_e32 v8, 8, v8
	s_waitcnt vmcnt(0)
	v_and_b32_e32 v21, 0xff, v19
	v_and_b32_e32 v22, 0xff00, v19
	;; [unrolled: 1-line block ×4, first 2 shown]
	v_or3_b32 v18, v18, 0, 0
	s_delay_alu instid0(VALU_DEP_4) | instskip(SKIP_1) | instid1(VALU_DEP_2)
	v_or_b32_e32 v21, v21, v22
	v_add_nc_u32_e32 v22, -8, v20
	v_or3_b32 v19, v21, v23, v19
.LBB10_71:                              ;   in Loop: Header=BB10_31 Depth=1
	s_or_b32 exec_lo, exec_lo, s0
                                        ; implicit-def: $vgpr20_vgpr21
                                        ; implicit-def: $sgpr1
	s_delay_alu instid0(SALU_CYCLE_1) | instskip(NEXT) | instid1(VALU_DEP_1)
	s_mov_b32 s0, exec_lo
	v_cmpx_gt_u32_e32 8, v22
	s_xor_b32 s4, exec_lo, s0
	s_cbranch_execz .LBB10_77
; %bb.72:                               ;   in Loop: Header=BB10_31 Depth=1
	v_mov_b32_e32 v20, 0
	v_mov_b32_e32 v21, 0
	s_mov_b32 s5, exec_lo
	v_cmpx_ne_u32_e32 0, v22
	s_cbranch_execz .LBB10_76
; %bb.73:                               ;   in Loop: Header=BB10_31 Depth=1
	v_mov_b32_e32 v20, 0
	v_mov_b32_e32 v21, 0
	s_mov_b64 s[0:1], 0
	s_mov_b32 s6, 0
	s_mov_b32 s7, 0
	.p2align	6
.LBB10_74:                              ;   Parent Loop BB10_31 Depth=1
                                        ; =>  This Inner Loop Header: Depth=2
	s_delay_alu instid0(SALU_CYCLE_1) | instskip(SKIP_1) | instid1(SALU_CYCLE_1)
	v_dual_mov_b32 v24, s11 :: v_dual_add_nc_u32 v23, s7, v8
	s_add_i32 s7, s7, 1
	v_cmp_eq_u32_e32 vcc_lo, s7, v22
	scratch_load_u8 v23, v23, off
	s_waitcnt vmcnt(0)
	v_and_b32_e32 v23, 0xffff, v23
	s_delay_alu instid0(VALU_DEP_1) | instskip(SKIP_3) | instid1(VALU_DEP_1)
	v_lshlrev_b64 v[23:24], s0, v[23:24]
	s_add_u32 s0, s0, 8
	s_addc_u32 s1, s1, 0
	s_or_b32 s6, vcc_lo, s6
	v_or_b32_e32 v21, v24, v21
	s_delay_alu instid0(VALU_DEP_2)
	v_or_b32_e32 v20, v23, v20
	s_and_not1_b32 exec_lo, exec_lo, s6
	s_cbranch_execnz .LBB10_74
; %bb.75:                               ;   in Loop: Header=BB10_31 Depth=1
	s_or_b32 exec_lo, exec_lo, s6
.LBB10_76:                              ;   in Loop: Header=BB10_31 Depth=1
	s_delay_alu instid0(SALU_CYCLE_1)
	s_or_b32 exec_lo, exec_lo, s5
	s_mov_b32 s1, 0
                                        ; implicit-def: $vgpr22
.LBB10_77:                              ;   in Loop: Header=BB10_31 Depth=1
	s_or_saveexec_b32 s0, s4
	v_mov_b32_e32 v24, s1
	s_xor_b32 exec_lo, exec_lo, s0
	s_cbranch_execz .LBB10_79
; %bb.78:                               ;   in Loop: Header=BB10_31 Depth=1
	scratch_load_b64 v[20:21], v8, off
	v_add_nc_u32_e32 v8, 8, v8
	s_waitcnt vmcnt(0)
	v_and_b32_e32 v23, 0xff, v21
	v_and_b32_e32 v24, 0xff00, v21
	;; [unrolled: 1-line block ×4, first 2 shown]
	v_or3_b32 v20, v20, 0, 0
	s_delay_alu instid0(VALU_DEP_4) | instskip(SKIP_1) | instid1(VALU_DEP_2)
	v_or_b32_e32 v23, v23, v24
	v_add_nc_u32_e32 v24, -8, v22
	v_or3_b32 v21, v23, v25, v21
.LBB10_79:                              ;   in Loop: Header=BB10_31 Depth=1
	s_or_b32 exec_lo, exec_lo, s0
	s_delay_alu instid0(SALU_CYCLE_1) | instskip(NEXT) | instid1(VALU_DEP_1)
	s_mov_b32 s0, exec_lo
	v_cmpx_gt_u32_e32 8, v24
	s_xor_b32 s4, exec_lo, s0
	s_cbranch_execz .LBB10_85
; %bb.80:                               ;   in Loop: Header=BB10_31 Depth=1
	v_mov_b32_e32 v22, 0
	v_mov_b32_e32 v23, 0
	s_mov_b32 s5, exec_lo
	v_cmpx_ne_u32_e32 0, v24
	s_cbranch_execz .LBB10_84
; %bb.81:                               ;   in Loop: Header=BB10_31 Depth=1
	v_mov_b32_e32 v22, 0
	v_mov_b32_e32 v23, 0
	s_mov_b64 s[0:1], 0
	s_mov_b32 s6, 0
	.p2align	6
.LBB10_82:                              ;   Parent Loop BB10_31 Depth=1
                                        ; =>  This Inner Loop Header: Depth=2
	scratch_load_u8 v25, v8, off
	v_mov_b32_e32 v26, s11
	v_add_nc_u32_e32 v24, -1, v24
	v_add_nc_u32_e32 v8, 1, v8
	s_delay_alu instid0(VALU_DEP_2) | instskip(SKIP_2) | instid1(VALU_DEP_1)
	v_cmp_eq_u32_e32 vcc_lo, 0, v24
	s_waitcnt vmcnt(0)
	v_and_b32_e32 v25, 0xffff, v25
	v_lshlrev_b64 v[25:26], s0, v[25:26]
	s_add_u32 s0, s0, 8
	s_addc_u32 s1, s1, 0
	s_or_b32 s6, vcc_lo, s6
	s_delay_alu instid0(VALU_DEP_1) | instskip(NEXT) | instid1(VALU_DEP_2)
	v_or_b32_e32 v23, v26, v23
	v_or_b32_e32 v22, v25, v22
	s_and_not1_b32 exec_lo, exec_lo, s6
	s_cbranch_execnz .LBB10_82
; %bb.83:                               ;   in Loop: Header=BB10_31 Depth=1
	s_or_b32 exec_lo, exec_lo, s6
.LBB10_84:                              ;   in Loop: Header=BB10_31 Depth=1
	s_delay_alu instid0(SALU_CYCLE_1)
	s_or_b32 exec_lo, exec_lo, s5
                                        ; implicit-def: $vgpr8
.LBB10_85:                              ;   in Loop: Header=BB10_31 Depth=1
	s_and_not1_saveexec_b32 s0, s4
	s_cbranch_execz .LBB10_87
; %bb.86:                               ;   in Loop: Header=BB10_31 Depth=1
	scratch_load_b64 v[22:23], v8, off
	s_waitcnt vmcnt(0)
	v_and_b32_e32 v8, 0xff, v23
	v_and_b32_e32 v24, 0xff00, v23
	;; [unrolled: 1-line block ×4, first 2 shown]
	v_or3_b32 v22, v22, 0, 0
	s_delay_alu instid0(VALU_DEP_4) | instskip(NEXT) | instid1(VALU_DEP_1)
	v_or_b32_e32 v8, v8, v24
	v_or3_b32 v23, v8, v25, v23
.LBB10_87:                              ;   in Loop: Header=BB10_31 Depth=1
	s_or_b32 exec_lo, exec_lo, s0
	v_readfirstlane_b32 s0, v35
	v_mov_b32_e32 v32, 0
	v_mov_b32_e32 v33, 0
	s_delay_alu instid0(VALU_DEP_3) | instskip(NEXT) | instid1(VALU_DEP_1)
	v_cmp_eq_u32_e64 s0, s0, v35
	s_and_saveexec_b32 s1, s0
	s_cbranch_execz .LBB10_93
; %bb.88:                               ;   in Loop: Header=BB10_31 Depth=1
	global_load_b64 v[26:27], v9, s[2:3] offset:24 glc
	s_waitcnt vmcnt(0)
	buffer_gl1_inv
	buffer_gl0_inv
	s_clause 0x1
	global_load_b64 v[24:25], v9, s[2:3] offset:40
	global_load_b64 v[32:33], v9, s[2:3]
	s_mov_b32 s4, exec_lo
	s_waitcnt vmcnt(1)
	v_and_b32_e32 v8, v25, v27
	v_and_b32_e32 v24, v24, v26
	s_delay_alu instid0(VALU_DEP_2) | instskip(NEXT) | instid1(VALU_DEP_2)
	v_mul_lo_u32 v8, v8, 24
	v_mul_hi_u32 v25, v24, 24
	v_mul_lo_u32 v24, v24, 24
	s_delay_alu instid0(VALU_DEP_2) | instskip(SKIP_1) | instid1(VALU_DEP_2)
	v_add_nc_u32_e32 v8, v25, v8
	s_waitcnt vmcnt(0)
	v_add_co_u32 v24, vcc_lo, v32, v24
	s_delay_alu instid0(VALU_DEP_2)
	v_add_co_ci_u32_e32 v25, vcc_lo, v33, v8, vcc_lo
	global_load_b64 v[24:25], v[24:25], off glc
	s_waitcnt vmcnt(0)
	global_atomic_cmpswap_b64 v[32:33], v9, v[24:27], s[2:3] offset:24 glc
	s_waitcnt vmcnt(0)
	buffer_gl1_inv
	buffer_gl0_inv
	v_cmpx_ne_u64_e64 v[32:33], v[26:27]
	s_cbranch_execz .LBB10_92
; %bb.89:                               ;   in Loop: Header=BB10_31 Depth=1
	s_mov_b32 s5, 0
	.p2align	6
.LBB10_90:                              ;   Parent Loop BB10_31 Depth=1
                                        ; =>  This Inner Loop Header: Depth=2
	s_sleep 1
	s_clause 0x1
	global_load_b64 v[24:25], v9, s[2:3] offset:40
	global_load_b64 v[38:39], v9, s[2:3]
	v_dual_mov_b32 v26, v32 :: v_dual_mov_b32 v27, v33
	s_waitcnt vmcnt(1)
	s_delay_alu instid0(VALU_DEP_1) | instskip(SKIP_1) | instid1(VALU_DEP_1)
	v_and_b32_e32 v8, v24, v26
	s_waitcnt vmcnt(0)
	v_mad_u64_u32 v[32:33], null, v8, 24, v[38:39]
	v_and_b32_e32 v38, v25, v27
	s_delay_alu instid0(VALU_DEP_2) | instskip(NEXT) | instid1(VALU_DEP_1)
	v_mov_b32_e32 v8, v33
	v_mad_u64_u32 v[24:25], null, v38, 24, v[8:9]
	s_delay_alu instid0(VALU_DEP_1)
	v_mov_b32_e32 v33, v24
	global_load_b64 v[24:25], v[32:33], off glc
	s_waitcnt vmcnt(0)
	global_atomic_cmpswap_b64 v[32:33], v9, v[24:27], s[2:3] offset:24 glc
	s_waitcnt vmcnt(0)
	buffer_gl1_inv
	buffer_gl0_inv
	v_cmp_eq_u64_e32 vcc_lo, v[32:33], v[26:27]
	s_or_b32 s5, vcc_lo, s5
	s_delay_alu instid0(SALU_CYCLE_1)
	s_and_not1_b32 exec_lo, exec_lo, s5
	s_cbranch_execnz .LBB10_90
; %bb.91:                               ;   in Loop: Header=BB10_31 Depth=1
	s_or_b32 exec_lo, exec_lo, s5
.LBB10_92:                              ;   in Loop: Header=BB10_31 Depth=1
	s_delay_alu instid0(SALU_CYCLE_1)
	s_or_b32 exec_lo, exec_lo, s4
.LBB10_93:                              ;   in Loop: Header=BB10_31 Depth=1
	s_delay_alu instid0(SALU_CYCLE_1)
	s_or_b32 exec_lo, exec_lo, s1
	s_clause 0x1
	global_load_b64 v[38:39], v9, s[2:3] offset:40
	global_load_b128 v[24:27], v9, s[2:3]
	v_readfirstlane_b32 s4, v32
	v_readfirstlane_b32 s5, v33
	s_mov_b32 s1, exec_lo
	s_waitcnt vmcnt(1)
	v_readfirstlane_b32 s6, v38
	v_readfirstlane_b32 s7, v39
	s_delay_alu instid0(VALU_DEP_1) | instskip(NEXT) | instid1(SALU_CYCLE_1)
	s_and_b64 s[6:7], s[4:5], s[6:7]
	s_mul_i32 s12, s7, 24
	s_mul_hi_u32 s13, s6, 24
	s_mul_i32 s14, s6, 24
	s_add_i32 s13, s13, s12
	s_waitcnt vmcnt(0)
	v_add_co_u32 v32, vcc_lo, v24, s14
	v_add_co_ci_u32_e32 v33, vcc_lo, s13, v25, vcc_lo
	s_and_saveexec_b32 s12, s0
	s_cbranch_execz .LBB10_95
; %bb.94:                               ;   in Loop: Header=BB10_31 Depth=1
	v_mov_b32_e32 v8, s1
	global_store_b128 v[32:33], v[8:11], off offset:8
.LBB10_95:                              ;   in Loop: Header=BB10_31 Depth=1
	s_or_b32 exec_lo, exec_lo, s12
	v_cmp_lt_u64_e32 vcc_lo, 56, v[28:29]
	v_or_b32_e32 v8, 0, v1
	v_or_b32_e32 v38, v0, v36
	v_lshl_add_u32 v39, v30, 2, 28
	s_lshl_b64 s[6:7], s[6:7], 12
	s_delay_alu instid0(SALU_CYCLE_1) | instskip(NEXT) | instid1(VALU_DEP_1)
	v_add_co_u32 v26, s1, v26, s6
	v_add_co_ci_u32_e64 v27, s1, s7, v27, s1
	v_dual_cndmask_b32 v1, v8, v1 :: v_dual_cndmask_b32 v0, v38, v0
	v_and_b32_e32 v8, 0x1e0, v39
	s_delay_alu instid0(VALU_DEP_4) | instskip(NEXT) | instid1(VALU_DEP_4)
	v_readfirstlane_b32 s6, v26
	v_readfirstlane_b32 s7, v27
	s_delay_alu instid0(VALU_DEP_3)
	v_and_or_b32 v0, 0xffffff1f, v0, v8
	s_clause 0x3
	global_store_b128 v34, v[0:3], s[6:7]
	global_store_b128 v34, v[12:15], s[6:7] offset:16
	global_store_b128 v34, v[16:19], s[6:7] offset:32
	;; [unrolled: 1-line block ×3, first 2 shown]
	s_and_saveexec_b32 s1, s0
	s_cbranch_execz .LBB10_103
; %bb.96:                               ;   in Loop: Header=BB10_31 Depth=1
	s_clause 0x1
	global_load_b64 v[16:17], v9, s[2:3] offset:32 glc
	global_load_b64 v[0:1], v9, s[2:3] offset:40
	v_dual_mov_b32 v14, s4 :: v_dual_mov_b32 v15, s5
	s_waitcnt vmcnt(0)
	v_readfirstlane_b32 s6, v0
	v_readfirstlane_b32 s7, v1
	s_delay_alu instid0(VALU_DEP_1) | instskip(NEXT) | instid1(SALU_CYCLE_1)
	s_and_b64 s[6:7], s[6:7], s[4:5]
	s_mul_i32 s7, s7, 24
	s_mul_hi_u32 s12, s6, 24
	s_mul_i32 s6, s6, 24
	s_add_i32 s12, s12, s7
	v_add_co_u32 v12, vcc_lo, v24, s6
	v_add_co_ci_u32_e32 v13, vcc_lo, s12, v25, vcc_lo
	s_mov_b32 s6, exec_lo
	global_store_b64 v[12:13], v[16:17], off
	s_waitcnt_vscnt null, 0x0
	global_atomic_cmpswap_b64 v[2:3], v9, v[14:17], s[2:3] offset:32 glc
	s_waitcnt vmcnt(0)
	v_cmpx_ne_u64_e64 v[2:3], v[16:17]
	s_cbranch_execz .LBB10_99
; %bb.97:                               ;   in Loop: Header=BB10_31 Depth=1
	s_mov_b32 s7, 0
.LBB10_98:                              ;   Parent Loop BB10_31 Depth=1
                                        ; =>  This Inner Loop Header: Depth=2
	v_dual_mov_b32 v0, s4 :: v_dual_mov_b32 v1, s5
	s_sleep 1
	global_store_b64 v[12:13], v[2:3], off
	s_waitcnt_vscnt null, 0x0
	global_atomic_cmpswap_b64 v[0:1], v9, v[0:3], s[2:3] offset:32 glc
	s_waitcnt vmcnt(0)
	v_cmp_eq_u64_e32 vcc_lo, v[0:1], v[2:3]
	v_dual_mov_b32 v3, v1 :: v_dual_mov_b32 v2, v0
	s_or_b32 s7, vcc_lo, s7
	s_delay_alu instid0(SALU_CYCLE_1)
	s_and_not1_b32 exec_lo, exec_lo, s7
	s_cbranch_execnz .LBB10_98
.LBB10_99:                              ;   in Loop: Header=BB10_31 Depth=1
	s_or_b32 exec_lo, exec_lo, s6
	global_load_b64 v[0:1], v9, s[2:3] offset:16
	s_mov_b32 s7, exec_lo
	s_mov_b32 s6, exec_lo
	v_mbcnt_lo_u32_b32 v2, s7, 0
	s_delay_alu instid0(VALU_DEP_1)
	v_cmpx_eq_u32_e32 0, v2
	s_cbranch_execz .LBB10_101
; %bb.100:                              ;   in Loop: Header=BB10_31 Depth=1
	s_bcnt1_i32_b32 s7, s7
	s_delay_alu instid0(SALU_CYCLE_1)
	v_mov_b32_e32 v8, s7
	s_waitcnt vmcnt(0)
	global_atomic_add_u64 v[0:1], v[8:9], off offset:8
.LBB10_101:                             ;   in Loop: Header=BB10_31 Depth=1
	s_or_b32 exec_lo, exec_lo, s6
	s_waitcnt vmcnt(0)
	global_load_b64 v[2:3], v[0:1], off offset:16
	s_waitcnt vmcnt(0)
	v_cmp_eq_u64_e32 vcc_lo, 0, v[2:3]
	s_cbranch_vccnz .LBB10_103
; %bb.102:                              ;   in Loop: Header=BB10_31 Depth=1
	global_load_b32 v8, v[0:1], off offset:24
	s_waitcnt vmcnt(0)
	v_and_b32_e32 v0, 0xffffff, v8
	s_waitcnt_vscnt null, 0x0
	global_store_b64 v[2:3], v[8:9], off
	v_readfirstlane_b32 m0, v0
	s_sendmsg sendmsg(MSG_INTERRUPT)
.LBB10_103:                             ;   in Loop: Header=BB10_31 Depth=1
	s_or_b32 exec_lo, exec_lo, s1
	v_add_co_u32 v0, vcc_lo, v26, v34
	v_add_co_ci_u32_e32 v1, vcc_lo, 0, v27, vcc_lo
	s_branch .LBB10_107
	.p2align	6
.LBB10_104:                             ;   in Loop: Header=BB10_107 Depth=2
	s_or_b32 exec_lo, exec_lo, s1
	s_delay_alu instid0(VALU_DEP_1) | instskip(NEXT) | instid1(VALU_DEP_1)
	v_readfirstlane_b32 s1, v2
	s_cmp_eq_u32 s1, 0
	s_cbranch_scc1 .LBB10_106
; %bb.105:                              ;   in Loop: Header=BB10_107 Depth=2
	s_sleep 1
	s_cbranch_execnz .LBB10_107
	s_branch .LBB10_109
	.p2align	6
.LBB10_106:                             ;   in Loop: Header=BB10_31 Depth=1
	s_branch .LBB10_109
.LBB10_107:                             ;   Parent Loop BB10_31 Depth=1
                                        ; =>  This Inner Loop Header: Depth=2
	v_mov_b32_e32 v2, 1
	s_and_saveexec_b32 s1, s0
	s_cbranch_execz .LBB10_104
; %bb.108:                              ;   in Loop: Header=BB10_107 Depth=2
	global_load_b32 v2, v[32:33], off offset:20 glc
	s_waitcnt vmcnt(0)
	buffer_gl1_inv
	buffer_gl0_inv
	v_and_b32_e32 v2, 1, v2
	s_branch .LBB10_104
.LBB10_109:                             ;   in Loop: Header=BB10_31 Depth=1
	global_load_b128 v[0:3], v[0:1], off
	s_and_saveexec_b32 s1, s0
	s_cbranch_execz .LBB10_30
; %bb.110:                              ;   in Loop: Header=BB10_31 Depth=1
	s_clause 0x2
	global_load_b64 v[2:3], v9, s[2:3] offset:40
	global_load_b64 v[16:17], v9, s[2:3] offset:24 glc
	global_load_b64 v[14:15], v9, s[2:3]
	s_waitcnt vmcnt(2)
	v_add_co_u32 v8, vcc_lo, v2, 1
	v_add_co_ci_u32_e32 v18, vcc_lo, 0, v3, vcc_lo
	s_delay_alu instid0(VALU_DEP_2) | instskip(NEXT) | instid1(VALU_DEP_2)
	v_add_co_u32 v12, vcc_lo, v8, s4
	v_add_co_ci_u32_e32 v13, vcc_lo, s5, v18, vcc_lo
	s_delay_alu instid0(VALU_DEP_1) | instskip(SKIP_1) | instid1(VALU_DEP_1)
	v_cmp_eq_u64_e32 vcc_lo, 0, v[12:13]
	v_dual_cndmask_b32 v13, v13, v18 :: v_dual_cndmask_b32 v12, v12, v8
	v_and_b32_e32 v3, v13, v3
	s_delay_alu instid0(VALU_DEP_2) | instskip(NEXT) | instid1(VALU_DEP_1)
	v_and_b32_e32 v2, v12, v2
	v_mul_hi_u32 v8, v2, 24
	v_mul_lo_u32 v2, v2, 24
	s_waitcnt vmcnt(0)
	s_delay_alu instid0(VALU_DEP_1) | instskip(SKIP_2) | instid1(VALU_DEP_1)
	v_add_co_u32 v2, vcc_lo, v14, v2
	v_mov_b32_e32 v14, v16
	v_mul_lo_u32 v3, v3, 24
	v_add_nc_u32_e32 v3, v8, v3
	s_delay_alu instid0(VALU_DEP_1)
	v_add_co_ci_u32_e32 v3, vcc_lo, v15, v3, vcc_lo
	v_mov_b32_e32 v15, v17
	global_store_b64 v[2:3], v[16:17], off
	s_waitcnt_vscnt null, 0x0
	global_atomic_cmpswap_b64 v[14:15], v9, v[12:15], s[2:3] offset:24 glc
	s_waitcnt vmcnt(0)
	v_cmp_ne_u64_e32 vcc_lo, v[14:15], v[16:17]
	s_and_b32 exec_lo, exec_lo, vcc_lo
	s_cbranch_execz .LBB10_30
; %bb.111:                              ;   in Loop: Header=BB10_31 Depth=1
	s_mov_b32 s0, 0
.LBB10_112:                             ;   Parent Loop BB10_31 Depth=1
                                        ; =>  This Inner Loop Header: Depth=2
	s_sleep 1
	global_store_b64 v[2:3], v[14:15], off
	s_waitcnt_vscnt null, 0x0
	global_atomic_cmpswap_b64 v[16:17], v9, v[12:15], s[2:3] offset:24 glc
	s_waitcnt vmcnt(0)
	v_cmp_eq_u64_e32 vcc_lo, v[16:17], v[14:15]
	v_dual_mov_b32 v14, v16 :: v_dual_mov_b32 v15, v17
	s_or_b32 s0, vcc_lo, s0
	s_delay_alu instid0(SALU_CYCLE_1)
	s_and_not1_b32 exec_lo, exec_lo, s0
	s_cbranch_execnz .LBB10_112
	s_branch .LBB10_30
.LBB10_113:
                                        ; implicit-def: $vgpr0_vgpr1
	s_cbranch_execnz .LBB10_115
	s_branch .LBB10_142
.LBB10_114:
	s_or_b32 exec_lo, exec_lo, s10
	s_branch .LBB10_142
.LBB10_115:
	v_readfirstlane_b32 s0, v35
	v_mov_b32_e32 v9, 0
	v_mov_b32_e32 v10, 0
	s_delay_alu instid0(VALU_DEP_3) | instskip(NEXT) | instid1(VALU_DEP_1)
	v_cmp_eq_u32_e64 s0, s0, v35
	s_and_saveexec_b32 s1, s0
	s_cbranch_execz .LBB10_121
; %bb.116:
	s_waitcnt vmcnt(0)
	v_mov_b32_e32 v0, 0
	s_mov_b32 s4, exec_lo
	global_load_b64 v[11:12], v0, s[2:3] offset:24 glc
	s_waitcnt vmcnt(0)
	buffer_gl1_inv
	buffer_gl0_inv
	s_clause 0x1
	global_load_b64 v[1:2], v0, s[2:3] offset:40
	global_load_b64 v[8:9], v0, s[2:3]
	s_waitcnt vmcnt(1)
	v_and_b32_e32 v1, v1, v11
	v_and_b32_e32 v2, v2, v12
	s_delay_alu instid0(VALU_DEP_2) | instskip(NEXT) | instid1(VALU_DEP_2)
	v_mul_hi_u32 v3, v1, 24
	v_mul_lo_u32 v2, v2, 24
	v_mul_lo_u32 v1, v1, 24
	s_delay_alu instid0(VALU_DEP_2) | instskip(SKIP_1) | instid1(VALU_DEP_2)
	v_add_nc_u32_e32 v2, v3, v2
	s_waitcnt vmcnt(0)
	v_add_co_u32 v1, vcc_lo, v8, v1
	s_delay_alu instid0(VALU_DEP_2)
	v_add_co_ci_u32_e32 v2, vcc_lo, v9, v2, vcc_lo
	global_load_b64 v[9:10], v[1:2], off glc
	s_waitcnt vmcnt(0)
	global_atomic_cmpswap_b64 v[9:10], v0, v[9:12], s[2:3] offset:24 glc
	s_waitcnt vmcnt(0)
	buffer_gl1_inv
	buffer_gl0_inv
	v_cmpx_ne_u64_e64 v[9:10], v[11:12]
	s_cbranch_execz .LBB10_120
; %bb.117:
	s_mov_b32 s5, 0
	.p2align	6
.LBB10_118:                             ; =>This Inner Loop Header: Depth=1
	s_sleep 1
	s_clause 0x1
	global_load_b64 v[1:2], v0, s[2:3] offset:40
	global_load_b64 v[13:14], v0, s[2:3]
	v_dual_mov_b32 v12, v10 :: v_dual_mov_b32 v11, v9
	s_waitcnt vmcnt(1)
	s_delay_alu instid0(VALU_DEP_1) | instskip(SKIP_1) | instid1(VALU_DEP_1)
	v_and_b32_e32 v1, v1, v11
	s_waitcnt vmcnt(0)
	v_mad_u64_u32 v[8:9], null, v1, 24, v[13:14]
	s_delay_alu instid0(VALU_DEP_1) | instskip(NEXT) | instid1(VALU_DEP_1)
	v_dual_mov_b32 v1, v9 :: v_dual_and_b32 v10, v2, v12
	v_mad_u64_u32 v[2:3], null, v10, 24, v[1:2]
	s_delay_alu instid0(VALU_DEP_1)
	v_mov_b32_e32 v9, v2
	global_load_b64 v[9:10], v[8:9], off glc
	s_waitcnt vmcnt(0)
	global_atomic_cmpswap_b64 v[9:10], v0, v[9:12], s[2:3] offset:24 glc
	s_waitcnt vmcnt(0)
	buffer_gl1_inv
	buffer_gl0_inv
	v_cmp_eq_u64_e32 vcc_lo, v[9:10], v[11:12]
	s_or_b32 s5, vcc_lo, s5
	s_delay_alu instid0(SALU_CYCLE_1)
	s_and_not1_b32 exec_lo, exec_lo, s5
	s_cbranch_execnz .LBB10_118
; %bb.119:
	s_or_b32 exec_lo, exec_lo, s5
.LBB10_120:
	s_delay_alu instid0(SALU_CYCLE_1)
	s_or_b32 exec_lo, exec_lo, s4
.LBB10_121:
	s_delay_alu instid0(SALU_CYCLE_1)
	s_or_b32 exec_lo, exec_lo, s1
	v_mov_b32_e32 v8, 0
	v_readfirstlane_b32 s4, v9
	v_readfirstlane_b32 s5, v10
	s_mov_b32 s1, exec_lo
	s_clause 0x1
	global_load_b64 v[11:12], v8, s[2:3] offset:40
	global_load_b128 v[0:3], v8, s[2:3]
	s_waitcnt vmcnt(1)
	v_readfirstlane_b32 s6, v11
	v_readfirstlane_b32 s7, v12
	s_delay_alu instid0(VALU_DEP_1) | instskip(NEXT) | instid1(SALU_CYCLE_1)
	s_and_b64 s[6:7], s[4:5], s[6:7]
	s_mul_i32 s10, s7, 24
	s_mul_hi_u32 s11, s6, 24
	s_mul_i32 s12, s6, 24
	s_add_i32 s11, s11, s10
	s_waitcnt vmcnt(0)
	v_add_co_u32 v10, vcc_lo, v0, s12
	v_add_co_ci_u32_e32 v11, vcc_lo, s11, v1, vcc_lo
	s_and_saveexec_b32 s10, s0
	s_cbranch_execz .LBB10_123
; %bb.122:
	v_dual_mov_b32 v12, s1 :: v_dual_mov_b32 v13, v8
	v_dual_mov_b32 v14, 2 :: v_dual_mov_b32 v15, 1
	global_store_b128 v[10:11], v[12:15], off offset:8
.LBB10_123:
	s_or_b32 exec_lo, exec_lo, s10
	s_lshl_b64 s[6:7], s[6:7], 12
	s_mov_b32 s12, 0
	v_add_co_u32 v2, vcc_lo, v2, s6
	v_add_co_ci_u32_e32 v3, vcc_lo, s7, v3, vcc_lo
	s_mov_b32 s15, s12
	s_delay_alu instid0(VALU_DEP_2)
	v_add_co_u32 v12, vcc_lo, v2, v34
	s_mov_b32 s13, s12
	s_mov_b32 s14, s12
	v_and_or_b32 v6, 0xffffff1f, v6, 32
	v_mov_b32_e32 v9, v8
	v_readfirstlane_b32 s6, v2
	v_readfirstlane_b32 s7, v3
	v_dual_mov_b32 v17, s15 :: v_dual_mov_b32 v14, s12
	v_add_co_ci_u32_e32 v13, vcc_lo, 0, v3, vcc_lo
	v_dual_mov_b32 v16, s14 :: v_dual_mov_b32 v15, s13
	s_clause 0x3
	global_store_b128 v34, v[6:9], s[6:7]
	global_store_b128 v34, v[14:17], s[6:7] offset:16
	global_store_b128 v34, v[14:17], s[6:7] offset:32
	;; [unrolled: 1-line block ×3, first 2 shown]
	s_and_saveexec_b32 s1, s0
	s_cbranch_execz .LBB10_131
; %bb.124:
	v_dual_mov_b32 v8, 0 :: v_dual_mov_b32 v15, s5
	v_mov_b32_e32 v14, s4
	s_clause 0x1
	global_load_b64 v[16:17], v8, s[2:3] offset:32 glc
	global_load_b64 v[2:3], v8, s[2:3] offset:40
	s_waitcnt vmcnt(0)
	v_readfirstlane_b32 s6, v2
	v_readfirstlane_b32 s7, v3
	s_delay_alu instid0(VALU_DEP_1) | instskip(NEXT) | instid1(SALU_CYCLE_1)
	s_and_b64 s[6:7], s[6:7], s[4:5]
	s_mul_i32 s7, s7, 24
	s_mul_hi_u32 s10, s6, 24
	s_mul_i32 s6, s6, 24
	s_add_i32 s10, s10, s7
	v_add_co_u32 v6, vcc_lo, v0, s6
	v_add_co_ci_u32_e32 v7, vcc_lo, s10, v1, vcc_lo
	s_mov_b32 s6, exec_lo
	global_store_b64 v[6:7], v[16:17], off
	s_waitcnt_vscnt null, 0x0
	global_atomic_cmpswap_b64 v[2:3], v8, v[14:17], s[2:3] offset:32 glc
	s_waitcnt vmcnt(0)
	v_cmpx_ne_u64_e64 v[2:3], v[16:17]
	s_cbranch_execz .LBB10_127
; %bb.125:
	s_mov_b32 s7, 0
.LBB10_126:                             ; =>This Inner Loop Header: Depth=1
	v_dual_mov_b32 v0, s4 :: v_dual_mov_b32 v1, s5
	s_sleep 1
	global_store_b64 v[6:7], v[2:3], off
	s_waitcnt_vscnt null, 0x0
	global_atomic_cmpswap_b64 v[0:1], v8, v[0:3], s[2:3] offset:32 glc
	s_waitcnt vmcnt(0)
	v_cmp_eq_u64_e32 vcc_lo, v[0:1], v[2:3]
	v_dual_mov_b32 v3, v1 :: v_dual_mov_b32 v2, v0
	s_or_b32 s7, vcc_lo, s7
	s_delay_alu instid0(SALU_CYCLE_1)
	s_and_not1_b32 exec_lo, exec_lo, s7
	s_cbranch_execnz .LBB10_126
.LBB10_127:
	s_or_b32 exec_lo, exec_lo, s6
	v_mov_b32_e32 v3, 0
	s_mov_b32 s7, exec_lo
	s_mov_b32 s6, exec_lo
	v_mbcnt_lo_u32_b32 v2, s7, 0
	global_load_b64 v[0:1], v3, s[2:3] offset:16
	v_cmpx_eq_u32_e32 0, v2
	s_cbranch_execz .LBB10_129
; %bb.128:
	s_bcnt1_i32_b32 s7, s7
	s_delay_alu instid0(SALU_CYCLE_1)
	v_mov_b32_e32 v2, s7
	s_waitcnt vmcnt(0)
	global_atomic_add_u64 v[0:1], v[2:3], off offset:8
.LBB10_129:
	s_or_b32 exec_lo, exec_lo, s6
	s_waitcnt vmcnt(0)
	global_load_b64 v[2:3], v[0:1], off offset:16
	s_waitcnt vmcnt(0)
	v_cmp_eq_u64_e32 vcc_lo, 0, v[2:3]
	s_cbranch_vccnz .LBB10_131
; %bb.130:
	global_load_b32 v0, v[0:1], off offset:24
	s_waitcnt vmcnt(0)
	v_dual_mov_b32 v1, 0 :: v_dual_and_b32 v6, 0xffffff, v0
	s_waitcnt_vscnt null, 0x0
	global_store_b64 v[2:3], v[0:1], off
	v_readfirstlane_b32 m0, v6
	s_sendmsg sendmsg(MSG_INTERRUPT)
.LBB10_131:
	s_or_b32 exec_lo, exec_lo, s1
	s_branch .LBB10_135
	.p2align	6
.LBB10_132:                             ;   in Loop: Header=BB10_135 Depth=1
	s_or_b32 exec_lo, exec_lo, s1
	s_delay_alu instid0(VALU_DEP_1) | instskip(NEXT) | instid1(VALU_DEP_1)
	v_readfirstlane_b32 s1, v0
	s_cmp_eq_u32 s1, 0
	s_cbranch_scc1 .LBB10_134
; %bb.133:                              ;   in Loop: Header=BB10_135 Depth=1
	s_sleep 1
	s_cbranch_execnz .LBB10_135
	s_branch .LBB10_137
	.p2align	6
.LBB10_134:
	s_branch .LBB10_137
.LBB10_135:                             ; =>This Inner Loop Header: Depth=1
	v_mov_b32_e32 v0, 1
	s_and_saveexec_b32 s1, s0
	s_cbranch_execz .LBB10_132
; %bb.136:                              ;   in Loop: Header=BB10_135 Depth=1
	global_load_b32 v0, v[10:11], off offset:20 glc
	s_waitcnt vmcnt(0)
	buffer_gl1_inv
	buffer_gl0_inv
	v_and_b32_e32 v0, 1, v0
	s_branch .LBB10_132
.LBB10_137:
	global_load_b64 v[0:1], v[12:13], off
	s_and_saveexec_b32 s1, s0
	s_cbranch_execz .LBB10_141
; %bb.138:
	v_mov_b32_e32 v10, 0
	s_clause 0x2
	global_load_b64 v[2:3], v10, s[2:3] offset:40
	global_load_b64 v[11:12], v10, s[2:3] offset:24 glc
	global_load_b64 v[8:9], v10, s[2:3]
	s_waitcnt vmcnt(2)
	v_add_co_u32 v13, vcc_lo, v2, 1
	v_add_co_ci_u32_e32 v14, vcc_lo, 0, v3, vcc_lo
	s_delay_alu instid0(VALU_DEP_2) | instskip(NEXT) | instid1(VALU_DEP_2)
	v_add_co_u32 v6, vcc_lo, v13, s4
	v_add_co_ci_u32_e32 v7, vcc_lo, s5, v14, vcc_lo
	s_delay_alu instid0(VALU_DEP_1) | instskip(SKIP_1) | instid1(VALU_DEP_1)
	v_cmp_eq_u64_e32 vcc_lo, 0, v[6:7]
	v_dual_cndmask_b32 v7, v7, v14 :: v_dual_cndmask_b32 v6, v6, v13
	v_and_b32_e32 v3, v7, v3
	s_delay_alu instid0(VALU_DEP_2) | instskip(NEXT) | instid1(VALU_DEP_2)
	v_and_b32_e32 v2, v6, v2
	v_mul_lo_u32 v3, v3, 24
	s_delay_alu instid0(VALU_DEP_2) | instskip(SKIP_1) | instid1(VALU_DEP_2)
	v_mul_hi_u32 v13, v2, 24
	v_mul_lo_u32 v2, v2, 24
	v_add_nc_u32_e32 v3, v13, v3
	s_waitcnt vmcnt(0)
	s_delay_alu instid0(VALU_DEP_2) | instskip(SKIP_1) | instid1(VALU_DEP_3)
	v_add_co_u32 v2, vcc_lo, v8, v2
	v_mov_b32_e32 v8, v11
	v_add_co_ci_u32_e32 v3, vcc_lo, v9, v3, vcc_lo
	v_mov_b32_e32 v9, v12
	global_store_b64 v[2:3], v[11:12], off
	s_waitcnt_vscnt null, 0x0
	global_atomic_cmpswap_b64 v[8:9], v10, v[6:9], s[2:3] offset:24 glc
	s_waitcnt vmcnt(0)
	v_cmp_ne_u64_e32 vcc_lo, v[8:9], v[11:12]
	s_and_b32 exec_lo, exec_lo, vcc_lo
	s_cbranch_execz .LBB10_141
; %bb.139:
	s_mov_b32 s0, 0
.LBB10_140:                             ; =>This Inner Loop Header: Depth=1
	s_sleep 1
	global_store_b64 v[2:3], v[8:9], off
	s_waitcnt_vscnt null, 0x0
	global_atomic_cmpswap_b64 v[11:12], v10, v[6:9], s[2:3] offset:24 glc
	s_waitcnt vmcnt(0)
	v_cmp_eq_u64_e32 vcc_lo, v[11:12], v[8:9]
	v_dual_mov_b32 v8, v11 :: v_dual_mov_b32 v9, v12
	s_or_b32 s0, vcc_lo, s0
	s_delay_alu instid0(SALU_CYCLE_1)
	s_and_not1_b32 exec_lo, exec_lo, s0
	s_cbranch_execnz .LBB10_140
.LBB10_141:
	s_or_b32 exec_lo, exec_lo, s1
.LBB10_142:
	s_getpc_b64 s[4:5]
	s_add_u32 s4, s4, .str.2@rel32@lo+4
	s_addc_u32 s5, s5, .str.2@rel32@hi+12
	s_delay_alu instid0(SALU_CYCLE_1)
	s_cmp_lg_u64 s[4:5], 0
	s_cbranch_scc0 .LBB10_220
; %bb.143:
	s_getpc_b64 s[0:1]
	s_add_u32 s0, s0, .str.2@rel32@lo+97
	s_addc_u32 s1, s1, .str.2@rel32@hi+105
	s_waitcnt vmcnt(0)
	v_dual_mov_b32 v10, 0 :: v_dual_and_b32 v33, 2, v0
	v_dual_mov_b32 v7, v1 :: v_dual_and_b32 v6, -3, v0
	v_dual_mov_b32 v11, 2 :: v_dual_mov_b32 v12, 1
	s_sub_i32 s6, s0, s4
	s_delay_alu instid0(SALU_CYCLE_1)
	s_ashr_i32 s7, s6, 31
	s_branch .LBB10_145
.LBB10_144:                             ;   in Loop: Header=BB10_145 Depth=1
	s_or_b32 exec_lo, exec_lo, s1
	s_sub_u32 s6, s6, s10
	s_subb_u32 s7, s7, s11
	s_add_u32 s4, s4, s10
	s_addc_u32 s5, s5, s11
	s_cmp_lg_u64 s[6:7], 0
	s_cbranch_scc0 .LBB10_221
.LBB10_145:                             ; =>This Loop Header: Depth=1
                                        ;     Child Loop BB10_154 Depth 2
                                        ;     Child Loop BB10_150 Depth 2
	;; [unrolled: 1-line block ×11, first 2 shown]
	v_cmp_lt_u64_e64 s0, s[6:7], 56
	v_cmp_gt_u64_e64 s1, s[6:7], 7
                                        ; implicit-def: $vgpr15_vgpr16
                                        ; implicit-def: $sgpr16
	s_delay_alu instid0(VALU_DEP_2) | instskip(SKIP_2) | instid1(VALU_DEP_1)
	s_and_b32 s0, s0, exec_lo
	s_cselect_b32 s11, s7, 0
	s_cselect_b32 s10, s6, 56
	s_and_b32 vcc_lo, exec_lo, s1
	s_mov_b32 s0, -1
	s_cbranch_vccz .LBB10_152
; %bb.146:                              ;   in Loop: Header=BB10_145 Depth=1
	s_and_not1_b32 vcc_lo, exec_lo, s0
	s_mov_b64 s[0:1], s[4:5]
	s_cbranch_vccz .LBB10_156
.LBB10_147:                             ;   in Loop: Header=BB10_145 Depth=1
	s_cmp_gt_u32 s16, 7
	s_cbranch_scc1 .LBB10_157
.LBB10_148:                             ;   in Loop: Header=BB10_145 Depth=1
	v_mov_b32_e32 v17, 0
	v_mov_b32_e32 v18, 0
	s_cmp_eq_u32 s16, 0
	s_cbranch_scc1 .LBB10_151
; %bb.149:                              ;   in Loop: Header=BB10_145 Depth=1
	s_mov_b64 s[12:13], 0
	s_mov_b64 s[14:15], 0
.LBB10_150:                             ;   Parent Loop BB10_145 Depth=1
                                        ; =>  This Inner Loop Header: Depth=2
	s_delay_alu instid0(SALU_CYCLE_1)
	s_add_u32 s18, s0, s14
	s_addc_u32 s19, s1, s15
	s_add_u32 s14, s14, 1
	global_load_u8 v2, v10, s[18:19]
	s_addc_u32 s15, s15, 0
	s_waitcnt vmcnt(0)
	v_and_b32_e32 v9, 0xffff, v2
	s_delay_alu instid0(VALU_DEP_1) | instskip(SKIP_3) | instid1(VALU_DEP_1)
	v_lshlrev_b64 v[2:3], s12, v[9:10]
	s_add_u32 s12, s12, 8
	s_addc_u32 s13, s13, 0
	s_cmp_lg_u32 s16, s14
	v_or_b32_e32 v17, v2, v17
	s_delay_alu instid0(VALU_DEP_2)
	v_or_b32_e32 v18, v3, v18
	s_cbranch_scc1 .LBB10_150
.LBB10_151:                             ;   in Loop: Header=BB10_145 Depth=1
	s_mov_b32 s17, 0
	s_cbranch_execz .LBB10_158
	s_branch .LBB10_159
.LBB10_152:                             ;   in Loop: Header=BB10_145 Depth=1
	v_mov_b32_e32 v15, 0
	v_mov_b32_e32 v16, 0
	s_cmp_eq_u64 s[6:7], 0
	s_mov_b64 s[0:1], 0
	s_cbranch_scc1 .LBB10_155
; %bb.153:                              ;   in Loop: Header=BB10_145 Depth=1
	v_mov_b32_e32 v15, 0
	v_mov_b32_e32 v16, 0
	s_lshl_b64 s[12:13], s[10:11], 3
	s_mov_b64 s[14:15], s[4:5]
.LBB10_154:                             ;   Parent Loop BB10_145 Depth=1
                                        ; =>  This Inner Loop Header: Depth=2
	global_load_u8 v2, v10, s[14:15]
	s_waitcnt vmcnt(0)
	v_and_b32_e32 v9, 0xffff, v2
	s_delay_alu instid0(VALU_DEP_1)
	v_lshlrev_b64 v[2:3], s0, v[9:10]
	s_add_u32 s0, s0, 8
	s_addc_u32 s1, s1, 0
	s_add_u32 s14, s14, 1
	s_addc_u32 s15, s15, 0
	s_cmp_lg_u32 s12, s0
	v_or_b32_e32 v15, v2, v15
	v_or_b32_e32 v16, v3, v16
	s_cbranch_scc1 .LBB10_154
.LBB10_155:                             ;   in Loop: Header=BB10_145 Depth=1
	s_mov_b32 s16, 0
	s_mov_b64 s[0:1], s[4:5]
	s_cbranch_execnz .LBB10_147
.LBB10_156:                             ;   in Loop: Header=BB10_145 Depth=1
	global_load_b64 v[15:16], v10, s[4:5]
	s_add_i32 s16, s10, -8
	s_add_u32 s0, s4, 8
	s_addc_u32 s1, s5, 0
	s_cmp_gt_u32 s16, 7
	s_cbranch_scc0 .LBB10_148
.LBB10_157:                             ;   in Loop: Header=BB10_145 Depth=1
                                        ; implicit-def: $vgpr17_vgpr18
                                        ; implicit-def: $sgpr17
.LBB10_158:                             ;   in Loop: Header=BB10_145 Depth=1
	global_load_b64 v[17:18], v10, s[0:1]
	s_add_i32 s17, s16, -8
	s_add_u32 s0, s0, 8
	s_addc_u32 s1, s1, 0
.LBB10_159:                             ;   in Loop: Header=BB10_145 Depth=1
	s_cmp_gt_u32 s17, 7
	s_cbranch_scc1 .LBB10_164
; %bb.160:                              ;   in Loop: Header=BB10_145 Depth=1
	v_mov_b32_e32 v19, 0
	v_mov_b32_e32 v20, 0
	s_cmp_eq_u32 s17, 0
	s_cbranch_scc1 .LBB10_163
; %bb.161:                              ;   in Loop: Header=BB10_145 Depth=1
	s_mov_b64 s[12:13], 0
	s_mov_b64 s[14:15], 0
.LBB10_162:                             ;   Parent Loop BB10_145 Depth=1
                                        ; =>  This Inner Loop Header: Depth=2
	s_delay_alu instid0(SALU_CYCLE_1)
	s_add_u32 s18, s0, s14
	s_addc_u32 s19, s1, s15
	s_add_u32 s14, s14, 1
	global_load_u8 v2, v10, s[18:19]
	s_addc_u32 s15, s15, 0
	s_waitcnt vmcnt(0)
	v_and_b32_e32 v9, 0xffff, v2
	s_delay_alu instid0(VALU_DEP_1) | instskip(SKIP_3) | instid1(VALU_DEP_1)
	v_lshlrev_b64 v[2:3], s12, v[9:10]
	s_add_u32 s12, s12, 8
	s_addc_u32 s13, s13, 0
	s_cmp_lg_u32 s17, s14
	v_or_b32_e32 v19, v2, v19
	s_delay_alu instid0(VALU_DEP_2)
	v_or_b32_e32 v20, v3, v20
	s_cbranch_scc1 .LBB10_162
.LBB10_163:                             ;   in Loop: Header=BB10_145 Depth=1
	s_mov_b32 s16, 0
	s_cbranch_execz .LBB10_165
	s_branch .LBB10_166
.LBB10_164:                             ;   in Loop: Header=BB10_145 Depth=1
                                        ; implicit-def: $sgpr16
.LBB10_165:                             ;   in Loop: Header=BB10_145 Depth=1
	global_load_b64 v[19:20], v10, s[0:1]
	s_add_i32 s16, s17, -8
	s_add_u32 s0, s0, 8
	s_addc_u32 s1, s1, 0
.LBB10_166:                             ;   in Loop: Header=BB10_145 Depth=1
	s_cmp_gt_u32 s16, 7
	s_cbranch_scc1 .LBB10_171
; %bb.167:                              ;   in Loop: Header=BB10_145 Depth=1
	v_mov_b32_e32 v21, 0
	v_mov_b32_e32 v22, 0
	s_cmp_eq_u32 s16, 0
	s_cbranch_scc1 .LBB10_170
; %bb.168:                              ;   in Loop: Header=BB10_145 Depth=1
	s_mov_b64 s[12:13], 0
	s_mov_b64 s[14:15], 0
.LBB10_169:                             ;   Parent Loop BB10_145 Depth=1
                                        ; =>  This Inner Loop Header: Depth=2
	s_delay_alu instid0(SALU_CYCLE_1)
	s_add_u32 s18, s0, s14
	s_addc_u32 s19, s1, s15
	s_add_u32 s14, s14, 1
	global_load_u8 v2, v10, s[18:19]
	s_addc_u32 s15, s15, 0
	s_waitcnt vmcnt(0)
	v_and_b32_e32 v9, 0xffff, v2
	s_delay_alu instid0(VALU_DEP_1) | instskip(SKIP_3) | instid1(VALU_DEP_1)
	v_lshlrev_b64 v[2:3], s12, v[9:10]
	s_add_u32 s12, s12, 8
	s_addc_u32 s13, s13, 0
	s_cmp_lg_u32 s16, s14
	v_or_b32_e32 v21, v2, v21
	s_delay_alu instid0(VALU_DEP_2)
	v_or_b32_e32 v22, v3, v22
	s_cbranch_scc1 .LBB10_169
.LBB10_170:                             ;   in Loop: Header=BB10_145 Depth=1
	s_mov_b32 s17, 0
	s_cbranch_execz .LBB10_172
	s_branch .LBB10_173
.LBB10_171:                             ;   in Loop: Header=BB10_145 Depth=1
                                        ; implicit-def: $vgpr21_vgpr22
                                        ; implicit-def: $sgpr17
.LBB10_172:                             ;   in Loop: Header=BB10_145 Depth=1
	global_load_b64 v[21:22], v10, s[0:1]
	s_add_i32 s17, s16, -8
	s_add_u32 s0, s0, 8
	s_addc_u32 s1, s1, 0
.LBB10_173:                             ;   in Loop: Header=BB10_145 Depth=1
	s_cmp_gt_u32 s17, 7
	s_cbranch_scc1 .LBB10_178
; %bb.174:                              ;   in Loop: Header=BB10_145 Depth=1
	v_mov_b32_e32 v23, 0
	v_mov_b32_e32 v24, 0
	s_cmp_eq_u32 s17, 0
	s_cbranch_scc1 .LBB10_177
; %bb.175:                              ;   in Loop: Header=BB10_145 Depth=1
	s_mov_b64 s[12:13], 0
	s_mov_b64 s[14:15], 0
.LBB10_176:                             ;   Parent Loop BB10_145 Depth=1
                                        ; =>  This Inner Loop Header: Depth=2
	s_delay_alu instid0(SALU_CYCLE_1)
	s_add_u32 s18, s0, s14
	s_addc_u32 s19, s1, s15
	s_add_u32 s14, s14, 1
	global_load_u8 v2, v10, s[18:19]
	s_addc_u32 s15, s15, 0
	s_waitcnt vmcnt(0)
	v_and_b32_e32 v9, 0xffff, v2
	s_delay_alu instid0(VALU_DEP_1) | instskip(SKIP_3) | instid1(VALU_DEP_1)
	v_lshlrev_b64 v[2:3], s12, v[9:10]
	s_add_u32 s12, s12, 8
	s_addc_u32 s13, s13, 0
	s_cmp_lg_u32 s17, s14
	v_or_b32_e32 v23, v2, v23
	s_delay_alu instid0(VALU_DEP_2)
	v_or_b32_e32 v24, v3, v24
	s_cbranch_scc1 .LBB10_176
.LBB10_177:                             ;   in Loop: Header=BB10_145 Depth=1
	s_mov_b32 s16, 0
	s_cbranch_execz .LBB10_179
	s_branch .LBB10_180
.LBB10_178:                             ;   in Loop: Header=BB10_145 Depth=1
                                        ; implicit-def: $sgpr16
.LBB10_179:                             ;   in Loop: Header=BB10_145 Depth=1
	global_load_b64 v[23:24], v10, s[0:1]
	s_add_i32 s16, s17, -8
	s_add_u32 s0, s0, 8
	s_addc_u32 s1, s1, 0
.LBB10_180:                             ;   in Loop: Header=BB10_145 Depth=1
	s_cmp_gt_u32 s16, 7
	s_cbranch_scc1 .LBB10_185
; %bb.181:                              ;   in Loop: Header=BB10_145 Depth=1
	v_mov_b32_e32 v25, 0
	v_mov_b32_e32 v26, 0
	s_cmp_eq_u32 s16, 0
	s_cbranch_scc1 .LBB10_184
; %bb.182:                              ;   in Loop: Header=BB10_145 Depth=1
	s_mov_b64 s[12:13], 0
	s_mov_b64 s[14:15], 0
.LBB10_183:                             ;   Parent Loop BB10_145 Depth=1
                                        ; =>  This Inner Loop Header: Depth=2
	s_delay_alu instid0(SALU_CYCLE_1)
	s_add_u32 s18, s0, s14
	s_addc_u32 s19, s1, s15
	s_add_u32 s14, s14, 1
	global_load_u8 v2, v10, s[18:19]
	s_addc_u32 s15, s15, 0
	s_waitcnt vmcnt(0)
	v_and_b32_e32 v9, 0xffff, v2
	s_delay_alu instid0(VALU_DEP_1) | instskip(SKIP_3) | instid1(VALU_DEP_1)
	v_lshlrev_b64 v[2:3], s12, v[9:10]
	s_add_u32 s12, s12, 8
	s_addc_u32 s13, s13, 0
	s_cmp_lg_u32 s16, s14
	v_or_b32_e32 v25, v2, v25
	s_delay_alu instid0(VALU_DEP_2)
	v_or_b32_e32 v26, v3, v26
	s_cbranch_scc1 .LBB10_183
.LBB10_184:                             ;   in Loop: Header=BB10_145 Depth=1
	s_mov_b32 s17, 0
	s_cbranch_execz .LBB10_186
	s_branch .LBB10_187
.LBB10_185:                             ;   in Loop: Header=BB10_145 Depth=1
                                        ; implicit-def: $vgpr25_vgpr26
                                        ; implicit-def: $sgpr17
.LBB10_186:                             ;   in Loop: Header=BB10_145 Depth=1
	global_load_b64 v[25:26], v10, s[0:1]
	s_add_i32 s17, s16, -8
	s_add_u32 s0, s0, 8
	s_addc_u32 s1, s1, 0
.LBB10_187:                             ;   in Loop: Header=BB10_145 Depth=1
	s_cmp_gt_u32 s17, 7
	s_cbranch_scc1 .LBB10_192
; %bb.188:                              ;   in Loop: Header=BB10_145 Depth=1
	v_mov_b32_e32 v27, 0
	v_mov_b32_e32 v28, 0
	s_cmp_eq_u32 s17, 0
	s_cbranch_scc1 .LBB10_191
; %bb.189:                              ;   in Loop: Header=BB10_145 Depth=1
	s_mov_b64 s[12:13], 0
	s_mov_b64 s[14:15], s[0:1]
.LBB10_190:                             ;   Parent Loop BB10_145 Depth=1
                                        ; =>  This Inner Loop Header: Depth=2
	global_load_u8 v2, v10, s[14:15]
	s_add_i32 s17, s17, -1
	s_waitcnt vmcnt(0)
	v_and_b32_e32 v9, 0xffff, v2
	s_delay_alu instid0(VALU_DEP_1)
	v_lshlrev_b64 v[2:3], s12, v[9:10]
	s_add_u32 s12, s12, 8
	s_addc_u32 s13, s13, 0
	s_add_u32 s14, s14, 1
	s_addc_u32 s15, s15, 0
	s_cmp_lg_u32 s17, 0
	v_or_b32_e32 v27, v2, v27
	v_or_b32_e32 v28, v3, v28
	s_cbranch_scc1 .LBB10_190
.LBB10_191:                             ;   in Loop: Header=BB10_145 Depth=1
	s_cbranch_execz .LBB10_193
	s_branch .LBB10_194
.LBB10_192:                             ;   in Loop: Header=BB10_145 Depth=1
.LBB10_193:                             ;   in Loop: Header=BB10_145 Depth=1
	global_load_b64 v[27:28], v10, s[0:1]
.LBB10_194:                             ;   in Loop: Header=BB10_145 Depth=1
	v_readfirstlane_b32 s0, v35
	v_mov_b32_e32 v2, 0
	v_mov_b32_e32 v3, 0
	s_delay_alu instid0(VALU_DEP_3) | instskip(NEXT) | instid1(VALU_DEP_1)
	v_cmp_eq_u32_e64 s0, s0, v35
	s_and_saveexec_b32 s1, s0
	s_cbranch_execz .LBB10_200
; %bb.195:                              ;   in Loop: Header=BB10_145 Depth=1
	global_load_b64 v[31:32], v10, s[2:3] offset:24 glc
	s_waitcnt vmcnt(0)
	buffer_gl1_inv
	buffer_gl0_inv
	s_clause 0x1
	global_load_b64 v[2:3], v10, s[2:3] offset:40
	global_load_b64 v[8:9], v10, s[2:3]
	s_mov_b32 s12, exec_lo
	s_waitcnt vmcnt(1)
	v_and_b32_e32 v3, v3, v32
	v_and_b32_e32 v2, v2, v31
	s_delay_alu instid0(VALU_DEP_2) | instskip(NEXT) | instid1(VALU_DEP_2)
	v_mul_lo_u32 v3, v3, 24
	v_mul_hi_u32 v13, v2, 24
	v_mul_lo_u32 v2, v2, 24
	s_delay_alu instid0(VALU_DEP_2) | instskip(SKIP_1) | instid1(VALU_DEP_2)
	v_add_nc_u32_e32 v3, v13, v3
	s_waitcnt vmcnt(0)
	v_add_co_u32 v2, vcc_lo, v8, v2
	s_delay_alu instid0(VALU_DEP_2)
	v_add_co_ci_u32_e32 v3, vcc_lo, v9, v3, vcc_lo
	global_load_b64 v[29:30], v[2:3], off glc
	s_waitcnt vmcnt(0)
	global_atomic_cmpswap_b64 v[2:3], v10, v[29:32], s[2:3] offset:24 glc
	s_waitcnt vmcnt(0)
	buffer_gl1_inv
	buffer_gl0_inv
	v_cmpx_ne_u64_e64 v[2:3], v[31:32]
	s_cbranch_execz .LBB10_199
; %bb.196:                              ;   in Loop: Header=BB10_145 Depth=1
	s_mov_b32 s13, 0
	.p2align	6
.LBB10_197:                             ;   Parent Loop BB10_145 Depth=1
                                        ; =>  This Inner Loop Header: Depth=2
	s_sleep 1
	s_clause 0x1
	global_load_b64 v[8:9], v10, s[2:3] offset:40
	global_load_b64 v[13:14], v10, s[2:3]
	v_dual_mov_b32 v32, v3 :: v_dual_mov_b32 v31, v2
	s_waitcnt vmcnt(1)
	s_delay_alu instid0(VALU_DEP_1) | instskip(SKIP_1) | instid1(VALU_DEP_1)
	v_and_b32_e32 v8, v8, v31
	s_waitcnt vmcnt(0)
	v_mad_u64_u32 v[2:3], null, v8, 24, v[13:14]
	v_and_b32_e32 v13, v9, v32
	s_delay_alu instid0(VALU_DEP_1) | instskip(NEXT) | instid1(VALU_DEP_1)
	v_mad_u64_u32 v[8:9], null, v13, 24, v[3:4]
	v_mov_b32_e32 v3, v8
	global_load_b64 v[29:30], v[2:3], off glc
	s_waitcnt vmcnt(0)
	global_atomic_cmpswap_b64 v[2:3], v10, v[29:32], s[2:3] offset:24 glc
	s_waitcnt vmcnt(0)
	buffer_gl1_inv
	buffer_gl0_inv
	v_cmp_eq_u64_e32 vcc_lo, v[2:3], v[31:32]
	s_or_b32 s13, vcc_lo, s13
	s_delay_alu instid0(SALU_CYCLE_1)
	s_and_not1_b32 exec_lo, exec_lo, s13
	s_cbranch_execnz .LBB10_197
; %bb.198:                              ;   in Loop: Header=BB10_145 Depth=1
	s_or_b32 exec_lo, exec_lo, s13
.LBB10_199:                             ;   in Loop: Header=BB10_145 Depth=1
	s_delay_alu instid0(SALU_CYCLE_1)
	s_or_b32 exec_lo, exec_lo, s12
.LBB10_200:                             ;   in Loop: Header=BB10_145 Depth=1
	s_delay_alu instid0(SALU_CYCLE_1)
	s_or_b32 exec_lo, exec_lo, s1
	s_clause 0x1
	global_load_b64 v[8:9], v10, s[2:3] offset:40
	global_load_b128 v[29:32], v10, s[2:3]
	v_readfirstlane_b32 s12, v2
	v_readfirstlane_b32 s13, v3
	s_mov_b32 s1, exec_lo
	s_waitcnt vmcnt(1)
	v_readfirstlane_b32 s14, v8
	v_readfirstlane_b32 s15, v9
	s_delay_alu instid0(VALU_DEP_1) | instskip(NEXT) | instid1(SALU_CYCLE_1)
	s_and_b64 s[14:15], s[12:13], s[14:15]
	s_mul_i32 s16, s15, 24
	s_mul_hi_u32 s17, s14, 24
	s_mul_i32 s18, s14, 24
	s_add_i32 s17, s17, s16
	s_waitcnt vmcnt(0)
	v_add_co_u32 v2, vcc_lo, v29, s18
	v_add_co_ci_u32_e32 v3, vcc_lo, s17, v30, vcc_lo
	s_and_saveexec_b32 s16, s0
	s_cbranch_execz .LBB10_202
; %bb.201:                              ;   in Loop: Header=BB10_145 Depth=1
	v_mov_b32_e32 v9, s1
	global_store_b128 v[2:3], v[9:12], off offset:8
.LBB10_202:                             ;   in Loop: Header=BB10_145 Depth=1
	s_or_b32 exec_lo, exec_lo, s16
	s_lshl_b64 s[14:15], s[14:15], 12
	v_cmp_gt_u64_e64 vcc_lo, s[6:7], 56
	v_or_b32_e32 v9, v6, v33
	v_add_co_u32 v31, s1, v31, s14
	s_delay_alu instid0(VALU_DEP_1)
	v_add_co_ci_u32_e64 v32, s1, s15, v32, s1
	s_lshl_b32 s1, s10, 2
	v_or_b32_e32 v8, 0, v7
	v_cndmask_b32_e32 v6, v9, v6, vcc_lo
	s_add_i32 s1, s1, 28
	v_readfirstlane_b32 s14, v31
	s_and_b32 s1, s1, 0x1e0
	v_cndmask_b32_e32 v14, v8, v7, vcc_lo
	v_readfirstlane_b32 s15, v32
	v_and_or_b32 v13, 0xffffff1f, v6, s1
	s_clause 0x3
	global_store_b128 v34, v[13:16], s[14:15]
	global_store_b128 v34, v[17:20], s[14:15] offset:16
	global_store_b128 v34, v[21:24], s[14:15] offset:32
	;; [unrolled: 1-line block ×3, first 2 shown]
	s_and_saveexec_b32 s1, s0
	s_cbranch_execz .LBB10_210
; %bb.203:                              ;   in Loop: Header=BB10_145 Depth=1
	s_clause 0x1
	global_load_b64 v[17:18], v10, s[2:3] offset:32 glc
	global_load_b64 v[6:7], v10, s[2:3] offset:40
	v_dual_mov_b32 v15, s12 :: v_dual_mov_b32 v16, s13
	s_waitcnt vmcnt(0)
	v_readfirstlane_b32 s14, v6
	v_readfirstlane_b32 s15, v7
	s_delay_alu instid0(VALU_DEP_1) | instskip(NEXT) | instid1(SALU_CYCLE_1)
	s_and_b64 s[14:15], s[14:15], s[12:13]
	s_mul_i32 s15, s15, 24
	s_mul_hi_u32 s16, s14, 24
	s_mul_i32 s14, s14, 24
	s_add_i32 s16, s16, s15
	v_add_co_u32 v13, vcc_lo, v29, s14
	v_add_co_ci_u32_e32 v14, vcc_lo, s16, v30, vcc_lo
	s_mov_b32 s14, exec_lo
	global_store_b64 v[13:14], v[17:18], off
	s_waitcnt_vscnt null, 0x0
	global_atomic_cmpswap_b64 v[8:9], v10, v[15:18], s[2:3] offset:32 glc
	s_waitcnt vmcnt(0)
	v_cmpx_ne_u64_e64 v[8:9], v[17:18]
	s_cbranch_execz .LBB10_206
; %bb.204:                              ;   in Loop: Header=BB10_145 Depth=1
	s_mov_b32 s15, 0
.LBB10_205:                             ;   Parent Loop BB10_145 Depth=1
                                        ; =>  This Inner Loop Header: Depth=2
	v_dual_mov_b32 v6, s12 :: v_dual_mov_b32 v7, s13
	s_sleep 1
	global_store_b64 v[13:14], v[8:9], off
	s_waitcnt_vscnt null, 0x0
	global_atomic_cmpswap_b64 v[6:7], v10, v[6:9], s[2:3] offset:32 glc
	s_waitcnt vmcnt(0)
	v_cmp_eq_u64_e32 vcc_lo, v[6:7], v[8:9]
	v_dual_mov_b32 v9, v7 :: v_dual_mov_b32 v8, v6
	s_or_b32 s15, vcc_lo, s15
	s_delay_alu instid0(SALU_CYCLE_1)
	s_and_not1_b32 exec_lo, exec_lo, s15
	s_cbranch_execnz .LBB10_205
.LBB10_206:                             ;   in Loop: Header=BB10_145 Depth=1
	s_or_b32 exec_lo, exec_lo, s14
	global_load_b64 v[6:7], v10, s[2:3] offset:16
	s_mov_b32 s15, exec_lo
	s_mov_b32 s14, exec_lo
	v_mbcnt_lo_u32_b32 v8, s15, 0
	s_delay_alu instid0(VALU_DEP_1)
	v_cmpx_eq_u32_e32 0, v8
	s_cbranch_execz .LBB10_208
; %bb.207:                              ;   in Loop: Header=BB10_145 Depth=1
	s_bcnt1_i32_b32 s15, s15
	s_delay_alu instid0(SALU_CYCLE_1)
	v_mov_b32_e32 v9, s15
	s_waitcnt vmcnt(0)
	global_atomic_add_u64 v[6:7], v[9:10], off offset:8
.LBB10_208:                             ;   in Loop: Header=BB10_145 Depth=1
	s_or_b32 exec_lo, exec_lo, s14
	s_waitcnt vmcnt(0)
	global_load_b64 v[13:14], v[6:7], off offset:16
	s_waitcnt vmcnt(0)
	v_cmp_eq_u64_e32 vcc_lo, 0, v[13:14]
	s_cbranch_vccnz .LBB10_210
; %bb.209:                              ;   in Loop: Header=BB10_145 Depth=1
	global_load_b32 v9, v[6:7], off offset:24
	s_waitcnt vmcnt(0)
	v_and_b32_e32 v6, 0xffffff, v9
	s_waitcnt_vscnt null, 0x0
	global_store_b64 v[13:14], v[9:10], off
	v_readfirstlane_b32 m0, v6
	s_sendmsg sendmsg(MSG_INTERRUPT)
.LBB10_210:                             ;   in Loop: Header=BB10_145 Depth=1
	s_or_b32 exec_lo, exec_lo, s1
	v_add_co_u32 v6, vcc_lo, v31, v34
	v_add_co_ci_u32_e32 v7, vcc_lo, 0, v32, vcc_lo
	s_branch .LBB10_214
	.p2align	6
.LBB10_211:                             ;   in Loop: Header=BB10_214 Depth=2
	s_or_b32 exec_lo, exec_lo, s1
	s_delay_alu instid0(VALU_DEP_1) | instskip(NEXT) | instid1(VALU_DEP_1)
	v_readfirstlane_b32 s1, v8
	s_cmp_eq_u32 s1, 0
	s_cbranch_scc1 .LBB10_213
; %bb.212:                              ;   in Loop: Header=BB10_214 Depth=2
	s_sleep 1
	s_cbranch_execnz .LBB10_214
	s_branch .LBB10_216
	.p2align	6
.LBB10_213:                             ;   in Loop: Header=BB10_145 Depth=1
	s_branch .LBB10_216
.LBB10_214:                             ;   Parent Loop BB10_145 Depth=1
                                        ; =>  This Inner Loop Header: Depth=2
	v_mov_b32_e32 v8, 1
	s_and_saveexec_b32 s1, s0
	s_cbranch_execz .LBB10_211
; %bb.215:                              ;   in Loop: Header=BB10_214 Depth=2
	global_load_b32 v8, v[2:3], off offset:20 glc
	s_waitcnt vmcnt(0)
	buffer_gl1_inv
	buffer_gl0_inv
	v_and_b32_e32 v8, 1, v8
	s_branch .LBB10_211
.LBB10_216:                             ;   in Loop: Header=BB10_145 Depth=1
	global_load_b128 v[6:9], v[6:7], off
	s_and_saveexec_b32 s1, s0
	s_cbranch_execz .LBB10_144
; %bb.217:                              ;   in Loop: Header=BB10_145 Depth=1
	s_clause 0x2
	global_load_b64 v[2:3], v10, s[2:3] offset:40
	global_load_b64 v[8:9], v10, s[2:3] offset:24 glc
	global_load_b64 v[15:16], v10, s[2:3]
	s_waitcnt vmcnt(2)
	v_add_co_u32 v17, vcc_lo, v2, 1
	v_add_co_ci_u32_e32 v18, vcc_lo, 0, v3, vcc_lo
	s_delay_alu instid0(VALU_DEP_2) | instskip(NEXT) | instid1(VALU_DEP_2)
	v_add_co_u32 v13, vcc_lo, v17, s12
	v_add_co_ci_u32_e32 v14, vcc_lo, s13, v18, vcc_lo
	s_delay_alu instid0(VALU_DEP_1) | instskip(SKIP_1) | instid1(VALU_DEP_1)
	v_cmp_eq_u64_e32 vcc_lo, 0, v[13:14]
	v_dual_cndmask_b32 v14, v14, v18 :: v_dual_cndmask_b32 v13, v13, v17
	v_and_b32_e32 v3, v14, v3
	s_delay_alu instid0(VALU_DEP_2) | instskip(NEXT) | instid1(VALU_DEP_2)
	v_and_b32_e32 v2, v13, v2
	v_mul_lo_u32 v3, v3, 24
	s_delay_alu instid0(VALU_DEP_2) | instskip(SKIP_1) | instid1(VALU_DEP_2)
	v_mul_hi_u32 v17, v2, 24
	v_mul_lo_u32 v2, v2, 24
	v_add_nc_u32_e32 v3, v17, v3
	s_waitcnt vmcnt(0)
	s_delay_alu instid0(VALU_DEP_2) | instskip(SKIP_1) | instid1(VALU_DEP_3)
	v_add_co_u32 v2, vcc_lo, v15, v2
	v_mov_b32_e32 v15, v8
	v_add_co_ci_u32_e32 v3, vcc_lo, v16, v3, vcc_lo
	v_mov_b32_e32 v16, v9
	global_store_b64 v[2:3], v[8:9], off
	s_waitcnt_vscnt null, 0x0
	global_atomic_cmpswap_b64 v[15:16], v10, v[13:16], s[2:3] offset:24 glc
	s_waitcnt vmcnt(0)
	v_cmp_ne_u64_e32 vcc_lo, v[15:16], v[8:9]
	s_and_b32 exec_lo, exec_lo, vcc_lo
	s_cbranch_execz .LBB10_144
; %bb.218:                              ;   in Loop: Header=BB10_145 Depth=1
	s_mov_b32 s0, 0
.LBB10_219:                             ;   Parent Loop BB10_145 Depth=1
                                        ; =>  This Inner Loop Header: Depth=2
	s_sleep 1
	global_store_b64 v[2:3], v[15:16], off
	s_waitcnt_vscnt null, 0x0
	global_atomic_cmpswap_b64 v[8:9], v10, v[13:16], s[2:3] offset:24 glc
	s_waitcnt vmcnt(0)
	v_cmp_eq_u64_e32 vcc_lo, v[8:9], v[15:16]
	v_dual_mov_b32 v16, v9 :: v_dual_mov_b32 v15, v8
	s_or_b32 s0, vcc_lo, s0
	s_delay_alu instid0(SALU_CYCLE_1)
	s_and_not1_b32 exec_lo, exec_lo, s0
	s_cbranch_execnz .LBB10_219
	s_branch .LBB10_144
.LBB10_220:
                                        ; implicit-def: $vgpr6_vgpr7
	s_cbranch_execnz .LBB10_222
	s_branch .LBB10_249
.LBB10_221:
	s_branch .LBB10_249
.LBB10_222:
	v_readfirstlane_b32 s0, v35
	v_mov_b32_e32 v10, 0
	v_mov_b32_e32 v11, 0
	s_delay_alu instid0(VALU_DEP_3) | instskip(NEXT) | instid1(VALU_DEP_1)
	v_cmp_eq_u32_e64 s0, s0, v35
	s_and_saveexec_b32 s1, s0
	s_cbranch_execz .LBB10_228
; %bb.223:
	s_waitcnt vmcnt(0)
	v_mov_b32_e32 v2, 0
	s_mov_b32 s4, exec_lo
	global_load_b64 v[8:9], v2, s[2:3] offset:24 glc
	s_waitcnt vmcnt(0)
	buffer_gl1_inv
	buffer_gl0_inv
	s_clause 0x1
	global_load_b64 v[6:7], v2, s[2:3] offset:40
	global_load_b64 v[10:11], v2, s[2:3]
	s_waitcnt vmcnt(1)
	v_and_b32_e32 v3, v7, v9
	v_and_b32_e32 v6, v6, v8
	s_delay_alu instid0(VALU_DEP_2) | instskip(NEXT) | instid1(VALU_DEP_2)
	v_mul_lo_u32 v3, v3, 24
	v_mul_hi_u32 v7, v6, 24
	v_mul_lo_u32 v6, v6, 24
	s_delay_alu instid0(VALU_DEP_2) | instskip(SKIP_1) | instid1(VALU_DEP_2)
	v_add_nc_u32_e32 v3, v7, v3
	s_waitcnt vmcnt(0)
	v_add_co_u32 v6, vcc_lo, v10, v6
	s_delay_alu instid0(VALU_DEP_2)
	v_add_co_ci_u32_e32 v7, vcc_lo, v11, v3, vcc_lo
	global_load_b64 v[6:7], v[6:7], off glc
	s_waitcnt vmcnt(0)
	global_atomic_cmpswap_b64 v[10:11], v2, v[6:9], s[2:3] offset:24 glc
	s_waitcnt vmcnt(0)
	buffer_gl1_inv
	buffer_gl0_inv
	v_cmpx_ne_u64_e64 v[10:11], v[8:9]
	s_cbranch_execz .LBB10_227
; %bb.224:
	s_mov_b32 s5, 0
	.p2align	6
.LBB10_225:                             ; =>This Inner Loop Header: Depth=1
	s_sleep 1
	s_clause 0x1
	global_load_b64 v[6:7], v2, s[2:3] offset:40
	global_load_b64 v[12:13], v2, s[2:3]
	v_dual_mov_b32 v8, v10 :: v_dual_mov_b32 v9, v11
	s_waitcnt vmcnt(1)
	s_delay_alu instid0(VALU_DEP_1) | instskip(SKIP_1) | instid1(VALU_DEP_1)
	v_and_b32_e32 v3, v6, v8
	s_waitcnt vmcnt(0)
	v_mad_u64_u32 v[10:11], null, v3, 24, v[12:13]
	v_and_b32_e32 v12, v7, v9
	s_delay_alu instid0(VALU_DEP_2) | instskip(NEXT) | instid1(VALU_DEP_1)
	v_mov_b32_e32 v3, v11
	v_mad_u64_u32 v[6:7], null, v12, 24, v[3:4]
	s_delay_alu instid0(VALU_DEP_1)
	v_mov_b32_e32 v11, v6
	global_load_b64 v[6:7], v[10:11], off glc
	s_waitcnt vmcnt(0)
	global_atomic_cmpswap_b64 v[10:11], v2, v[6:9], s[2:3] offset:24 glc
	s_waitcnt vmcnt(0)
	buffer_gl1_inv
	buffer_gl0_inv
	v_cmp_eq_u64_e32 vcc_lo, v[10:11], v[8:9]
	s_or_b32 s5, vcc_lo, s5
	s_delay_alu instid0(SALU_CYCLE_1)
	s_and_not1_b32 exec_lo, exec_lo, s5
	s_cbranch_execnz .LBB10_225
; %bb.226:
	s_or_b32 exec_lo, exec_lo, s5
.LBB10_227:
	s_delay_alu instid0(SALU_CYCLE_1)
	s_or_b32 exec_lo, exec_lo, s4
.LBB10_228:
	s_delay_alu instid0(SALU_CYCLE_1)
	s_or_b32 exec_lo, exec_lo, s1
	s_waitcnt vmcnt(0)
	v_mov_b32_e32 v2, 0
	v_readfirstlane_b32 s4, v10
	v_readfirstlane_b32 s5, v11
	s_mov_b32 s1, exec_lo
	s_clause 0x1
	global_load_b64 v[12:13], v2, s[2:3] offset:40
	global_load_b128 v[6:9], v2, s[2:3]
	s_waitcnt vmcnt(1)
	v_readfirstlane_b32 s6, v12
	v_readfirstlane_b32 s7, v13
	s_delay_alu instid0(VALU_DEP_1) | instskip(NEXT) | instid1(SALU_CYCLE_1)
	s_and_b64 s[6:7], s[4:5], s[6:7]
	s_mul_i32 s10, s7, 24
	s_mul_hi_u32 s11, s6, 24
	s_mul_i32 s12, s6, 24
	s_add_i32 s11, s11, s10
	s_waitcnt vmcnt(0)
	v_add_co_u32 v10, vcc_lo, v6, s12
	v_add_co_ci_u32_e32 v11, vcc_lo, s11, v7, vcc_lo
	s_and_saveexec_b32 s10, s0
	s_cbranch_execz .LBB10_230
; %bb.229:
	v_dual_mov_b32 v12, s1 :: v_dual_mov_b32 v13, v2
	v_dual_mov_b32 v14, 2 :: v_dual_mov_b32 v15, 1
	global_store_b128 v[10:11], v[12:15], off offset:8
.LBB10_230:
	s_or_b32 exec_lo, exec_lo, s10
	s_lshl_b64 s[6:7], s[6:7], 12
	s_mov_b32 s12, 0
	v_add_co_u32 v8, vcc_lo, v8, s6
	v_add_co_ci_u32_e32 v9, vcc_lo, s7, v9, vcc_lo
	s_mov_b32 s13, s12
	s_delay_alu instid0(VALU_DEP_2)
	v_readfirstlane_b32 s6, v8
	v_add_co_u32 v8, vcc_lo, v8, v34
	s_mov_b32 s14, s12
	s_mov_b32 s15, s12
	v_and_or_b32 v0, 0xffffff1f, v0, 32
	v_dual_mov_b32 v3, v2 :: v_dual_mov_b32 v12, s12
	v_readfirstlane_b32 s7, v9
	v_add_co_ci_u32_e32 v9, vcc_lo, 0, v9, vcc_lo
	v_dual_mov_b32 v13, s13 :: v_dual_mov_b32 v14, s14
	v_mov_b32_e32 v15, s15
	s_clause 0x3
	global_store_b128 v34, v[0:3], s[6:7]
	global_store_b128 v34, v[12:15], s[6:7] offset:16
	global_store_b128 v34, v[12:15], s[6:7] offset:32
	;; [unrolled: 1-line block ×3, first 2 shown]
	s_and_saveexec_b32 s1, s0
	s_cbranch_execz .LBB10_238
; %bb.231:
	v_dual_mov_b32 v12, 0 :: v_dual_mov_b32 v13, s4
	v_mov_b32_e32 v14, s5
	s_clause 0x1
	global_load_b64 v[15:16], v12, s[2:3] offset:32 glc
	global_load_b64 v[0:1], v12, s[2:3] offset:40
	s_waitcnt vmcnt(0)
	v_readfirstlane_b32 s6, v0
	v_readfirstlane_b32 s7, v1
	s_delay_alu instid0(VALU_DEP_1) | instskip(NEXT) | instid1(SALU_CYCLE_1)
	s_and_b64 s[6:7], s[6:7], s[4:5]
	s_mul_i32 s7, s7, 24
	s_mul_hi_u32 s10, s6, 24
	s_mul_i32 s6, s6, 24
	s_add_i32 s10, s10, s7
	v_add_co_u32 v6, vcc_lo, v6, s6
	v_add_co_ci_u32_e32 v7, vcc_lo, s10, v7, vcc_lo
	s_mov_b32 s6, exec_lo
	global_store_b64 v[6:7], v[15:16], off
	s_waitcnt_vscnt null, 0x0
	global_atomic_cmpswap_b64 v[2:3], v12, v[13:16], s[2:3] offset:32 glc
	s_waitcnt vmcnt(0)
	v_cmpx_ne_u64_e64 v[2:3], v[15:16]
	s_cbranch_execz .LBB10_234
; %bb.232:
	s_mov_b32 s7, 0
.LBB10_233:                             ; =>This Inner Loop Header: Depth=1
	v_dual_mov_b32 v0, s4 :: v_dual_mov_b32 v1, s5
	s_sleep 1
	global_store_b64 v[6:7], v[2:3], off
	s_waitcnt_vscnt null, 0x0
	global_atomic_cmpswap_b64 v[0:1], v12, v[0:3], s[2:3] offset:32 glc
	s_waitcnt vmcnt(0)
	v_cmp_eq_u64_e32 vcc_lo, v[0:1], v[2:3]
	v_dual_mov_b32 v3, v1 :: v_dual_mov_b32 v2, v0
	s_or_b32 s7, vcc_lo, s7
	s_delay_alu instid0(SALU_CYCLE_1)
	s_and_not1_b32 exec_lo, exec_lo, s7
	s_cbranch_execnz .LBB10_233
.LBB10_234:
	s_or_b32 exec_lo, exec_lo, s6
	v_mov_b32_e32 v3, 0
	s_mov_b32 s7, exec_lo
	s_mov_b32 s6, exec_lo
	v_mbcnt_lo_u32_b32 v2, s7, 0
	global_load_b64 v[0:1], v3, s[2:3] offset:16
	v_cmpx_eq_u32_e32 0, v2
	s_cbranch_execz .LBB10_236
; %bb.235:
	s_bcnt1_i32_b32 s7, s7
	s_delay_alu instid0(SALU_CYCLE_1)
	v_mov_b32_e32 v2, s7
	s_waitcnt vmcnt(0)
	global_atomic_add_u64 v[0:1], v[2:3], off offset:8
.LBB10_236:
	s_or_b32 exec_lo, exec_lo, s6
	s_waitcnt vmcnt(0)
	global_load_b64 v[2:3], v[0:1], off offset:16
	s_waitcnt vmcnt(0)
	v_cmp_eq_u64_e32 vcc_lo, 0, v[2:3]
	s_cbranch_vccnz .LBB10_238
; %bb.237:
	global_load_b32 v0, v[0:1], off offset:24
	s_waitcnt vmcnt(0)
	v_dual_mov_b32 v1, 0 :: v_dual_and_b32 v6, 0xffffff, v0
	s_waitcnt_vscnt null, 0x0
	global_store_b64 v[2:3], v[0:1], off
	v_readfirstlane_b32 m0, v6
	s_sendmsg sendmsg(MSG_INTERRUPT)
.LBB10_238:
	s_or_b32 exec_lo, exec_lo, s1
	s_branch .LBB10_242
	.p2align	6
.LBB10_239:                             ;   in Loop: Header=BB10_242 Depth=1
	s_or_b32 exec_lo, exec_lo, s1
	s_delay_alu instid0(VALU_DEP_1) | instskip(NEXT) | instid1(VALU_DEP_1)
	v_readfirstlane_b32 s1, v0
	s_cmp_eq_u32 s1, 0
	s_cbranch_scc1 .LBB10_241
; %bb.240:                              ;   in Loop: Header=BB10_242 Depth=1
	s_sleep 1
	s_cbranch_execnz .LBB10_242
	s_branch .LBB10_244
	.p2align	6
.LBB10_241:
	s_branch .LBB10_244
.LBB10_242:                             ; =>This Inner Loop Header: Depth=1
	v_mov_b32_e32 v0, 1
	s_and_saveexec_b32 s1, s0
	s_cbranch_execz .LBB10_239
; %bb.243:                              ;   in Loop: Header=BB10_242 Depth=1
	global_load_b32 v0, v[10:11], off offset:20 glc
	s_waitcnt vmcnt(0)
	buffer_gl1_inv
	buffer_gl0_inv
	v_and_b32_e32 v0, 1, v0
	s_branch .LBB10_239
.LBB10_244:
	global_load_b64 v[6:7], v[8:9], off
	s_and_saveexec_b32 s1, s0
	s_cbranch_execz .LBB10_248
; %bb.245:
	v_mov_b32_e32 v10, 0
	s_clause 0x2
	global_load_b64 v[2:3], v10, s[2:3] offset:40
	global_load_b64 v[11:12], v10, s[2:3] offset:24 glc
	global_load_b64 v[8:9], v10, s[2:3]
	s_waitcnt vmcnt(2)
	v_add_co_u32 v13, vcc_lo, v2, 1
	v_add_co_ci_u32_e32 v14, vcc_lo, 0, v3, vcc_lo
	s_delay_alu instid0(VALU_DEP_2) | instskip(NEXT) | instid1(VALU_DEP_2)
	v_add_co_u32 v0, vcc_lo, v13, s4
	v_add_co_ci_u32_e32 v1, vcc_lo, s5, v14, vcc_lo
	s_delay_alu instid0(VALU_DEP_1) | instskip(SKIP_1) | instid1(VALU_DEP_1)
	v_cmp_eq_u64_e32 vcc_lo, 0, v[0:1]
	v_dual_cndmask_b32 v1, v1, v14 :: v_dual_cndmask_b32 v0, v0, v13
	v_and_b32_e32 v3, v1, v3
	s_delay_alu instid0(VALU_DEP_2) | instskip(NEXT) | instid1(VALU_DEP_2)
	v_and_b32_e32 v2, v0, v2
	v_mul_lo_u32 v3, v3, 24
	s_delay_alu instid0(VALU_DEP_2) | instskip(SKIP_1) | instid1(VALU_DEP_2)
	v_mul_hi_u32 v13, v2, 24
	v_mul_lo_u32 v2, v2, 24
	v_add_nc_u32_e32 v3, v13, v3
	s_waitcnt vmcnt(0)
	s_delay_alu instid0(VALU_DEP_2) | instskip(SKIP_1) | instid1(VALU_DEP_3)
	v_add_co_u32 v8, vcc_lo, v8, v2
	v_mov_b32_e32 v2, v11
	v_add_co_ci_u32_e32 v9, vcc_lo, v9, v3, vcc_lo
	v_mov_b32_e32 v3, v12
	global_store_b64 v[8:9], v[11:12], off
	s_waitcnt_vscnt null, 0x0
	global_atomic_cmpswap_b64 v[2:3], v10, v[0:3], s[2:3] offset:24 glc
	s_waitcnt vmcnt(0)
	v_cmp_ne_u64_e32 vcc_lo, v[2:3], v[11:12]
	s_and_b32 exec_lo, exec_lo, vcc_lo
	s_cbranch_execz .LBB10_248
; %bb.246:
	s_mov_b32 s0, 0
.LBB10_247:                             ; =>This Inner Loop Header: Depth=1
	s_sleep 1
	global_store_b64 v[8:9], v[2:3], off
	s_waitcnt_vscnt null, 0x0
	global_atomic_cmpswap_b64 v[11:12], v10, v[0:3], s[2:3] offset:24 glc
	s_waitcnt vmcnt(0)
	v_cmp_eq_u64_e32 vcc_lo, v[11:12], v[2:3]
	v_dual_mov_b32 v2, v11 :: v_dual_mov_b32 v3, v12
	s_or_b32 s0, vcc_lo, s0
	s_delay_alu instid0(SALU_CYCLE_1)
	s_and_not1_b32 exec_lo, exec_lo, s0
	s_cbranch_execnz .LBB10_247
.LBB10_248:
	s_or_b32 exec_lo, exec_lo, s1
.LBB10_249:
	v_readfirstlane_b32 s0, v35
	v_mov_b32_e32 v10, 0
	v_mov_b32_e32 v11, 0
	s_delay_alu instid0(VALU_DEP_3) | instskip(NEXT) | instid1(VALU_DEP_1)
	v_cmp_eq_u32_e64 s0, s0, v35
	s_and_saveexec_b32 s1, s0
	s_cbranch_execz .LBB10_255
; %bb.250:
	s_waitcnt vmcnt(0)
	v_mov_b32_e32 v0, 0
	s_mov_b32 s4, exec_lo
	global_load_b64 v[12:13], v0, s[2:3] offset:24 glc
	s_waitcnt vmcnt(0)
	buffer_gl1_inv
	buffer_gl0_inv
	s_clause 0x1
	global_load_b64 v[1:2], v0, s[2:3] offset:40
	global_load_b64 v[8:9], v0, s[2:3]
	s_waitcnt vmcnt(1)
	v_and_b32_e32 v1, v1, v12
	v_and_b32_e32 v2, v2, v13
	s_delay_alu instid0(VALU_DEP_2) | instskip(NEXT) | instid1(VALU_DEP_2)
	v_mul_hi_u32 v3, v1, 24
	v_mul_lo_u32 v2, v2, 24
	v_mul_lo_u32 v1, v1, 24
	s_delay_alu instid0(VALU_DEP_2) | instskip(SKIP_1) | instid1(VALU_DEP_2)
	v_add_nc_u32_e32 v2, v3, v2
	s_waitcnt vmcnt(0)
	v_add_co_u32 v1, vcc_lo, v8, v1
	s_delay_alu instid0(VALU_DEP_2)
	v_add_co_ci_u32_e32 v2, vcc_lo, v9, v2, vcc_lo
	global_load_b64 v[10:11], v[1:2], off glc
	s_waitcnt vmcnt(0)
	global_atomic_cmpswap_b64 v[10:11], v0, v[10:13], s[2:3] offset:24 glc
	s_waitcnt vmcnt(0)
	buffer_gl1_inv
	buffer_gl0_inv
	v_cmpx_ne_u64_e64 v[10:11], v[12:13]
	s_cbranch_execz .LBB10_254
; %bb.251:
	s_mov_b32 s5, 0
	.p2align	6
.LBB10_252:                             ; =>This Inner Loop Header: Depth=1
	s_sleep 1
	s_clause 0x1
	global_load_b64 v[1:2], v0, s[2:3] offset:40
	global_load_b64 v[8:9], v0, s[2:3]
	v_dual_mov_b32 v13, v11 :: v_dual_mov_b32 v12, v10
	s_waitcnt vmcnt(1)
	s_delay_alu instid0(VALU_DEP_1) | instskip(SKIP_1) | instid1(VALU_DEP_1)
	v_and_b32_e32 v1, v1, v12
	s_waitcnt vmcnt(0)
	v_mad_u64_u32 v[10:11], null, v1, 24, v[8:9]
	s_delay_alu instid0(VALU_DEP_1) | instskip(NEXT) | instid1(VALU_DEP_1)
	v_dual_mov_b32 v1, v11 :: v_dual_and_b32 v8, v2, v13
	v_mad_u64_u32 v[2:3], null, v8, 24, v[1:2]
	s_delay_alu instid0(VALU_DEP_1)
	v_mov_b32_e32 v11, v2
	global_load_b64 v[10:11], v[10:11], off glc
	s_waitcnt vmcnt(0)
	global_atomic_cmpswap_b64 v[10:11], v0, v[10:13], s[2:3] offset:24 glc
	s_waitcnt vmcnt(0)
	buffer_gl1_inv
	buffer_gl0_inv
	v_cmp_eq_u64_e32 vcc_lo, v[10:11], v[12:13]
	s_or_b32 s5, vcc_lo, s5
	s_delay_alu instid0(SALU_CYCLE_1)
	s_and_not1_b32 exec_lo, exec_lo, s5
	s_cbranch_execnz .LBB10_252
; %bb.253:
	s_or_b32 exec_lo, exec_lo, s5
.LBB10_254:
	s_delay_alu instid0(SALU_CYCLE_1)
	s_or_b32 exec_lo, exec_lo, s4
.LBB10_255:
	s_delay_alu instid0(SALU_CYCLE_1)
	s_or_b32 exec_lo, exec_lo, s1
	s_waitcnt vmcnt(0)
	v_mov_b32_e32 v9, 0
	v_readfirstlane_b32 s4, v10
	v_readfirstlane_b32 s5, v11
	s_mov_b32 s1, exec_lo
	s_clause 0x1
	global_load_b64 v[12:13], v9, s[2:3] offset:40
	global_load_b128 v[0:3], v9, s[2:3]
	s_waitcnt vmcnt(1)
	v_readfirstlane_b32 s6, v12
	v_readfirstlane_b32 s7, v13
	s_delay_alu instid0(VALU_DEP_1) | instskip(NEXT) | instid1(SALU_CYCLE_1)
	s_and_b64 s[6:7], s[4:5], s[6:7]
	s_mul_i32 s10, s7, 24
	s_mul_hi_u32 s11, s6, 24
	s_mul_i32 s12, s6, 24
	s_add_i32 s11, s11, s10
	s_waitcnt vmcnt(0)
	v_add_co_u32 v10, vcc_lo, v0, s12
	v_add_co_ci_u32_e32 v11, vcc_lo, s11, v1, vcc_lo
	s_and_saveexec_b32 s10, s0
	s_cbranch_execz .LBB10_257
; %bb.256:
	v_dual_mov_b32 v8, s1 :: v_dual_mov_b32 v15, 1
	v_dual_mov_b32 v14, 2 :: v_dual_mov_b32 v13, v9
	s_delay_alu instid0(VALU_DEP_2)
	v_mov_b32_e32 v12, v8
	global_store_b128 v[10:11], v[12:15], off offset:8
.LBB10_257:
	s_or_b32 exec_lo, exec_lo, s10
	s_lshl_b64 s[6:7], s[6:7], 12
	s_mov_b32 s12, 0
	v_add_co_u32 v2, vcc_lo, v2, s6
	v_add_co_ci_u32_e32 v3, vcc_lo, s7, v3, vcc_lo
	s_mov_b32 s15, s12
	s_delay_alu instid0(VALU_DEP_2)
	v_add_co_u32 v12, vcc_lo, v2, v34
	s_mov_b32 s13, s12
	s_mov_b32 s14, s12
	v_and_or_b32 v6, 0xffffff1f, v6, 32
	v_dual_mov_b32 v8, 0x385 :: v_dual_mov_b32 v17, s15
	v_readfirstlane_b32 s6, v2
	v_readfirstlane_b32 s7, v3
	v_add_co_ci_u32_e32 v13, vcc_lo, 0, v3, vcc_lo
	v_dual_mov_b32 v16, s14 :: v_dual_mov_b32 v15, s13
	v_mov_b32_e32 v14, s12
	s_clause 0x3
	global_store_b128 v34, v[6:9], s[6:7]
	global_store_b128 v34, v[14:17], s[6:7] offset:16
	global_store_b128 v34, v[14:17], s[6:7] offset:32
	;; [unrolled: 1-line block ×3, first 2 shown]
	s_and_saveexec_b32 s1, s0
	s_cbranch_execz .LBB10_265
; %bb.258:
	v_dual_mov_b32 v8, 0 :: v_dual_mov_b32 v15, s5
	v_mov_b32_e32 v14, s4
	s_clause 0x1
	global_load_b64 v[16:17], v8, s[2:3] offset:32 glc
	global_load_b64 v[2:3], v8, s[2:3] offset:40
	s_waitcnt vmcnt(0)
	v_readfirstlane_b32 s6, v2
	v_readfirstlane_b32 s7, v3
	s_delay_alu instid0(VALU_DEP_1) | instskip(NEXT) | instid1(SALU_CYCLE_1)
	s_and_b64 s[6:7], s[6:7], s[4:5]
	s_mul_i32 s7, s7, 24
	s_mul_hi_u32 s10, s6, 24
	s_mul_i32 s6, s6, 24
	s_add_i32 s10, s10, s7
	v_add_co_u32 v6, vcc_lo, v0, s6
	v_add_co_ci_u32_e32 v7, vcc_lo, s10, v1, vcc_lo
	s_mov_b32 s6, exec_lo
	global_store_b64 v[6:7], v[16:17], off
	s_waitcnt_vscnt null, 0x0
	global_atomic_cmpswap_b64 v[2:3], v8, v[14:17], s[2:3] offset:32 glc
	s_waitcnt vmcnt(0)
	v_cmpx_ne_u64_e64 v[2:3], v[16:17]
	s_cbranch_execz .LBB10_261
; %bb.259:
	s_mov_b32 s7, 0
.LBB10_260:                             ; =>This Inner Loop Header: Depth=1
	v_dual_mov_b32 v0, s4 :: v_dual_mov_b32 v1, s5
	s_sleep 1
	global_store_b64 v[6:7], v[2:3], off
	s_waitcnt_vscnt null, 0x0
	global_atomic_cmpswap_b64 v[0:1], v8, v[0:3], s[2:3] offset:32 glc
	s_waitcnt vmcnt(0)
	v_cmp_eq_u64_e32 vcc_lo, v[0:1], v[2:3]
	v_dual_mov_b32 v3, v1 :: v_dual_mov_b32 v2, v0
	s_or_b32 s7, vcc_lo, s7
	s_delay_alu instid0(SALU_CYCLE_1)
	s_and_not1_b32 exec_lo, exec_lo, s7
	s_cbranch_execnz .LBB10_260
.LBB10_261:
	s_or_b32 exec_lo, exec_lo, s6
	v_mov_b32_e32 v3, 0
	s_mov_b32 s7, exec_lo
	s_mov_b32 s6, exec_lo
	v_mbcnt_lo_u32_b32 v2, s7, 0
	global_load_b64 v[0:1], v3, s[2:3] offset:16
	v_cmpx_eq_u32_e32 0, v2
	s_cbranch_execz .LBB10_263
; %bb.262:
	s_bcnt1_i32_b32 s7, s7
	s_delay_alu instid0(SALU_CYCLE_1)
	v_mov_b32_e32 v2, s7
	s_waitcnt vmcnt(0)
	global_atomic_add_u64 v[0:1], v[2:3], off offset:8
.LBB10_263:
	s_or_b32 exec_lo, exec_lo, s6
	s_waitcnt vmcnt(0)
	global_load_b64 v[2:3], v[0:1], off offset:16
	s_waitcnt vmcnt(0)
	v_cmp_eq_u64_e32 vcc_lo, 0, v[2:3]
	s_cbranch_vccnz .LBB10_265
; %bb.264:
	global_load_b32 v0, v[0:1], off offset:24
	s_waitcnt vmcnt(0)
	v_dual_mov_b32 v1, 0 :: v_dual_and_b32 v6, 0xffffff, v0
	s_waitcnt_vscnt null, 0x0
	global_store_b64 v[2:3], v[0:1], off
	v_readfirstlane_b32 m0, v6
	s_sendmsg sendmsg(MSG_INTERRUPT)
.LBB10_265:
	s_or_b32 exec_lo, exec_lo, s1
	s_branch .LBB10_269
	.p2align	6
.LBB10_266:                             ;   in Loop: Header=BB10_269 Depth=1
	s_or_b32 exec_lo, exec_lo, s1
	s_delay_alu instid0(VALU_DEP_1) | instskip(NEXT) | instid1(VALU_DEP_1)
	v_readfirstlane_b32 s1, v0
	s_cmp_eq_u32 s1, 0
	s_cbranch_scc1 .LBB10_268
; %bb.267:                              ;   in Loop: Header=BB10_269 Depth=1
	s_sleep 1
	s_cbranch_execnz .LBB10_269
	s_branch .LBB10_271
	.p2align	6
.LBB10_268:
	s_branch .LBB10_271
.LBB10_269:                             ; =>This Inner Loop Header: Depth=1
	v_mov_b32_e32 v0, 1
	s_and_saveexec_b32 s1, s0
	s_cbranch_execz .LBB10_266
; %bb.270:                              ;   in Loop: Header=BB10_269 Depth=1
	global_load_b32 v0, v[10:11], off offset:20 glc
	s_waitcnt vmcnt(0)
	buffer_gl1_inv
	buffer_gl0_inv
	v_and_b32_e32 v0, 1, v0
	s_branch .LBB10_266
.LBB10_271:
	global_load_b64 v[0:1], v[12:13], off
	s_and_saveexec_b32 s1, s0
	s_cbranch_execz .LBB10_275
; %bb.272:
	v_mov_b32_e32 v10, 0
	s_clause 0x2
	global_load_b64 v[2:3], v10, s[2:3] offset:40
	global_load_b64 v[11:12], v10, s[2:3] offset:24 glc
	global_load_b64 v[8:9], v10, s[2:3]
	s_waitcnt vmcnt(2)
	v_add_co_u32 v13, vcc_lo, v2, 1
	v_add_co_ci_u32_e32 v14, vcc_lo, 0, v3, vcc_lo
	s_delay_alu instid0(VALU_DEP_2) | instskip(NEXT) | instid1(VALU_DEP_2)
	v_add_co_u32 v6, vcc_lo, v13, s4
	v_add_co_ci_u32_e32 v7, vcc_lo, s5, v14, vcc_lo
	s_delay_alu instid0(VALU_DEP_1) | instskip(SKIP_1) | instid1(VALU_DEP_1)
	v_cmp_eq_u64_e32 vcc_lo, 0, v[6:7]
	v_dual_cndmask_b32 v7, v7, v14 :: v_dual_cndmask_b32 v6, v6, v13
	v_and_b32_e32 v3, v7, v3
	s_delay_alu instid0(VALU_DEP_2) | instskip(NEXT) | instid1(VALU_DEP_2)
	v_and_b32_e32 v2, v6, v2
	v_mul_lo_u32 v3, v3, 24
	s_delay_alu instid0(VALU_DEP_2) | instskip(SKIP_1) | instid1(VALU_DEP_2)
	v_mul_hi_u32 v13, v2, 24
	v_mul_lo_u32 v2, v2, 24
	v_add_nc_u32_e32 v3, v13, v3
	s_waitcnt vmcnt(0)
	s_delay_alu instid0(VALU_DEP_2) | instskip(SKIP_1) | instid1(VALU_DEP_3)
	v_add_co_u32 v2, vcc_lo, v8, v2
	v_mov_b32_e32 v8, v11
	v_add_co_ci_u32_e32 v3, vcc_lo, v9, v3, vcc_lo
	v_mov_b32_e32 v9, v12
	global_store_b64 v[2:3], v[11:12], off
	s_waitcnt_vscnt null, 0x0
	global_atomic_cmpswap_b64 v[8:9], v10, v[6:9], s[2:3] offset:24 glc
	s_waitcnt vmcnt(0)
	v_cmp_ne_u64_e32 vcc_lo, v[8:9], v[11:12]
	s_and_b32 exec_lo, exec_lo, vcc_lo
	s_cbranch_execz .LBB10_275
; %bb.273:
	s_mov_b32 s0, 0
.LBB10_274:                             ; =>This Inner Loop Header: Depth=1
	s_sleep 1
	global_store_b64 v[2:3], v[8:9], off
	s_waitcnt_vscnt null, 0x0
	global_atomic_cmpswap_b64 v[11:12], v10, v[6:9], s[2:3] offset:24 glc
	s_waitcnt vmcnt(0)
	v_cmp_eq_u64_e32 vcc_lo, v[11:12], v[8:9]
	v_dual_mov_b32 v8, v11 :: v_dual_mov_b32 v9, v12
	s_or_b32 s0, vcc_lo, s0
	s_delay_alu instid0(SALU_CYCLE_1)
	s_and_not1_b32 exec_lo, exec_lo, s0
	s_cbranch_execnz .LBB10_274
.LBB10_275:
	s_or_b32 exec_lo, exec_lo, s1
	v_dual_mov_b32 v7, v5 :: v_dual_mov_b32 v6, v4
	s_mov_b32 s0, 0
.LBB10_276:                             ; =>This Inner Loop Header: Depth=1
	flat_load_u8 v8, v[6:7]
	v_add_co_u32 v2, vcc_lo, v6, 1
	v_add_co_ci_u32_e32 v3, vcc_lo, 0, v7, vcc_lo
	s_delay_alu instid0(VALU_DEP_1) | instskip(SKIP_3) | instid1(SALU_CYCLE_1)
	v_dual_mov_b32 v7, v3 :: v_dual_mov_b32 v6, v2
	s_waitcnt vmcnt(0) lgkmcnt(0)
	v_cmp_eq_u16_e32 vcc_lo, 0, v8
	s_or_b32 s0, vcc_lo, s0
	s_and_not1_b32 exec_lo, exec_lo, s0
	s_cbranch_execnz .LBB10_276
; %bb.277:
	s_or_b32 exec_lo, exec_lo, s0
	s_delay_alu instid0(SALU_CYCLE_1)
	s_mov_b32 s0, exec_lo
	v_cmpx_ne_u64_e32 0, v[4:5]
	s_xor_b32 s10, exec_lo, s0
	s_cbranch_execz .LBB10_363
; %bb.278:
	v_sub_nc_u32_e32 v26, v2, v4
	v_dual_mov_b32 v7, 0 :: v_dual_and_b32 v32, 2, v0
	v_dual_mov_b32 v9, 1 :: v_dual_and_b32 v0, -3, v0
	v_mov_b32_e32 v8, 2
	s_delay_alu instid0(VALU_DEP_4)
	v_ashrrev_i32_e32 v27, 31, v26
	s_mov_b32 s12, 0
	s_mov_b32 s11, 0
	s_branch .LBB10_280
.LBB10_279:                             ;   in Loop: Header=BB10_280 Depth=1
	s_or_b32 exec_lo, exec_lo, s1
	v_sub_co_u32 v26, vcc_lo, v26, v28
	v_sub_co_ci_u32_e32 v27, vcc_lo, v27, v29, vcc_lo
	v_add_co_u32 v4, s0, v4, v28
	s_delay_alu instid0(VALU_DEP_1) | instskip(NEXT) | instid1(VALU_DEP_3)
	v_add_co_ci_u32_e64 v5, s0, v5, v29, s0
	v_cmp_eq_u64_e32 vcc_lo, 0, v[26:27]
	s_or_b32 s11, vcc_lo, s11
	s_delay_alu instid0(SALU_CYCLE_1)
	s_and_not1_b32 exec_lo, exec_lo, s11
	s_cbranch_execz .LBB10_362
.LBB10_280:                             ; =>This Loop Header: Depth=1
                                        ;     Child Loop BB10_283 Depth 2
                                        ;     Child Loop BB10_291 Depth 2
	;; [unrolled: 1-line block ×11, first 2 shown]
	s_delay_alu instid0(VALU_DEP_1)
	v_cmp_gt_u64_e32 vcc_lo, 56, v[26:27]
	s_mov_b32 s1, exec_lo
                                        ; implicit-def: $vgpr2_vgpr3
                                        ; implicit-def: $sgpr4
	v_dual_cndmask_b32 v29, 0, v27 :: v_dual_cndmask_b32 v28, 56, v26
	v_cmpx_gt_u64_e32 8, v[26:27]
	s_xor_b32 s1, exec_lo, s1
	s_cbranch_execz .LBB10_286
; %bb.281:                              ;   in Loop: Header=BB10_280 Depth=1
	s_waitcnt vmcnt(0)
	v_mov_b32_e32 v2, 0
	v_mov_b32_e32 v3, 0
	s_mov_b64 s[4:5], 0
	s_mov_b32 s6, exec_lo
	v_cmpx_ne_u64_e32 0, v[26:27]
	s_cbranch_execz .LBB10_285
; %bb.282:                              ;   in Loop: Header=BB10_280 Depth=1
	v_lshlrev_b64 v[10:11], 3, v[28:29]
	v_mov_b32_e32 v2, 0
	v_dual_mov_b32 v3, 0 :: v_dual_mov_b32 v12, v5
	v_mov_b32_e32 v11, v4
	s_mov_b32 s7, 0
	.p2align	6
.LBB10_283:                             ;   Parent Loop BB10_280 Depth=1
                                        ; =>  This Inner Loop Header: Depth=2
	flat_load_u8 v6, v[11:12]
	v_mov_b32_e32 v14, s12
	v_add_co_u32 v11, vcc_lo, v11, 1
	v_add_co_ci_u32_e32 v12, vcc_lo, 0, v12, vcc_lo
	s_waitcnt vmcnt(0) lgkmcnt(0)
	v_and_b32_e32 v13, 0xffff, v6
	s_delay_alu instid0(VALU_DEP_1) | instskip(SKIP_3) | instid1(VALU_DEP_2)
	v_lshlrev_b64 v[13:14], s4, v[13:14]
	s_add_u32 s4, s4, 8
	s_addc_u32 s5, s5, 0
	v_cmp_eq_u32_e64 s0, s4, v10
	v_or_b32_e32 v3, v14, v3
	s_delay_alu instid0(VALU_DEP_3) | instskip(NEXT) | instid1(VALU_DEP_3)
	v_or_b32_e32 v2, v13, v2
	s_or_b32 s7, s0, s7
	s_delay_alu instid0(SALU_CYCLE_1)
	s_and_not1_b32 exec_lo, exec_lo, s7
	s_cbranch_execnz .LBB10_283
; %bb.284:                              ;   in Loop: Header=BB10_280 Depth=1
	s_or_b32 exec_lo, exec_lo, s7
.LBB10_285:                             ;   in Loop: Header=BB10_280 Depth=1
	s_delay_alu instid0(SALU_CYCLE_1)
	s_or_b32 exec_lo, exec_lo, s6
	s_mov_b32 s4, 0
.LBB10_286:                             ;   in Loop: Header=BB10_280 Depth=1
	s_or_saveexec_b32 s0, s1
	v_dual_mov_b32 v6, s4 :: v_dual_mov_b32 v23, v5
	v_mov_b32_e32 v22, v4
	s_xor_b32 exec_lo, exec_lo, s0
	s_cbranch_execz .LBB10_288
; %bb.287:                              ;   in Loop: Header=BB10_280 Depth=1
	s_waitcnt vmcnt(0)
	flat_load_b64 v[2:3], v[4:5]
	v_add_co_u32 v22, vcc_lo, v4, 8
	v_add_co_ci_u32_e32 v23, vcc_lo, 0, v5, vcc_lo
	s_waitcnt vmcnt(0) lgkmcnt(0)
	v_and_b32_e32 v6, 0xff, v3
	v_and_b32_e32 v10, 0xff00, v3
	;; [unrolled: 1-line block ×4, first 2 shown]
	v_or3_b32 v2, v2, 0, 0
	s_delay_alu instid0(VALU_DEP_4) | instskip(SKIP_1) | instid1(VALU_DEP_2)
	v_or_b32_e32 v10, v6, v10
	v_add_nc_u32_e32 v6, -8, v28
	v_or3_b32 v3, v10, v11, v3
.LBB10_288:                             ;   in Loop: Header=BB10_280 Depth=1
	s_or_b32 exec_lo, exec_lo, s0
                                        ; implicit-def: $vgpr10_vgpr11
                                        ; implicit-def: $sgpr1
	s_delay_alu instid0(SALU_CYCLE_1) | instskip(NEXT) | instid1(VALU_DEP_2)
	s_mov_b32 s0, exec_lo
	v_cmpx_gt_u32_e32 8, v6
	s_xor_b32 s6, exec_lo, s0
	s_cbranch_execz .LBB10_294
; %bb.289:                              ;   in Loop: Header=BB10_280 Depth=1
	v_mov_b32_e32 v10, 0
	v_mov_b32_e32 v11, 0
	s_mov_b32 s7, exec_lo
	v_cmpx_ne_u32_e32 0, v6
	s_cbranch_execz .LBB10_293
; %bb.290:                              ;   in Loop: Header=BB10_280 Depth=1
	v_mov_b32_e32 v10, 0
	v_mov_b32_e32 v11, 0
	s_mov_b64 s[0:1], 0
	s_mov_b32 s13, 0
	s_mov_b64 s[4:5], 0
	.p2align	6
.LBB10_291:                             ;   Parent Loop BB10_280 Depth=1
                                        ; =>  This Inner Loop Header: Depth=2
	s_delay_alu instid0(SALU_CYCLE_1)
	v_add_co_u32 v12, vcc_lo, v22, s4
	v_add_co_ci_u32_e32 v13, vcc_lo, s5, v23, vcc_lo
	s_add_u32 s4, s4, 1
	s_addc_u32 s5, s5, 0
	v_cmp_eq_u32_e32 vcc_lo, s4, v6
	flat_load_u8 v12, v[12:13]
	s_waitcnt vmcnt(0) lgkmcnt(0)
	v_dual_mov_b32 v13, s12 :: v_dual_and_b32 v12, 0xffff, v12
	s_delay_alu instid0(VALU_DEP_1) | instskip(SKIP_3) | instid1(VALU_DEP_1)
	v_lshlrev_b64 v[12:13], s0, v[12:13]
	s_add_u32 s0, s0, 8
	s_addc_u32 s1, s1, 0
	s_or_b32 s13, vcc_lo, s13
	v_or_b32_e32 v11, v13, v11
	s_delay_alu instid0(VALU_DEP_2)
	v_or_b32_e32 v10, v12, v10
	s_and_not1_b32 exec_lo, exec_lo, s13
	s_cbranch_execnz .LBB10_291
; %bb.292:                              ;   in Loop: Header=BB10_280 Depth=1
	s_or_b32 exec_lo, exec_lo, s13
.LBB10_293:                             ;   in Loop: Header=BB10_280 Depth=1
	s_delay_alu instid0(SALU_CYCLE_1)
	s_or_b32 exec_lo, exec_lo, s7
	s_mov_b32 s1, 0
                                        ; implicit-def: $vgpr6
.LBB10_294:                             ;   in Loop: Header=BB10_280 Depth=1
	s_or_saveexec_b32 s0, s6
	v_mov_b32_e32 v14, s1
	s_xor_b32 exec_lo, exec_lo, s0
	s_cbranch_execz .LBB10_296
; %bb.295:                              ;   in Loop: Header=BB10_280 Depth=1
	flat_load_b64 v[10:11], v[22:23]
	v_add_co_u32 v22, vcc_lo, v22, 8
	v_add_nc_u32_e32 v14, -8, v6
	v_add_co_ci_u32_e32 v23, vcc_lo, 0, v23, vcc_lo
	s_waitcnt vmcnt(0) lgkmcnt(0)
	v_and_b32_e32 v12, 0xff, v11
	v_and_b32_e32 v13, 0xff00, v11
	;; [unrolled: 1-line block ×4, first 2 shown]
	v_or3_b32 v10, v10, 0, 0
	s_delay_alu instid0(VALU_DEP_4) | instskip(NEXT) | instid1(VALU_DEP_1)
	v_or_b32_e32 v12, v12, v13
	v_or3_b32 v11, v12, v15, v11
.LBB10_296:                             ;   in Loop: Header=BB10_280 Depth=1
	s_or_b32 exec_lo, exec_lo, s0
                                        ; implicit-def: $sgpr1
	s_delay_alu instid0(SALU_CYCLE_1)
	s_mov_b32 s0, exec_lo
	v_cmpx_gt_u32_e32 8, v14
	s_xor_b32 s6, exec_lo, s0
	s_cbranch_execz .LBB10_302
; %bb.297:                              ;   in Loop: Header=BB10_280 Depth=1
	v_mov_b32_e32 v12, 0
	v_mov_b32_e32 v13, 0
	s_mov_b32 s7, exec_lo
	v_cmpx_ne_u32_e32 0, v14
	s_cbranch_execz .LBB10_301
; %bb.298:                              ;   in Loop: Header=BB10_280 Depth=1
	v_mov_b32_e32 v12, 0
	v_mov_b32_e32 v13, 0
	s_mov_b64 s[0:1], 0
	s_mov_b32 s13, 0
	s_mov_b64 s[4:5], 0
	.p2align	6
.LBB10_299:                             ;   Parent Loop BB10_280 Depth=1
                                        ; =>  This Inner Loop Header: Depth=2
	s_delay_alu instid0(SALU_CYCLE_1)
	v_add_co_u32 v15, vcc_lo, v22, s4
	v_add_co_ci_u32_e32 v16, vcc_lo, s5, v23, vcc_lo
	s_add_u32 s4, s4, 1
	s_addc_u32 s5, s5, 0
	v_cmp_eq_u32_e32 vcc_lo, s4, v14
	flat_load_u8 v6, v[15:16]
	s_waitcnt vmcnt(0) lgkmcnt(0)
	v_dual_mov_b32 v16, s12 :: v_dual_and_b32 v15, 0xffff, v6
	s_delay_alu instid0(VALU_DEP_1) | instskip(SKIP_3) | instid1(VALU_DEP_1)
	v_lshlrev_b64 v[15:16], s0, v[15:16]
	s_add_u32 s0, s0, 8
	s_addc_u32 s1, s1, 0
	s_or_b32 s13, vcc_lo, s13
	v_or_b32_e32 v13, v16, v13
	s_delay_alu instid0(VALU_DEP_2)
	v_or_b32_e32 v12, v15, v12
	s_and_not1_b32 exec_lo, exec_lo, s13
	s_cbranch_execnz .LBB10_299
; %bb.300:                              ;   in Loop: Header=BB10_280 Depth=1
	s_or_b32 exec_lo, exec_lo, s13
.LBB10_301:                             ;   in Loop: Header=BB10_280 Depth=1
	s_delay_alu instid0(SALU_CYCLE_1)
	s_or_b32 exec_lo, exec_lo, s7
	s_mov_b32 s1, 0
                                        ; implicit-def: $vgpr14
.LBB10_302:                             ;   in Loop: Header=BB10_280 Depth=1
	s_or_saveexec_b32 s0, s6
	v_mov_b32_e32 v6, s1
	s_xor_b32 exec_lo, exec_lo, s0
	s_cbranch_execz .LBB10_304
; %bb.303:                              ;   in Loop: Header=BB10_280 Depth=1
	flat_load_b64 v[12:13], v[22:23]
	v_add_co_u32 v22, vcc_lo, v22, 8
	v_add_co_ci_u32_e32 v23, vcc_lo, 0, v23, vcc_lo
	s_waitcnt vmcnt(0) lgkmcnt(0)
	v_and_b32_e32 v6, 0xff, v13
	v_and_b32_e32 v15, 0xff00, v13
	;; [unrolled: 1-line block ×4, first 2 shown]
	v_or3_b32 v12, v12, 0, 0
	s_delay_alu instid0(VALU_DEP_4) | instskip(SKIP_1) | instid1(VALU_DEP_2)
	v_or_b32_e32 v15, v6, v15
	v_add_nc_u32_e32 v6, -8, v14
	v_or3_b32 v13, v15, v16, v13
.LBB10_304:                             ;   in Loop: Header=BB10_280 Depth=1
	s_or_b32 exec_lo, exec_lo, s0
                                        ; implicit-def: $vgpr14_vgpr15
                                        ; implicit-def: $sgpr1
	s_delay_alu instid0(SALU_CYCLE_1) | instskip(NEXT) | instid1(VALU_DEP_1)
	s_mov_b32 s0, exec_lo
	v_cmpx_gt_u32_e32 8, v6
	s_xor_b32 s6, exec_lo, s0
	s_cbranch_execz .LBB10_310
; %bb.305:                              ;   in Loop: Header=BB10_280 Depth=1
	v_mov_b32_e32 v14, 0
	v_mov_b32_e32 v15, 0
	s_mov_b32 s7, exec_lo
	v_cmpx_ne_u32_e32 0, v6
	s_cbranch_execz .LBB10_309
; %bb.306:                              ;   in Loop: Header=BB10_280 Depth=1
	v_mov_b32_e32 v14, 0
	v_mov_b32_e32 v15, 0
	s_mov_b64 s[0:1], 0
	s_mov_b32 s13, 0
	s_mov_b64 s[4:5], 0
	.p2align	6
.LBB10_307:                             ;   Parent Loop BB10_280 Depth=1
                                        ; =>  This Inner Loop Header: Depth=2
	s_delay_alu instid0(SALU_CYCLE_1)
	v_add_co_u32 v16, vcc_lo, v22, s4
	v_add_co_ci_u32_e32 v17, vcc_lo, s5, v23, vcc_lo
	s_add_u32 s4, s4, 1
	s_addc_u32 s5, s5, 0
	v_cmp_eq_u32_e32 vcc_lo, s4, v6
	flat_load_u8 v16, v[16:17]
	s_waitcnt vmcnt(0) lgkmcnt(0)
	v_dual_mov_b32 v17, s12 :: v_dual_and_b32 v16, 0xffff, v16
	s_delay_alu instid0(VALU_DEP_1) | instskip(SKIP_3) | instid1(VALU_DEP_1)
	v_lshlrev_b64 v[16:17], s0, v[16:17]
	s_add_u32 s0, s0, 8
	s_addc_u32 s1, s1, 0
	s_or_b32 s13, vcc_lo, s13
	v_or_b32_e32 v15, v17, v15
	s_delay_alu instid0(VALU_DEP_2)
	v_or_b32_e32 v14, v16, v14
	s_and_not1_b32 exec_lo, exec_lo, s13
	s_cbranch_execnz .LBB10_307
; %bb.308:                              ;   in Loop: Header=BB10_280 Depth=1
	s_or_b32 exec_lo, exec_lo, s13
.LBB10_309:                             ;   in Loop: Header=BB10_280 Depth=1
	s_delay_alu instid0(SALU_CYCLE_1)
	s_or_b32 exec_lo, exec_lo, s7
	s_mov_b32 s1, 0
                                        ; implicit-def: $vgpr6
.LBB10_310:                             ;   in Loop: Header=BB10_280 Depth=1
	s_or_saveexec_b32 s0, s6
	v_mov_b32_e32 v18, s1
	s_xor_b32 exec_lo, exec_lo, s0
	s_cbranch_execz .LBB10_312
; %bb.311:                              ;   in Loop: Header=BB10_280 Depth=1
	flat_load_b64 v[14:15], v[22:23]
	v_add_co_u32 v22, vcc_lo, v22, 8
	v_add_nc_u32_e32 v18, -8, v6
	v_add_co_ci_u32_e32 v23, vcc_lo, 0, v23, vcc_lo
	s_waitcnt vmcnt(0) lgkmcnt(0)
	v_and_b32_e32 v16, 0xff, v15
	v_and_b32_e32 v17, 0xff00, v15
	v_and_b32_e32 v19, 0xff0000, v15
	v_and_b32_e32 v15, 0xff000000, v15
	v_or3_b32 v14, v14, 0, 0
	s_delay_alu instid0(VALU_DEP_4) | instskip(NEXT) | instid1(VALU_DEP_1)
	v_or_b32_e32 v16, v16, v17
	v_or3_b32 v15, v16, v19, v15
.LBB10_312:                             ;   in Loop: Header=BB10_280 Depth=1
	s_or_b32 exec_lo, exec_lo, s0
                                        ; implicit-def: $sgpr1
	s_delay_alu instid0(SALU_CYCLE_1)
	s_mov_b32 s0, exec_lo
	v_cmpx_gt_u32_e32 8, v18
	s_xor_b32 s6, exec_lo, s0
	s_cbranch_execz .LBB10_318
; %bb.313:                              ;   in Loop: Header=BB10_280 Depth=1
	v_mov_b32_e32 v16, 0
	v_mov_b32_e32 v17, 0
	s_mov_b32 s7, exec_lo
	v_cmpx_ne_u32_e32 0, v18
	s_cbranch_execz .LBB10_317
; %bb.314:                              ;   in Loop: Header=BB10_280 Depth=1
	v_mov_b32_e32 v16, 0
	v_mov_b32_e32 v17, 0
	s_mov_b64 s[0:1], 0
	s_mov_b32 s13, 0
	s_mov_b64 s[4:5], 0
	.p2align	6
.LBB10_315:                             ;   Parent Loop BB10_280 Depth=1
                                        ; =>  This Inner Loop Header: Depth=2
	s_delay_alu instid0(SALU_CYCLE_1)
	v_add_co_u32 v19, vcc_lo, v22, s4
	v_add_co_ci_u32_e32 v20, vcc_lo, s5, v23, vcc_lo
	s_add_u32 s4, s4, 1
	s_addc_u32 s5, s5, 0
	v_cmp_eq_u32_e32 vcc_lo, s4, v18
	flat_load_u8 v6, v[19:20]
	s_waitcnt vmcnt(0) lgkmcnt(0)
	v_dual_mov_b32 v20, s12 :: v_dual_and_b32 v19, 0xffff, v6
	s_delay_alu instid0(VALU_DEP_1) | instskip(SKIP_3) | instid1(VALU_DEP_1)
	v_lshlrev_b64 v[19:20], s0, v[19:20]
	s_add_u32 s0, s0, 8
	s_addc_u32 s1, s1, 0
	s_or_b32 s13, vcc_lo, s13
	v_or_b32_e32 v17, v20, v17
	s_delay_alu instid0(VALU_DEP_2)
	v_or_b32_e32 v16, v19, v16
	s_and_not1_b32 exec_lo, exec_lo, s13
	s_cbranch_execnz .LBB10_315
; %bb.316:                              ;   in Loop: Header=BB10_280 Depth=1
	s_or_b32 exec_lo, exec_lo, s13
.LBB10_317:                             ;   in Loop: Header=BB10_280 Depth=1
	s_delay_alu instid0(SALU_CYCLE_1)
	s_or_b32 exec_lo, exec_lo, s7
	s_mov_b32 s1, 0
                                        ; implicit-def: $vgpr18
.LBB10_318:                             ;   in Loop: Header=BB10_280 Depth=1
	s_or_saveexec_b32 s0, s6
	v_mov_b32_e32 v6, s1
	s_xor_b32 exec_lo, exec_lo, s0
	s_cbranch_execz .LBB10_320
; %bb.319:                              ;   in Loop: Header=BB10_280 Depth=1
	flat_load_b64 v[16:17], v[22:23]
	v_add_co_u32 v22, vcc_lo, v22, 8
	v_add_co_ci_u32_e32 v23, vcc_lo, 0, v23, vcc_lo
	s_waitcnt vmcnt(0) lgkmcnt(0)
	v_and_b32_e32 v6, 0xff, v17
	v_and_b32_e32 v19, 0xff00, v17
	;; [unrolled: 1-line block ×4, first 2 shown]
	v_or3_b32 v16, v16, 0, 0
	s_delay_alu instid0(VALU_DEP_4) | instskip(SKIP_1) | instid1(VALU_DEP_2)
	v_or_b32_e32 v19, v6, v19
	v_add_nc_u32_e32 v6, -8, v18
	v_or3_b32 v17, v19, v20, v17
.LBB10_320:                             ;   in Loop: Header=BB10_280 Depth=1
	s_or_b32 exec_lo, exec_lo, s0
                                        ; implicit-def: $vgpr18_vgpr19
                                        ; implicit-def: $sgpr1
	s_delay_alu instid0(SALU_CYCLE_1) | instskip(NEXT) | instid1(VALU_DEP_1)
	s_mov_b32 s0, exec_lo
	v_cmpx_gt_u32_e32 8, v6
	s_xor_b32 s6, exec_lo, s0
	s_cbranch_execz .LBB10_326
; %bb.321:                              ;   in Loop: Header=BB10_280 Depth=1
	v_mov_b32_e32 v18, 0
	v_mov_b32_e32 v19, 0
	s_mov_b32 s7, exec_lo
	v_cmpx_ne_u32_e32 0, v6
	s_cbranch_execz .LBB10_325
; %bb.322:                              ;   in Loop: Header=BB10_280 Depth=1
	v_mov_b32_e32 v18, 0
	v_mov_b32_e32 v19, 0
	s_mov_b64 s[0:1], 0
	s_mov_b32 s13, 0
	s_mov_b64 s[4:5], 0
	.p2align	6
.LBB10_323:                             ;   Parent Loop BB10_280 Depth=1
                                        ; =>  This Inner Loop Header: Depth=2
	s_delay_alu instid0(SALU_CYCLE_1)
	v_add_co_u32 v20, vcc_lo, v22, s4
	v_add_co_ci_u32_e32 v21, vcc_lo, s5, v23, vcc_lo
	s_add_u32 s4, s4, 1
	s_addc_u32 s5, s5, 0
	v_cmp_eq_u32_e32 vcc_lo, s4, v6
	flat_load_u8 v20, v[20:21]
	s_waitcnt vmcnt(0) lgkmcnt(0)
	v_dual_mov_b32 v21, s12 :: v_dual_and_b32 v20, 0xffff, v20
	s_delay_alu instid0(VALU_DEP_1) | instskip(SKIP_3) | instid1(VALU_DEP_1)
	v_lshlrev_b64 v[20:21], s0, v[20:21]
	s_add_u32 s0, s0, 8
	s_addc_u32 s1, s1, 0
	s_or_b32 s13, vcc_lo, s13
	v_or_b32_e32 v19, v21, v19
	s_delay_alu instid0(VALU_DEP_2)
	v_or_b32_e32 v18, v20, v18
	s_and_not1_b32 exec_lo, exec_lo, s13
	s_cbranch_execnz .LBB10_323
; %bb.324:                              ;   in Loop: Header=BB10_280 Depth=1
	s_or_b32 exec_lo, exec_lo, s13
.LBB10_325:                             ;   in Loop: Header=BB10_280 Depth=1
	s_delay_alu instid0(SALU_CYCLE_1)
	s_or_b32 exec_lo, exec_lo, s7
	s_mov_b32 s1, 0
                                        ; implicit-def: $vgpr6
.LBB10_326:                             ;   in Loop: Header=BB10_280 Depth=1
	s_or_saveexec_b32 s0, s6
	v_mov_b32_e32 v24, s1
	s_xor_b32 exec_lo, exec_lo, s0
	s_cbranch_execz .LBB10_328
; %bb.327:                              ;   in Loop: Header=BB10_280 Depth=1
	flat_load_b64 v[18:19], v[22:23]
	v_add_co_u32 v22, vcc_lo, v22, 8
	v_add_nc_u32_e32 v24, -8, v6
	v_add_co_ci_u32_e32 v23, vcc_lo, 0, v23, vcc_lo
	s_waitcnt vmcnt(0) lgkmcnt(0)
	v_and_b32_e32 v20, 0xff, v19
	v_and_b32_e32 v21, 0xff00, v19
	;; [unrolled: 1-line block ×4, first 2 shown]
	v_or3_b32 v18, v18, 0, 0
	s_delay_alu instid0(VALU_DEP_4) | instskip(NEXT) | instid1(VALU_DEP_1)
	v_or_b32_e32 v20, v20, v21
	v_or3_b32 v19, v20, v25, v19
.LBB10_328:                             ;   in Loop: Header=BB10_280 Depth=1
	s_or_b32 exec_lo, exec_lo, s0
	s_delay_alu instid0(SALU_CYCLE_1)
	s_mov_b32 s0, exec_lo
	v_cmpx_gt_u32_e32 8, v24
	s_xor_b32 s4, exec_lo, s0
	s_cbranch_execz .LBB10_334
; %bb.329:                              ;   in Loop: Header=BB10_280 Depth=1
	v_mov_b32_e32 v20, 0
	v_mov_b32_e32 v21, 0
	s_mov_b32 s5, exec_lo
	v_cmpx_ne_u32_e32 0, v24
	s_cbranch_execz .LBB10_333
; %bb.330:                              ;   in Loop: Header=BB10_280 Depth=1
	v_mov_b32_e32 v20, 0
	v_mov_b32_e32 v21, 0
	s_mov_b64 s[0:1], 0
	s_mov_b32 s6, 0
	.p2align	6
.LBB10_331:                             ;   Parent Loop BB10_280 Depth=1
                                        ; =>  This Inner Loop Header: Depth=2
	flat_load_u8 v6, v[22:23]
	v_dual_mov_b32 v31, s12 :: v_dual_add_nc_u32 v24, -1, v24
	v_add_co_u32 v22, vcc_lo, v22, 1
	v_add_co_ci_u32_e32 v23, vcc_lo, 0, v23, vcc_lo
	s_delay_alu instid0(VALU_DEP_3) | instskip(SKIP_2) | instid1(VALU_DEP_1)
	v_cmp_eq_u32_e32 vcc_lo, 0, v24
	s_waitcnt vmcnt(0) lgkmcnt(0)
	v_and_b32_e32 v30, 0xffff, v6
	v_lshlrev_b64 v[30:31], s0, v[30:31]
	s_add_u32 s0, s0, 8
	s_addc_u32 s1, s1, 0
	s_or_b32 s6, vcc_lo, s6
	s_delay_alu instid0(VALU_DEP_1) | instskip(NEXT) | instid1(VALU_DEP_2)
	v_or_b32_e32 v21, v31, v21
	v_or_b32_e32 v20, v30, v20
	s_and_not1_b32 exec_lo, exec_lo, s6
	s_cbranch_execnz .LBB10_331
; %bb.332:                              ;   in Loop: Header=BB10_280 Depth=1
	s_or_b32 exec_lo, exec_lo, s6
.LBB10_333:                             ;   in Loop: Header=BB10_280 Depth=1
	s_delay_alu instid0(SALU_CYCLE_1)
	s_or_b32 exec_lo, exec_lo, s5
                                        ; implicit-def: $vgpr22_vgpr23
.LBB10_334:                             ;   in Loop: Header=BB10_280 Depth=1
	s_and_not1_saveexec_b32 s0, s4
	s_cbranch_execz .LBB10_336
; %bb.335:                              ;   in Loop: Header=BB10_280 Depth=1
	flat_load_b64 v[20:21], v[22:23]
	s_waitcnt vmcnt(0) lgkmcnt(0)
	v_and_b32_e32 v6, 0xff, v21
	v_and_b32_e32 v22, 0xff00, v21
	;; [unrolled: 1-line block ×4, first 2 shown]
	v_or3_b32 v20, v20, 0, 0
	s_delay_alu instid0(VALU_DEP_4) | instskip(NEXT) | instid1(VALU_DEP_1)
	v_or_b32_e32 v6, v6, v22
	v_or3_b32 v21, v6, v23, v21
.LBB10_336:                             ;   in Loop: Header=BB10_280 Depth=1
	s_or_b32 exec_lo, exec_lo, s0
	v_readfirstlane_b32 s0, v35
	v_mov_b32_e32 v30, 0
	v_mov_b32_e32 v31, 0
	s_delay_alu instid0(VALU_DEP_3) | instskip(NEXT) | instid1(VALU_DEP_1)
	v_cmp_eq_u32_e64 s0, s0, v35
	s_and_saveexec_b32 s1, s0
	s_cbranch_execz .LBB10_342
; %bb.337:                              ;   in Loop: Header=BB10_280 Depth=1
	global_load_b64 v[24:25], v7, s[2:3] offset:24 glc
	s_waitcnt vmcnt(0)
	buffer_gl1_inv
	buffer_gl0_inv
	s_clause 0x1
	global_load_b64 v[22:23], v7, s[2:3] offset:40
	global_load_b64 v[30:31], v7, s[2:3]
	s_mov_b32 s4, exec_lo
	s_waitcnt vmcnt(1)
	v_and_b32_e32 v6, v23, v25
	v_and_b32_e32 v22, v22, v24
	s_delay_alu instid0(VALU_DEP_2) | instskip(NEXT) | instid1(VALU_DEP_2)
	v_mul_lo_u32 v6, v6, 24
	v_mul_hi_u32 v23, v22, 24
	v_mul_lo_u32 v22, v22, 24
	s_delay_alu instid0(VALU_DEP_2) | instskip(SKIP_1) | instid1(VALU_DEP_2)
	v_add_nc_u32_e32 v6, v23, v6
	s_waitcnt vmcnt(0)
	v_add_co_u32 v22, vcc_lo, v30, v22
	s_delay_alu instid0(VALU_DEP_2)
	v_add_co_ci_u32_e32 v23, vcc_lo, v31, v6, vcc_lo
	global_load_b64 v[22:23], v[22:23], off glc
	s_waitcnt vmcnt(0)
	global_atomic_cmpswap_b64 v[30:31], v7, v[22:25], s[2:3] offset:24 glc
	s_waitcnt vmcnt(0)
	buffer_gl1_inv
	buffer_gl0_inv
	v_cmpx_ne_u64_e64 v[30:31], v[24:25]
	s_cbranch_execz .LBB10_341
; %bb.338:                              ;   in Loop: Header=BB10_280 Depth=1
	s_mov_b32 s5, 0
	.p2align	6
.LBB10_339:                             ;   Parent Loop BB10_280 Depth=1
                                        ; =>  This Inner Loop Header: Depth=2
	s_sleep 1
	s_clause 0x1
	global_load_b64 v[22:23], v7, s[2:3] offset:40
	global_load_b64 v[36:37], v7, s[2:3]
	v_dual_mov_b32 v24, v30 :: v_dual_mov_b32 v25, v31
	s_waitcnt vmcnt(1)
	s_delay_alu instid0(VALU_DEP_1) | instskip(NEXT) | instid1(VALU_DEP_2)
	v_and_b32_e32 v6, v22, v24
	v_and_b32_e32 v33, v23, v25
	s_waitcnt vmcnt(0)
	s_delay_alu instid0(VALU_DEP_2) | instskip(NEXT) | instid1(VALU_DEP_1)
	v_mad_u64_u32 v[30:31], null, v6, 24, v[36:37]
	v_mov_b32_e32 v6, v31
	s_delay_alu instid0(VALU_DEP_1) | instskip(NEXT) | instid1(VALU_DEP_1)
	v_mad_u64_u32 v[22:23], null, v33, 24, v[6:7]
	v_mov_b32_e32 v31, v22
	global_load_b64 v[22:23], v[30:31], off glc
	s_waitcnt vmcnt(0)
	global_atomic_cmpswap_b64 v[30:31], v7, v[22:25], s[2:3] offset:24 glc
	s_waitcnt vmcnt(0)
	buffer_gl1_inv
	buffer_gl0_inv
	v_cmp_eq_u64_e32 vcc_lo, v[30:31], v[24:25]
	s_or_b32 s5, vcc_lo, s5
	s_delay_alu instid0(SALU_CYCLE_1)
	s_and_not1_b32 exec_lo, exec_lo, s5
	s_cbranch_execnz .LBB10_339
; %bb.340:                              ;   in Loop: Header=BB10_280 Depth=1
	s_or_b32 exec_lo, exec_lo, s5
.LBB10_341:                             ;   in Loop: Header=BB10_280 Depth=1
	s_delay_alu instid0(SALU_CYCLE_1)
	s_or_b32 exec_lo, exec_lo, s4
.LBB10_342:                             ;   in Loop: Header=BB10_280 Depth=1
	s_delay_alu instid0(SALU_CYCLE_1)
	s_or_b32 exec_lo, exec_lo, s1
	s_clause 0x1
	global_load_b64 v[36:37], v7, s[2:3] offset:40
	global_load_b128 v[22:25], v7, s[2:3]
	v_readfirstlane_b32 s4, v30
	v_readfirstlane_b32 s5, v31
	s_mov_b32 s1, exec_lo
	s_waitcnt vmcnt(1)
	v_readfirstlane_b32 s6, v36
	v_readfirstlane_b32 s7, v37
	s_delay_alu instid0(VALU_DEP_1) | instskip(NEXT) | instid1(SALU_CYCLE_1)
	s_and_b64 s[6:7], s[4:5], s[6:7]
	s_mul_i32 s13, s7, 24
	s_mul_hi_u32 s14, s6, 24
	s_mul_i32 s15, s6, 24
	s_add_i32 s14, s14, s13
	s_waitcnt vmcnt(0)
	v_add_co_u32 v30, vcc_lo, v22, s15
	v_add_co_ci_u32_e32 v31, vcc_lo, s14, v23, vcc_lo
	s_and_saveexec_b32 s13, s0
	s_cbranch_execz .LBB10_344
; %bb.343:                              ;   in Loop: Header=BB10_280 Depth=1
	v_mov_b32_e32 v6, s1
	global_store_b128 v[30:31], v[6:9], off offset:8
.LBB10_344:                             ;   in Loop: Header=BB10_280 Depth=1
	s_or_b32 exec_lo, exec_lo, s13
	v_cmp_lt_u64_e32 vcc_lo, 56, v[26:27]
	v_or_b32_e32 v6, 0, v1
	v_or_b32_e32 v33, v0, v32
	v_lshl_add_u32 v36, v28, 2, 28
	s_lshl_b64 s[6:7], s[6:7], 12
	s_delay_alu instid0(SALU_CYCLE_1) | instskip(NEXT) | instid1(VALU_DEP_1)
	v_add_co_u32 v24, s1, v24, s6
	v_add_co_ci_u32_e64 v25, s1, s7, v25, s1
	v_dual_cndmask_b32 v1, v6, v1 :: v_dual_cndmask_b32 v0, v33, v0
	v_and_b32_e32 v6, 0x1e0, v36
	s_delay_alu instid0(VALU_DEP_4) | instskip(NEXT) | instid1(VALU_DEP_4)
	v_readfirstlane_b32 s6, v24
	v_readfirstlane_b32 s7, v25
	s_delay_alu instid0(VALU_DEP_3)
	v_and_or_b32 v0, 0xffffff1f, v0, v6
	s_clause 0x3
	global_store_b128 v34, v[0:3], s[6:7]
	global_store_b128 v34, v[10:13], s[6:7] offset:16
	global_store_b128 v34, v[14:17], s[6:7] offset:32
	;; [unrolled: 1-line block ×3, first 2 shown]
	s_and_saveexec_b32 s1, s0
	s_cbranch_execz .LBB10_352
; %bb.345:                              ;   in Loop: Header=BB10_280 Depth=1
	s_clause 0x1
	global_load_b64 v[14:15], v7, s[2:3] offset:32 glc
	global_load_b64 v[0:1], v7, s[2:3] offset:40
	v_dual_mov_b32 v12, s4 :: v_dual_mov_b32 v13, s5
	s_waitcnt vmcnt(0)
	v_readfirstlane_b32 s6, v0
	v_readfirstlane_b32 s7, v1
	s_delay_alu instid0(VALU_DEP_1) | instskip(NEXT) | instid1(SALU_CYCLE_1)
	s_and_b64 s[6:7], s[6:7], s[4:5]
	s_mul_i32 s7, s7, 24
	s_mul_hi_u32 s13, s6, 24
	s_mul_i32 s6, s6, 24
	s_add_i32 s13, s13, s7
	v_add_co_u32 v10, vcc_lo, v22, s6
	v_add_co_ci_u32_e32 v11, vcc_lo, s13, v23, vcc_lo
	s_mov_b32 s6, exec_lo
	global_store_b64 v[10:11], v[14:15], off
	s_waitcnt_vscnt null, 0x0
	global_atomic_cmpswap_b64 v[2:3], v7, v[12:15], s[2:3] offset:32 glc
	s_waitcnt vmcnt(0)
	v_cmpx_ne_u64_e64 v[2:3], v[14:15]
	s_cbranch_execz .LBB10_348
; %bb.346:                              ;   in Loop: Header=BB10_280 Depth=1
	s_mov_b32 s7, 0
.LBB10_347:                             ;   Parent Loop BB10_280 Depth=1
                                        ; =>  This Inner Loop Header: Depth=2
	v_dual_mov_b32 v0, s4 :: v_dual_mov_b32 v1, s5
	s_sleep 1
	global_store_b64 v[10:11], v[2:3], off
	s_waitcnt_vscnt null, 0x0
	global_atomic_cmpswap_b64 v[0:1], v7, v[0:3], s[2:3] offset:32 glc
	s_waitcnt vmcnt(0)
	v_cmp_eq_u64_e32 vcc_lo, v[0:1], v[2:3]
	v_dual_mov_b32 v3, v1 :: v_dual_mov_b32 v2, v0
	s_or_b32 s7, vcc_lo, s7
	s_delay_alu instid0(SALU_CYCLE_1)
	s_and_not1_b32 exec_lo, exec_lo, s7
	s_cbranch_execnz .LBB10_347
.LBB10_348:                             ;   in Loop: Header=BB10_280 Depth=1
	s_or_b32 exec_lo, exec_lo, s6
	global_load_b64 v[0:1], v7, s[2:3] offset:16
	s_mov_b32 s7, exec_lo
	s_mov_b32 s6, exec_lo
	v_mbcnt_lo_u32_b32 v2, s7, 0
	s_delay_alu instid0(VALU_DEP_1)
	v_cmpx_eq_u32_e32 0, v2
	s_cbranch_execz .LBB10_350
; %bb.349:                              ;   in Loop: Header=BB10_280 Depth=1
	s_bcnt1_i32_b32 s7, s7
	s_delay_alu instid0(SALU_CYCLE_1)
	v_mov_b32_e32 v6, s7
	s_waitcnt vmcnt(0)
	global_atomic_add_u64 v[0:1], v[6:7], off offset:8
.LBB10_350:                             ;   in Loop: Header=BB10_280 Depth=1
	s_or_b32 exec_lo, exec_lo, s6
	s_waitcnt vmcnt(0)
	global_load_b64 v[2:3], v[0:1], off offset:16
	s_waitcnt vmcnt(0)
	v_cmp_eq_u64_e32 vcc_lo, 0, v[2:3]
	s_cbranch_vccnz .LBB10_352
; %bb.351:                              ;   in Loop: Header=BB10_280 Depth=1
	global_load_b32 v6, v[0:1], off offset:24
	s_waitcnt vmcnt(0)
	v_and_b32_e32 v0, 0xffffff, v6
	s_waitcnt_vscnt null, 0x0
	global_store_b64 v[2:3], v[6:7], off
	v_readfirstlane_b32 m0, v0
	s_sendmsg sendmsg(MSG_INTERRUPT)
.LBB10_352:                             ;   in Loop: Header=BB10_280 Depth=1
	s_or_b32 exec_lo, exec_lo, s1
	v_add_co_u32 v0, vcc_lo, v24, v34
	v_add_co_ci_u32_e32 v1, vcc_lo, 0, v25, vcc_lo
	s_branch .LBB10_356
	.p2align	6
.LBB10_353:                             ;   in Loop: Header=BB10_356 Depth=2
	s_or_b32 exec_lo, exec_lo, s1
	s_delay_alu instid0(VALU_DEP_1) | instskip(NEXT) | instid1(VALU_DEP_1)
	v_readfirstlane_b32 s1, v2
	s_cmp_eq_u32 s1, 0
	s_cbranch_scc1 .LBB10_355
; %bb.354:                              ;   in Loop: Header=BB10_356 Depth=2
	s_sleep 1
	s_cbranch_execnz .LBB10_356
	s_branch .LBB10_358
	.p2align	6
.LBB10_355:                             ;   in Loop: Header=BB10_280 Depth=1
	s_branch .LBB10_358
.LBB10_356:                             ;   Parent Loop BB10_280 Depth=1
                                        ; =>  This Inner Loop Header: Depth=2
	v_mov_b32_e32 v2, 1
	s_and_saveexec_b32 s1, s0
	s_cbranch_execz .LBB10_353
; %bb.357:                              ;   in Loop: Header=BB10_356 Depth=2
	global_load_b32 v2, v[30:31], off offset:20 glc
	s_waitcnt vmcnt(0)
	buffer_gl1_inv
	buffer_gl0_inv
	v_and_b32_e32 v2, 1, v2
	s_branch .LBB10_353
.LBB10_358:                             ;   in Loop: Header=BB10_280 Depth=1
	global_load_b128 v[0:3], v[0:1], off
	s_and_saveexec_b32 s1, s0
	s_cbranch_execz .LBB10_279
; %bb.359:                              ;   in Loop: Header=BB10_280 Depth=1
	s_clause 0x2
	global_load_b64 v[2:3], v7, s[2:3] offset:40
	global_load_b64 v[14:15], v7, s[2:3] offset:24 glc
	global_load_b64 v[12:13], v7, s[2:3]
	s_waitcnt vmcnt(2)
	v_add_co_u32 v6, vcc_lo, v2, 1
	v_add_co_ci_u32_e32 v16, vcc_lo, 0, v3, vcc_lo
	s_delay_alu instid0(VALU_DEP_2) | instskip(NEXT) | instid1(VALU_DEP_2)
	v_add_co_u32 v10, vcc_lo, v6, s4
	v_add_co_ci_u32_e32 v11, vcc_lo, s5, v16, vcc_lo
	s_delay_alu instid0(VALU_DEP_1) | instskip(SKIP_1) | instid1(VALU_DEP_1)
	v_cmp_eq_u64_e32 vcc_lo, 0, v[10:11]
	v_dual_cndmask_b32 v11, v11, v16 :: v_dual_cndmask_b32 v10, v10, v6
	v_and_b32_e32 v3, v11, v3
	s_delay_alu instid0(VALU_DEP_2) | instskip(NEXT) | instid1(VALU_DEP_1)
	v_and_b32_e32 v2, v10, v2
	v_mul_hi_u32 v6, v2, 24
	v_mul_lo_u32 v2, v2, 24
	s_waitcnt vmcnt(0)
	s_delay_alu instid0(VALU_DEP_1) | instskip(SKIP_2) | instid1(VALU_DEP_1)
	v_add_co_u32 v2, vcc_lo, v12, v2
	v_mov_b32_e32 v12, v14
	v_mul_lo_u32 v3, v3, 24
	v_add_nc_u32_e32 v3, v6, v3
	s_delay_alu instid0(VALU_DEP_1)
	v_add_co_ci_u32_e32 v3, vcc_lo, v13, v3, vcc_lo
	v_mov_b32_e32 v13, v15
	global_store_b64 v[2:3], v[14:15], off
	s_waitcnt_vscnt null, 0x0
	global_atomic_cmpswap_b64 v[12:13], v7, v[10:13], s[2:3] offset:24 glc
	s_waitcnt vmcnt(0)
	v_cmp_ne_u64_e32 vcc_lo, v[12:13], v[14:15]
	s_and_b32 exec_lo, exec_lo, vcc_lo
	s_cbranch_execz .LBB10_279
; %bb.360:                              ;   in Loop: Header=BB10_280 Depth=1
	s_mov_b32 s0, 0
.LBB10_361:                             ;   Parent Loop BB10_280 Depth=1
                                        ; =>  This Inner Loop Header: Depth=2
	s_sleep 1
	global_store_b64 v[2:3], v[12:13], off
	s_waitcnt_vscnt null, 0x0
	global_atomic_cmpswap_b64 v[14:15], v7, v[10:13], s[2:3] offset:24 glc
	s_waitcnt vmcnt(0)
	v_cmp_eq_u64_e32 vcc_lo, v[14:15], v[12:13]
	v_dual_mov_b32 v12, v14 :: v_dual_mov_b32 v13, v15
	s_or_b32 s0, vcc_lo, s0
	s_delay_alu instid0(SALU_CYCLE_1)
	s_and_not1_b32 exec_lo, exec_lo, s0
	s_cbranch_execnz .LBB10_361
	s_branch .LBB10_279
.LBB10_362:
	s_or_b32 exec_lo, exec_lo, s11
                                        ; implicit-def: $vgpr34
                                        ; implicit-def: $vgpr35
.LBB10_363:
	s_and_not1_saveexec_b32 s1, s10
	s_cbranch_execz .LBB10_391
; %bb.364:
	v_readfirstlane_b32 s0, v35
	v_mov_b32_e32 v8, 0
	v_mov_b32_e32 v9, 0
	s_delay_alu instid0(VALU_DEP_3) | instskip(NEXT) | instid1(VALU_DEP_1)
	v_cmp_eq_u32_e64 s0, s0, v35
	s_and_saveexec_b32 s4, s0
	s_cbranch_execz .LBB10_370
; %bb.365:
	s_waitcnt vmcnt(0)
	v_mov_b32_e32 v2, 0
	s_mov_b32 s5, exec_lo
	global_load_b64 v[5:6], v2, s[2:3] offset:24 glc
	s_waitcnt vmcnt(0)
	buffer_gl1_inv
	buffer_gl0_inv
	s_clause 0x1
	global_load_b64 v[3:4], v2, s[2:3] offset:40
	global_load_b64 v[7:8], v2, s[2:3]
	s_waitcnt vmcnt(1)
	v_and_b32_e32 v3, v3, v5
	v_and_b32_e32 v4, v4, v6
	s_delay_alu instid0(VALU_DEP_2) | instskip(NEXT) | instid1(VALU_DEP_2)
	v_mul_hi_u32 v9, v3, 24
	v_mul_lo_u32 v4, v4, 24
	v_mul_lo_u32 v3, v3, 24
	s_delay_alu instid0(VALU_DEP_2) | instskip(SKIP_1) | instid1(VALU_DEP_2)
	v_add_nc_u32_e32 v4, v9, v4
	s_waitcnt vmcnt(0)
	v_add_co_u32 v3, vcc_lo, v7, v3
	s_delay_alu instid0(VALU_DEP_2)
	v_add_co_ci_u32_e32 v4, vcc_lo, v8, v4, vcc_lo
	global_load_b64 v[3:4], v[3:4], off glc
	s_waitcnt vmcnt(0)
	global_atomic_cmpswap_b64 v[8:9], v2, v[3:6], s[2:3] offset:24 glc
	s_waitcnt vmcnt(0)
	buffer_gl1_inv
	buffer_gl0_inv
	v_cmpx_ne_u64_e64 v[8:9], v[5:6]
	s_cbranch_execz .LBB10_369
; %bb.366:
	s_mov_b32 s6, 0
	.p2align	6
.LBB10_367:                             ; =>This Inner Loop Header: Depth=1
	s_sleep 1
	s_clause 0x1
	global_load_b64 v[3:4], v2, s[2:3] offset:40
	global_load_b64 v[10:11], v2, s[2:3]
	v_dual_mov_b32 v5, v8 :: v_dual_mov_b32 v6, v9
	s_waitcnt vmcnt(1)
	s_delay_alu instid0(VALU_DEP_1) | instskip(NEXT) | instid1(VALU_DEP_2)
	v_and_b32_e32 v3, v3, v5
	v_and_b32_e32 v4, v4, v6
	s_waitcnt vmcnt(0)
	s_delay_alu instid0(VALU_DEP_2) | instskip(NEXT) | instid1(VALU_DEP_1)
	v_mad_u64_u32 v[7:8], null, v3, 24, v[10:11]
	v_mov_b32_e32 v3, v8
	s_delay_alu instid0(VALU_DEP_1)
	v_mad_u64_u32 v[8:9], null, v4, 24, v[3:4]
	global_load_b64 v[3:4], v[7:8], off glc
	s_waitcnt vmcnt(0)
	global_atomic_cmpswap_b64 v[8:9], v2, v[3:6], s[2:3] offset:24 glc
	s_waitcnt vmcnt(0)
	buffer_gl1_inv
	buffer_gl0_inv
	v_cmp_eq_u64_e32 vcc_lo, v[8:9], v[5:6]
	s_or_b32 s6, vcc_lo, s6
	s_delay_alu instid0(SALU_CYCLE_1)
	s_and_not1_b32 exec_lo, exec_lo, s6
	s_cbranch_execnz .LBB10_367
; %bb.368:
	s_or_b32 exec_lo, exec_lo, s6
.LBB10_369:
	s_delay_alu instid0(SALU_CYCLE_1)
	s_or_b32 exec_lo, exec_lo, s5
.LBB10_370:
	s_delay_alu instid0(SALU_CYCLE_1)
	s_or_b32 exec_lo, exec_lo, s4
	s_waitcnt vmcnt(0)
	v_mov_b32_e32 v2, 0
	v_readfirstlane_b32 s4, v8
	v_readfirstlane_b32 s5, v9
	s_mov_b32 s10, exec_lo
	s_clause 0x1
	global_load_b64 v[10:11], v2, s[2:3] offset:40
	global_load_b128 v[4:7], v2, s[2:3]
	s_waitcnt vmcnt(1)
	v_readfirstlane_b32 s6, v10
	v_readfirstlane_b32 s7, v11
	s_delay_alu instid0(VALU_DEP_1) | instskip(NEXT) | instid1(SALU_CYCLE_1)
	s_and_b64 s[6:7], s[4:5], s[6:7]
	s_mul_i32 s11, s7, 24
	s_mul_hi_u32 s12, s6, 24
	s_mul_i32 s13, s6, 24
	s_add_i32 s12, s12, s11
	s_waitcnt vmcnt(0)
	v_add_co_u32 v8, vcc_lo, v4, s13
	v_add_co_ci_u32_e32 v9, vcc_lo, s12, v5, vcc_lo
	s_and_saveexec_b32 s11, s0
	s_cbranch_execz .LBB10_372
; %bb.371:
	v_dual_mov_b32 v10, s10 :: v_dual_mov_b32 v11, v2
	v_dual_mov_b32 v12, 2 :: v_dual_mov_b32 v13, 1
	global_store_b128 v[8:9], v[10:13], off offset:8
.LBB10_372:
	s_or_b32 exec_lo, exec_lo, s11
	s_lshl_b64 s[6:7], s[6:7], 12
	s_mov_b32 s12, 0
	v_add_co_u32 v6, vcc_lo, v6, s6
	v_add_co_ci_u32_e32 v7, vcc_lo, s7, v7, vcc_lo
	s_mov_b32 s13, s12
	s_delay_alu instid0(VALU_DEP_2)
	v_readfirstlane_b32 s6, v6
	v_add_co_u32 v6, vcc_lo, v6, v34
	s_mov_b32 s14, s12
	s_mov_b32 s15, s12
	v_and_or_b32 v0, 0xffffff1f, v0, 32
	v_dual_mov_b32 v3, v2 :: v_dual_mov_b32 v10, s12
	v_readfirstlane_b32 s7, v7
	v_add_co_ci_u32_e32 v7, vcc_lo, 0, v7, vcc_lo
	v_dual_mov_b32 v11, s13 :: v_dual_mov_b32 v12, s14
	v_mov_b32_e32 v13, s15
	s_clause 0x3
	global_store_b128 v34, v[0:3], s[6:7]
	global_store_b128 v34, v[10:13], s[6:7] offset:16
	global_store_b128 v34, v[10:13], s[6:7] offset:32
	;; [unrolled: 1-line block ×3, first 2 shown]
	s_and_saveexec_b32 s6, s0
	s_cbranch_execz .LBB10_380
; %bb.373:
	v_dual_mov_b32 v10, 0 :: v_dual_mov_b32 v11, s4
	v_mov_b32_e32 v12, s5
	s_clause 0x1
	global_load_b64 v[13:14], v10, s[2:3] offset:32 glc
	global_load_b64 v[0:1], v10, s[2:3] offset:40
	s_waitcnt vmcnt(0)
	v_readfirstlane_b32 s10, v0
	v_readfirstlane_b32 s11, v1
	s_delay_alu instid0(VALU_DEP_1) | instskip(NEXT) | instid1(SALU_CYCLE_1)
	s_and_b64 s[10:11], s[10:11], s[4:5]
	s_mul_i32 s7, s11, 24
	s_mul_hi_u32 s11, s10, 24
	s_mul_i32 s10, s10, 24
	s_add_i32 s11, s11, s7
	v_add_co_u32 v4, vcc_lo, v4, s10
	v_add_co_ci_u32_e32 v5, vcc_lo, s11, v5, vcc_lo
	s_mov_b32 s7, exec_lo
	global_store_b64 v[4:5], v[13:14], off
	s_waitcnt_vscnt null, 0x0
	global_atomic_cmpswap_b64 v[2:3], v10, v[11:14], s[2:3] offset:32 glc
	s_waitcnt vmcnt(0)
	v_cmpx_ne_u64_e64 v[2:3], v[13:14]
	s_cbranch_execz .LBB10_376
; %bb.374:
	s_mov_b32 s10, 0
.LBB10_375:                             ; =>This Inner Loop Header: Depth=1
	v_dual_mov_b32 v0, s4 :: v_dual_mov_b32 v1, s5
	s_sleep 1
	global_store_b64 v[4:5], v[2:3], off
	s_waitcnt_vscnt null, 0x0
	global_atomic_cmpswap_b64 v[0:1], v10, v[0:3], s[2:3] offset:32 glc
	s_waitcnt vmcnt(0)
	v_cmp_eq_u64_e32 vcc_lo, v[0:1], v[2:3]
	v_dual_mov_b32 v3, v1 :: v_dual_mov_b32 v2, v0
	s_or_b32 s10, vcc_lo, s10
	s_delay_alu instid0(SALU_CYCLE_1)
	s_and_not1_b32 exec_lo, exec_lo, s10
	s_cbranch_execnz .LBB10_375
.LBB10_376:
	s_or_b32 exec_lo, exec_lo, s7
	v_mov_b32_e32 v3, 0
	s_mov_b32 s10, exec_lo
	s_mov_b32 s7, exec_lo
	v_mbcnt_lo_u32_b32 v2, s10, 0
	global_load_b64 v[0:1], v3, s[2:3] offset:16
	v_cmpx_eq_u32_e32 0, v2
	s_cbranch_execz .LBB10_378
; %bb.377:
	s_bcnt1_i32_b32 s10, s10
	s_delay_alu instid0(SALU_CYCLE_1)
	v_mov_b32_e32 v2, s10
	s_waitcnt vmcnt(0)
	global_atomic_add_u64 v[0:1], v[2:3], off offset:8
.LBB10_378:
	s_or_b32 exec_lo, exec_lo, s7
	s_waitcnt vmcnt(0)
	global_load_b64 v[2:3], v[0:1], off offset:16
	s_waitcnt vmcnt(0)
	v_cmp_eq_u64_e32 vcc_lo, 0, v[2:3]
	s_cbranch_vccnz .LBB10_380
; %bb.379:
	global_load_b32 v0, v[0:1], off offset:24
	s_waitcnt vmcnt(0)
	v_dual_mov_b32 v1, 0 :: v_dual_and_b32 v4, 0xffffff, v0
	s_waitcnt_vscnt null, 0x0
	global_store_b64 v[2:3], v[0:1], off
	v_readfirstlane_b32 m0, v4
	s_sendmsg sendmsg(MSG_INTERRUPT)
.LBB10_380:
	s_or_b32 exec_lo, exec_lo, s6
	s_branch .LBB10_384
	.p2align	6
.LBB10_381:                             ;   in Loop: Header=BB10_384 Depth=1
	s_or_b32 exec_lo, exec_lo, s6
	s_delay_alu instid0(VALU_DEP_1) | instskip(NEXT) | instid1(VALU_DEP_1)
	v_readfirstlane_b32 s6, v0
	s_cmp_eq_u32 s6, 0
	s_cbranch_scc1 .LBB10_383
; %bb.382:                              ;   in Loop: Header=BB10_384 Depth=1
	s_sleep 1
	s_cbranch_execnz .LBB10_384
	s_branch .LBB10_386
	.p2align	6
.LBB10_383:
	s_branch .LBB10_386
.LBB10_384:                             ; =>This Inner Loop Header: Depth=1
	v_mov_b32_e32 v0, 1
	s_and_saveexec_b32 s6, s0
	s_cbranch_execz .LBB10_381
; %bb.385:                              ;   in Loop: Header=BB10_384 Depth=1
	global_load_b32 v0, v[8:9], off offset:20 glc
	s_waitcnt vmcnt(0)
	buffer_gl1_inv
	buffer_gl0_inv
	v_and_b32_e32 v0, 1, v0
	s_branch .LBB10_381
.LBB10_386:
	global_load_b64 v[0:1], v[6:7], off
	s_and_saveexec_b32 s6, s0
	s_cbranch_execz .LBB10_390
; %bb.387:
	v_mov_b32_e32 v8, 0
	s_clause 0x2
	global_load_b64 v[4:5], v8, s[2:3] offset:40
	global_load_b64 v[9:10], v8, s[2:3] offset:24 glc
	global_load_b64 v[6:7], v8, s[2:3]
	s_waitcnt vmcnt(2)
	v_add_co_u32 v11, vcc_lo, v4, 1
	v_add_co_ci_u32_e32 v12, vcc_lo, 0, v5, vcc_lo
	s_delay_alu instid0(VALU_DEP_2) | instskip(NEXT) | instid1(VALU_DEP_2)
	v_add_co_u32 v2, vcc_lo, v11, s4
	v_add_co_ci_u32_e32 v3, vcc_lo, s5, v12, vcc_lo
	s_delay_alu instid0(VALU_DEP_1) | instskip(SKIP_1) | instid1(VALU_DEP_1)
	v_cmp_eq_u64_e32 vcc_lo, 0, v[2:3]
	v_dual_cndmask_b32 v3, v3, v12 :: v_dual_cndmask_b32 v2, v2, v11
	v_and_b32_e32 v5, v3, v5
	s_delay_alu instid0(VALU_DEP_2) | instskip(NEXT) | instid1(VALU_DEP_2)
	v_and_b32_e32 v4, v2, v4
	v_mul_lo_u32 v5, v5, 24
	s_delay_alu instid0(VALU_DEP_2) | instskip(SKIP_1) | instid1(VALU_DEP_2)
	v_mul_hi_u32 v11, v4, 24
	v_mul_lo_u32 v4, v4, 24
	v_add_nc_u32_e32 v5, v11, v5
	s_waitcnt vmcnt(0)
	s_delay_alu instid0(VALU_DEP_2) | instskip(SKIP_1) | instid1(VALU_DEP_3)
	v_add_co_u32 v6, vcc_lo, v6, v4
	v_mov_b32_e32 v4, v9
	v_add_co_ci_u32_e32 v7, vcc_lo, v7, v5, vcc_lo
	v_mov_b32_e32 v5, v10
	global_store_b64 v[6:7], v[9:10], off
	s_waitcnt_vscnt null, 0x0
	global_atomic_cmpswap_b64 v[4:5], v8, v[2:5], s[2:3] offset:24 glc
	s_waitcnt vmcnt(0)
	v_cmp_ne_u64_e32 vcc_lo, v[4:5], v[9:10]
	s_and_b32 exec_lo, exec_lo, vcc_lo
	s_cbranch_execz .LBB10_390
; %bb.388:
	s_mov_b32 s0, 0
.LBB10_389:                             ; =>This Inner Loop Header: Depth=1
	s_sleep 1
	global_store_b64 v[6:7], v[4:5], off
	s_waitcnt_vscnt null, 0x0
	global_atomic_cmpswap_b64 v[9:10], v8, v[2:5], s[2:3] offset:24 glc
	s_waitcnt vmcnt(0)
	v_cmp_eq_u64_e32 vcc_lo, v[9:10], v[4:5]
	v_dual_mov_b32 v4, v9 :: v_dual_mov_b32 v5, v10
	s_or_b32 s0, vcc_lo, s0
	s_delay_alu instid0(SALU_CYCLE_1)
	s_and_not1_b32 exec_lo, exec_lo, s0
	s_cbranch_execnz .LBB10_389
.LBB10_390:
	s_or_b32 exec_lo, exec_lo, s6
.LBB10_391:
	s_delay_alu instid0(SALU_CYCLE_1)
	s_or_b32 exec_lo, exec_lo, s1
	s_getpc_b64 s[0:1]
	s_add_u32 s0, s0, .str.1@rel32@lo+4
	s_addc_u32 s1, s1, .str.1@rel32@hi+12
	s_getpc_b64 s[2:3]
	s_add_u32 s2, s2, .str.1@rel32@lo+27
	s_addc_u32 s3, s3, .str.1@rel32@hi+35
	s_sub_i32 s4, s2, s0
	s_getpc_b64 s[2:3]
	s_add_u32 s2, s2, __ockl_fprintf_append_string_n@rel32@lo+4
	s_addc_u32 s3, s3, __ockl_fprintf_append_string_n@rel32@hi+12
	s_ashr_i32 s5, s4, 31
	s_waitcnt vmcnt(0)
	v_dual_mov_b32 v2, s0 :: v_dual_mov_b32 v3, s1
	v_dual_mov_b32 v4, s4 :: v_dual_mov_b32 v5, s5
	v_mov_b32_e32 v6, 1
	s_swappc_b64 s[30:31], s[2:3]
	s_trap 2
	s_sendmsg_rtn_b32 s0, sendmsg(MSG_RTN_GET_DOORBELL)
	s_mov_b32 ttmp2, m0
	s_waitcnt lgkmcnt(0)
	s_and_b32 s0, s0, 0x3ff
	s_delay_alu instid0(SALU_CYCLE_1) | instskip(NEXT) | instid1(SALU_CYCLE_1)
	s_bitset1_b32 s0, 10
	s_mov_b32 m0, s0
	s_sendmsg sendmsg(MSG_INTERRUPT)
	s_mov_b32 m0, ttmp2
.LBB10_392:                             ; =>This Inner Loop Header: Depth=1
	s_sethalt 5
	s_branch .LBB10_392
.Lfunc_end10:
	.size	__assert_fail, .Lfunc_end10-__assert_fail
                                        ; -- End function
	.section	.AMDGPU.csdata,"",@progbits
; Function info:
; codeLenInByte = 16148
; NumSgprs: 36
; NumVgprs: 41
; ScratchSize: 64
; MemoryBound: 0
	.section	.text._ZN9rocsolver6v33100L17syevj_diag_rotateILb0EffPfEEvbiiT2_iilPT0_Pii,"axG",@progbits,_ZN9rocsolver6v33100L17syevj_diag_rotateILb0EffPfEEvbiiT2_iilPT0_Pii,comdat
	.globl	_ZN9rocsolver6v33100L17syevj_diag_rotateILb0EffPfEEvbiiT2_iilPT0_Pii ; -- Begin function _ZN9rocsolver6v33100L17syevj_diag_rotateILb0EffPfEEvbiiT2_iilPT0_Pii
	.p2align	8
	.type	_ZN9rocsolver6v33100L17syevj_diag_rotateILb0EffPfEEvbiiT2_iilPT0_Pii,@function
_ZN9rocsolver6v33100L17syevj_diag_rotateILb0EffPfEEvbiiT2_iilPT0_Pii: ; @_ZN9rocsolver6v33100L17syevj_diag_rotateILb0EffPfEEvbiiT2_iilPT0_Pii
; %bb.0:
	s_load_b128 s[36:39], s[0:1], 0x0
	v_mov_b32_e32 v41, v0
	s_mov_b32 s26, s15
	s_mov_b64 s[22:23], s[0:1]
	s_mov_b32 s21, s14
	s_mov_b32 s24, s13
	s_mov_b32 s0, -1
	s_mov_b32 s32, 0
	s_waitcnt lgkmcnt(0)
	s_abs_i32 s27, s37
	s_mul_i32 s25, s37, s37
	v_cvt_f32_u32_e32 v0, s27
	s_cmpk_lt_u32 s25, 0x4001
	s_delay_alu instid0(VALU_DEP_1) | instskip(SKIP_2) | instid1(VALU_DEP_1)
	v_rcp_iflag_f32_e32 v0, v0
	s_waitcnt_depctr 0xfff
	v_mul_f32_e32 v0, 0x4f7ffffe, v0
	v_cvt_u32_f32_e32 v0, v0
	s_delay_alu instid0(VALU_DEP_1)
	v_readfirstlane_b32 s28, v0
	s_cbranch_scc1 .LBB11_2
; %bb.1:
	s_add_u32 s8, s22, 64
	s_addc_u32 s9, s23, 0
	s_getpc_b64 s[0:1]
	s_add_u32 s0, s0, __PRETTY_FUNCTION__._ZN9rocsolver6v33100L17syevj_diag_rotateILb0EffPfEEvbiiT2_iilPT0_Pii@rel32@lo+4
	s_addc_u32 s1, s1, __PRETTY_FUNCTION__._ZN9rocsolver6v33100L17syevj_diag_rotateILb0EffPfEEvbiiT2_iilPT0_Pii@rel32@hi+12
	s_delay_alu instid0(SALU_CYCLE_1) | instskip(SKIP_3) | instid1(SALU_CYCLE_1)
	v_dual_mov_b32 v0, s0 :: v_dual_mov_b32 v1, s1
	s_getpc_b64 s[2:3]
	s_add_u32 s2, s2, __assert_fail@rel32@lo+4
	s_addc_u32 s3, s3, __assert_fail@rel32@hi+12
	s_swappc_b64 s[30:31], s[2:3]
	; divergent unreachable
	s_mov_b32 s0, 0
.LBB11_2:
	s_delay_alu instid0(SALU_CYCLE_1)
	s_and_not1_b32 vcc_lo, exec_lo, s0
	s_cbranch_vccnz .LBB11_35
; %bb.3:
	s_load_b32 s18, s[22:23], 0x38
	s_waitcnt lgkmcnt(0)
	s_cmp_ge_u32 s26, s18
	s_cbranch_scc1 .LBB11_35
; %bb.4:
	s_load_b128 s[12:15], s[22:23], 0x40
	s_sub_i32 s0, 0, s27
	s_add_i32 s1, s38, -1
	s_mul_i32 s0, s0, s28
	s_abs_i32 s17, s1
	s_mul_hi_u32 s0, s28, s0
	s_ashr_i32 s16, s37, 31
	s_add_i32 s28, s28, s0
	s_ashr_i32 s1, s1, 31
	s_cmpk_lt_u32 s25, 0x2001
	s_mul_hi_u32 s0, s17, s28
	s_clause 0x1
	s_load_b256 s[4:11], s[22:23], 0x10
	s_load_b64 s[2:3], s[22:23], 0x30
	s_cselect_b32 s19, -1, 0
	s_bitcmp1_b32 s36, 0
	s_mul_i32 s22, s0, s27
	s_cselect_b32 s20, -1, 0
	s_xor_b32 s1, s1, s16
	s_sub_i32 s16, s17, s22
	s_add_i32 s17, s0, 1
	s_sub_i32 s23, s16, s27
	s_waitcnt lgkmcnt(0)
	s_lshr_b32 s22, s15, 16
	s_and_b32 s15, s15, 0xffff
	s_cmp_ge_u32 s16, s27
	v_and_b32_e32 v0, 0x3ff, v41
	s_cselect_b32 s0, s17, s0
	s_cselect_b32 s16, s23, s16
	s_add_i32 s17, s0, 1
	s_cmp_ge_u32 s16, s27
	v_bfe_u32 v3, v41, 10, 10
	s_cselect_b32 s0, s17, s0
	s_lshl_b32 s16, s25, 2
	s_xor_b32 s0, s0, s1
	s_add_i32 s29, s16, 0
	s_sub_i32 s23, s0, s1
	s_mov_b64 s[0:1], src_shared_base
	s_add_i32 s28, s23, 1
	s_ashr_i32 s41, s6, 31
	v_mad_u64_u32 v[1:2], null, v3, s37, v[0:1]
	s_cmp_lt_u32 s24, s28
	s_mul_i32 s0, s23, s37
	s_mov_b32 s40, s6
	v_mad_u32_u24 v4, v3, s15, v0
	s_cselect_b32 s6, -1, 0
	s_sub_i32 s31, s38, s0
	s_cmp_lt_u32 s21, s28
	v_lshl_add_u32 v6, v1, 2, 0
	s_cselect_b32 s34, -1, 0
	s_ashr_i32 s35, s7, 31
	s_add_u32 s36, s2, 4
	v_cmp_gt_u32_e64 s0, s25, v4
	s_addc_u32 s38, s3, 0
	s_lshl_b64 s[2:3], s[40:41], 2
	v_lshl_add_u32 v5, v4, 2, s29
	v_lshl_add_u32 v7, v0, 2, 0
	v_mov_b32_e32 v2, 0
	s_mov_b32 s30, s1
	s_mul_i32 s33, s22, s15
	s_mul_i32 s1, s37, s22
	s_add_u32 s4, s4, s2
	s_mov_b32 s17, 0
	s_addc_u32 s5, s5, s3
	s_lshl_b32 s39, s33, 2
	s_mul_i32 s40, s21, s37
	s_mul_i32 s41, s13, s37
	s_lshl_b32 s42, s1, 2
	s_lshl_b32 s43, s15, 2
	;; [unrolled: 1-line block ×3, first 2 shown]
	s_branch .LBB11_6
.LBB11_5:                               ;   in Loop: Header=BB11_6 Depth=1
	s_add_i32 s26, s26, s14
	s_delay_alu instid0(SALU_CYCLE_1)
	s_cmp_lt_u32 s26, s18
	s_cbranch_scc0 .LBB11_35
.LBB11_6:                               ; =>This Loop Header: Depth=1
                                        ;     Child Loop BB11_10 Depth 2
                                        ;       Child Loop BB11_13 Depth 3
                                        ;       Child Loop BB11_19 Depth 3
                                        ;         Child Loop BB11_23 Depth 4
                                        ;           Child Loop BB11_25 Depth 5
                                        ;         Child Loop BB11_29 Depth 4
                                        ;           Child Loop BB11_32 Depth 5
                                        ;             Child Loop BB11_34 Depth 6
	s_mov_b32 s27, s17
	s_delay_alu instid0(SALU_CYCLE_1) | instskip(NEXT) | instid1(SALU_CYCLE_1)
	s_lshl_b64 s[2:3], s[26:27], 2
	s_add_u32 s2, s36, s2
	s_addc_u32 s3, s38, s3
	global_load_b32 v1, v2, s[2:3]
	s_waitcnt vmcnt(0)
	v_cmp_ne_u32_e32 vcc_lo, 0, v1
	s_cbranch_vccnz .LBB11_5
; %bb.7:                                ;   in Loop: Header=BB11_6 Depth=1
	s_and_not1_b32 vcc_lo, exec_lo, s6
	s_cbranch_vccnz .LBB11_5
; %bb.8:                                ;   in Loop: Header=BB11_6 Depth=1
	s_mul_i32 s1, s26, s9
	s_mul_hi_u32 s3, s26, s8
	s_mul_i32 s2, s26, s8
	s_add_i32 s3, s3, s1
	s_mul_i32 s27, s26, s28
	s_lshl_b64 s[2:3], s[2:3], 2
	s_mov_b32 s47, s24
	s_add_u32 s45, s4, s2
	s_addc_u32 s46, s5, s3
	s_branch .LBB11_10
.LBB11_9:                               ;   in Loop: Header=BB11_10 Depth=2
	s_add_i32 s47, s47, s12
	s_delay_alu instid0(SALU_CYCLE_1)
	s_cmp_ge_u32 s47, s28
	s_cbranch_scc1 .LBB11_5
.LBB11_10:                              ;   Parent Loop BB11_6 Depth=1
                                        ; =>  This Loop Header: Depth=2
                                        ;       Child Loop BB11_13 Depth 3
                                        ;       Child Loop BB11_19 Depth 3
                                        ;         Child Loop BB11_23 Depth 4
                                        ;           Child Loop BB11_25 Depth 5
                                        ;         Child Loop BB11_29 Depth 4
                                        ;           Child Loop BB11_32 Depth 5
                                        ;             Child Loop BB11_34 Depth 6
	s_add_i32 s1, s47, s27
	s_delay_alu instid0(SALU_CYCLE_1) | instskip(NEXT) | instid1(SALU_CYCLE_1)
	s_mul_i32 s16, s1, s25
	s_lshl_b64 s[2:3], s[16:17], 2
	s_delay_alu instid0(SALU_CYCLE_1)
	s_add_u32 s1, s10, s2
	s_addc_u32 s2, s11, s3
	s_and_not1_b32 vcc_lo, exec_lo, s19
	s_cbranch_vccnz .LBB11_15
; %bb.11:                               ;   in Loop: Header=BB11_10 Depth=2
	s_waitcnt_vscnt null, 0x0
	s_barrier
	buffer_gl0_inv
	s_and_saveexec_b32 s3, s0
	s_cbranch_execz .LBB11_14
; %bb.12:                               ;   in Loop: Header=BB11_10 Depth=2
	v_dual_mov_b32 v8, v5 :: v_dual_mov_b32 v1, v4
	s_mov_b32 s16, 0
.LBB11_13:                              ;   Parent Loop BB11_6 Depth=1
                                        ;     Parent Loop BB11_10 Depth=2
                                        ; =>    This Inner Loop Header: Depth=3
	s_delay_alu instid0(VALU_DEP_1) | instskip(SKIP_1) | instid1(VALU_DEP_2)
	v_lshlrev_b64 v[9:10], 2, v[1:2]
	v_add_nc_u32_e32 v1, s33, v1
	v_add_co_u32 v9, vcc_lo, s1, v9
	s_delay_alu instid0(VALU_DEP_3) | instskip(NEXT) | instid1(VALU_DEP_3)
	v_add_co_ci_u32_e32 v10, vcc_lo, s2, v10, vcc_lo
	v_cmp_le_u32_e32 vcc_lo, s25, v1
	global_load_b32 v9, v[9:10], off
	s_or_b32 s16, vcc_lo, s16
	s_waitcnt vmcnt(0)
	ds_store_b32 v8, v9
	v_add_nc_u32_e32 v8, s39, v8
	s_and_not1_b32 exec_lo, exec_lo, s16
	s_cbranch_execnz .LBB11_13
.LBB11_14:                              ;   in Loop: Header=BB11_10 Depth=2
	s_or_b32 exec_lo, exec_lo, s3
	s_waitcnt lgkmcnt(0)
	s_barrier
	buffer_gl0_inv
.LBB11_15:                              ;   in Loop: Header=BB11_10 Depth=2
	s_and_not1_b32 vcc_lo, exec_lo, s34
	s_cbranch_vccnz .LBB11_9
; %bb.16:                               ;   in Loop: Header=BB11_10 Depth=2
	s_and_b32 s3, s19, exec_lo
	s_cselect_b32 s16, s30, s2
	s_cselect_b32 s48, s29, s1
	s_cmp_eq_u32 s23, s47
	s_mul_i32 s51, s47, s37
	s_cselect_b32 s49, s31, s37
	s_mov_b32 s52, s40
	v_cmp_gt_u32_e64 s1, s49, v3
	s_cmp_gt_i32 s49, 0
	s_mov_b32 s53, s21
	s_cselect_b32 s50, -1, 0
	s_branch .LBB11_19
.LBB11_17:                              ;   in Loop: Header=BB11_19 Depth=3
	s_or_b32 exec_lo, exec_lo, s55
	s_waitcnt_vscnt null, 0x0
	s_barrier
	buffer_gl0_inv
.LBB11_18:                              ;   in Loop: Header=BB11_19 Depth=3
	s_add_i32 s53, s53, s13
	s_add_i32 s52, s52, s41
	s_cmp_ge_u32 s53, s28
	s_cbranch_scc1 .LBB11_9
.LBB11_19:                              ;   Parent Loop BB11_6 Depth=1
                                        ;     Parent Loop BB11_10 Depth=2
                                        ; =>    This Loop Header: Depth=3
                                        ;         Child Loop BB11_23 Depth 4
                                        ;           Child Loop BB11_25 Depth 5
                                        ;         Child Loop BB11_29 Depth 4
                                        ;           Child Loop BB11_32 Depth 5
                                        ;             Child Loop BB11_34 Depth 6
	s_cmp_eq_u32 s47, s53
	s_cselect_b32 s2, -1, 0
	s_delay_alu instid0(SALU_CYCLE_1) | instskip(NEXT) | instid1(SALU_CYCLE_1)
	s_and_b32 s2, s2, s20
	s_and_b32 vcc_lo, exec_lo, s2
	s_cbranch_vccnz .LBB11_18
; %bb.20:                               ;   in Loop: Header=BB11_19 Depth=3
	s_cmp_eq_u32 s23, s53
	s_waitcnt_vscnt null, 0x0
	s_cselect_b32 s54, s31, s37
	s_barrier
	buffer_gl0_inv
	s_and_saveexec_b32 s3, s1
	s_cbranch_execz .LBB11_26
; %bb.21:                               ;   in Loop: Header=BB11_19 Depth=3
	v_cmp_gt_u32_e32 vcc_lo, s54, v0
	v_dual_mov_b32 v8, v6 :: v_dual_mov_b32 v9, v3
	s_mov_b32 s55, 0
	s_set_inst_prefetch_distance 0x1
	s_branch .LBB11_23
	.p2align	6
.LBB11_22:                              ;   in Loop: Header=BB11_23 Depth=4
	s_or_b32 exec_lo, exec_lo, s56
	v_add_nc_u32_e32 v9, s22, v9
	v_add_nc_u32_e32 v8, s42, v8
	s_delay_alu instid0(VALU_DEP_2) | instskip(NEXT) | instid1(VALU_DEP_1)
	v_cmp_le_u32_e64 s2, s49, v9
	s_or_b32 s55, s2, s55
	s_delay_alu instid0(SALU_CYCLE_1)
	s_and_not1_b32 exec_lo, exec_lo, s55
	s_cbranch_execz .LBB11_26
.LBB11_23:                              ;   Parent Loop BB11_6 Depth=1
                                        ;     Parent Loop BB11_10 Depth=2
                                        ;       Parent Loop BB11_19 Depth=3
                                        ; =>      This Loop Header: Depth=4
                                        ;           Child Loop BB11_25 Depth 5
	s_and_saveexec_b32 s56, vcc_lo
	s_cbranch_execz .LBB11_22
; %bb.24:                               ;   in Loop: Header=BB11_23 Depth=4
	v_add_nc_u32_e32 v13, s51, v9
	s_mov_b32 s57, 0
	s_delay_alu instid0(VALU_DEP_1) | instskip(NEXT) | instid1(VALU_DEP_1)
	v_mad_u64_u32 v[10:11], null, v13, s7, 0
	v_mov_b32_e32 v1, v11
	s_delay_alu instid0(VALU_DEP_1) | instskip(SKIP_1) | instid1(VALU_DEP_2)
	v_mad_u64_u32 v[11:12], null, v13, s35, v[1:2]
	v_mov_b32_e32 v13, v0
	v_lshlrev_b64 v[11:12], 2, v[10:11]
	v_mov_b32_e32 v10, v8
	s_delay_alu instid0(VALU_DEP_2) | instskip(NEXT) | instid1(VALU_DEP_1)
	v_add_co_u32 v11, s2, s45, v11
	v_add_co_ci_u32_e64 v12, s2, s46, v12, s2
	.p2align	6
.LBB11_25:                              ;   Parent Loop BB11_6 Depth=1
                                        ;     Parent Loop BB11_10 Depth=2
                                        ;       Parent Loop BB11_19 Depth=3
                                        ;         Parent Loop BB11_23 Depth=4
                                        ; =>        This Inner Loop Header: Depth=5
	v_add_nc_u32_e32 v1, s52, v13
	v_add_nc_u32_e32 v13, s15, v13
	s_delay_alu instid0(VALU_DEP_2) | instskip(NEXT) | instid1(VALU_DEP_1)
	v_lshlrev_b64 v[14:15], 2, v[1:2]
	v_add_co_u32 v14, s2, v11, v14
	s_delay_alu instid0(VALU_DEP_1) | instskip(NEXT) | instid1(VALU_DEP_4)
	v_add_co_ci_u32_e64 v15, s2, v12, v15, s2
	v_cmp_le_u32_e64 s2, s54, v13
	global_load_b32 v1, v[14:15], off
	s_or_b32 s57, s2, s57
	s_waitcnt vmcnt(0)
	ds_store_b32 v10, v1
	v_add_nc_u32_e32 v10, s43, v10
	s_and_not1_b32 exec_lo, exec_lo, s57
	s_cbranch_execnz .LBB11_25
	s_branch .LBB11_22
.LBB11_26:                              ;   in Loop: Header=BB11_19 Depth=3
	s_set_inst_prefetch_distance 0x2
	s_or_b32 exec_lo, exec_lo, s3
	s_waitcnt lgkmcnt(0)
	s_barrier
	buffer_gl0_inv
	s_and_saveexec_b32 s55, s1
	s_cbranch_execz .LBB11_17
; %bb.27:                               ;   in Loop: Header=BB11_19 Depth=3
	v_cmp_gt_u32_e64 s2, s54, v0
	v_mov_b32_e32 v8, v3
	s_mul_i32 s56, s53, s37
	s_mov_b32 s57, 0
	s_branch .LBB11_29
.LBB11_28:                              ;   in Loop: Header=BB11_29 Depth=4
	s_set_inst_prefetch_distance 0x2
	s_or_b32 exec_lo, exec_lo, s58
	v_add_nc_u32_e32 v8, s22, v8
	s_delay_alu instid0(VALU_DEP_1) | instskip(SKIP_1) | instid1(SALU_CYCLE_1)
	v_cmp_le_u32_e32 vcc_lo, s49, v8
	s_or_b32 s57, vcc_lo, s57
	s_and_not1_b32 exec_lo, exec_lo, s57
	s_cbranch_execz .LBB11_17
.LBB11_29:                              ;   Parent Loop BB11_6 Depth=1
                                        ;     Parent Loop BB11_10 Depth=2
                                        ;       Parent Loop BB11_19 Depth=3
                                        ; =>      This Loop Header: Depth=4
                                        ;           Child Loop BB11_32 Depth 5
                                        ;             Child Loop BB11_34 Depth 6
	s_and_saveexec_b32 s58, s2
	s_cbranch_execz .LBB11_28
; %bb.30:                               ;   in Loop: Header=BB11_29 Depth=4
	v_add_nc_u32_e32 v12, s51, v8
	s_mov_b32 s59, 0
	s_delay_alu instid0(VALU_DEP_1) | instskip(NEXT) | instid1(VALU_DEP_1)
	v_mad_u64_u32 v[9:10], null, v12, s7, 0
	v_mov_b32_e32 v1, v10
	s_delay_alu instid0(VALU_DEP_1) | instskip(SKIP_1) | instid1(VALU_DEP_2)
	v_mad_u64_u32 v[10:11], null, v12, s35, v[1:2]
	v_mov_b32_e32 v12, v0
	v_lshlrev_b64 v[10:11], 2, v[9:10]
	v_mov_b32_e32 v9, v7
	s_delay_alu instid0(VALU_DEP_2) | instskip(NEXT) | instid1(VALU_DEP_3)
	v_add_co_u32 v10, vcc_lo, s45, v10
	v_add_co_ci_u32_e32 v11, vcc_lo, s46, v11, vcc_lo
	s_set_inst_prefetch_distance 0x1
	s_branch .LBB11_32
	.p2align	6
.LBB11_31:                              ;   in Loop: Header=BB11_32 Depth=5
	v_add_nc_u32_e32 v1, s56, v12
	v_add_nc_u32_e32 v12, s15, v12
	;; [unrolled: 1-line block ×3, first 2 shown]
	s_delay_alu instid0(VALU_DEP_3) | instskip(NEXT) | instid1(VALU_DEP_3)
	v_lshlrev_b64 v[14:15], 2, v[1:2]
	v_cmp_le_u32_e32 vcc_lo, s54, v12
	s_or_b32 s59, vcc_lo, s59
	s_delay_alu instid0(VALU_DEP_2) | instskip(NEXT) | instid1(VALU_DEP_1)
	v_add_co_u32 v14, s3, v10, v14
	v_add_co_ci_u32_e64 v15, s3, v11, v15, s3
	global_store_b32 v[14:15], v13, off
	s_and_not1_b32 exec_lo, exec_lo, s59
	s_cbranch_execz .LBB11_28
.LBB11_32:                              ;   Parent Loop BB11_6 Depth=1
                                        ;     Parent Loop BB11_10 Depth=2
                                        ;       Parent Loop BB11_19 Depth=3
                                        ;         Parent Loop BB11_29 Depth=4
                                        ; =>        This Loop Header: Depth=5
                                        ;             Child Loop BB11_34 Depth 6
	v_mov_b32_e32 v13, 0
	s_and_not1_b32 vcc_lo, exec_lo, s50
	s_cbranch_vccnz .LBB11_31
; %bb.33:                               ;   in Loop: Header=BB11_32 Depth=5
	v_dual_mov_b32 v14, v9 :: v_dual_mov_b32 v1, v8
	s_mov_b32 s3, s49
.LBB11_34:                              ;   Parent Loop BB11_6 Depth=1
                                        ;     Parent Loop BB11_10 Depth=2
                                        ;       Parent Loop BB11_19 Depth=3
                                        ;         Parent Loop BB11_29 Depth=4
                                        ;           Parent Loop BB11_32 Depth=5
                                        ; =>          This Inner Loop Header: Depth=6
	s_delay_alu instid0(VALU_DEP_1) | instskip(SKIP_2) | instid1(SALU_CYCLE_1)
	v_lshlrev_b64 v[15:16], 2, v[1:2]
	v_add_nc_u32_e32 v1, s37, v1
	s_add_i32 s3, s3, -1
	s_cmp_eq_u32 s3, 0
	s_delay_alu instid0(VALU_DEP_2) | instskip(NEXT) | instid1(VALU_DEP_3)
	v_add_co_u32 v15, vcc_lo, s48, v15
	v_add_co_ci_u32_e32 v16, vcc_lo, s16, v16, vcc_lo
	flat_load_b32 v15, v[15:16]
	ds_load_b32 v16, v14
	s_waitcnt vmcnt(0) lgkmcnt(0)
	v_dual_fmac_f32 v13, v16, v15 :: v_dual_add_nc_u32 v14, s44, v14
	s_cbranch_scc0 .LBB11_34
	s_branch .LBB11_31
.LBB11_35:
	s_endpgm
	.section	.rodata,"a",@progbits
	.p2align	6, 0x0
	.amdhsa_kernel _ZN9rocsolver6v33100L17syevj_diag_rotateILb0EffPfEEvbiiT2_iilPT0_Pii
		.amdhsa_group_segment_fixed_size 0
		.amdhsa_private_segment_fixed_size 64
		.amdhsa_kernarg_size 320
		.amdhsa_user_sgpr_count 13
		.amdhsa_user_sgpr_dispatch_ptr 0
		.amdhsa_user_sgpr_queue_ptr 0
		.amdhsa_user_sgpr_kernarg_segment_ptr 1
		.amdhsa_user_sgpr_dispatch_id 0
		.amdhsa_user_sgpr_private_segment_size 0
		.amdhsa_wavefront_size32 1
		.amdhsa_uses_dynamic_stack 0
		.amdhsa_enable_private_segment 1
		.amdhsa_system_sgpr_workgroup_id_x 1
		.amdhsa_system_sgpr_workgroup_id_y 1
		.amdhsa_system_sgpr_workgroup_id_z 1
		.amdhsa_system_sgpr_workgroup_info 0
		.amdhsa_system_vgpr_workitem_id 1
		.amdhsa_next_free_vgpr 42
		.amdhsa_next_free_sgpr 60
		.amdhsa_reserve_vcc 1
		.amdhsa_float_round_mode_32 0
		.amdhsa_float_round_mode_16_64 0
		.amdhsa_float_denorm_mode_32 3
		.amdhsa_float_denorm_mode_16_64 3
		.amdhsa_dx10_clamp 1
		.amdhsa_ieee_mode 1
		.amdhsa_fp16_overflow 0
		.amdhsa_workgroup_processor_mode 1
		.amdhsa_memory_ordered 1
		.amdhsa_forward_progress 0
		.amdhsa_shared_vgpr_count 0
		.amdhsa_exception_fp_ieee_invalid_op 0
		.amdhsa_exception_fp_denorm_src 0
		.amdhsa_exception_fp_ieee_div_zero 0
		.amdhsa_exception_fp_ieee_overflow 0
		.amdhsa_exception_fp_ieee_underflow 0
		.amdhsa_exception_fp_ieee_inexact 0
		.amdhsa_exception_int_div_zero 0
	.end_amdhsa_kernel
	.section	.text._ZN9rocsolver6v33100L17syevj_diag_rotateILb0EffPfEEvbiiT2_iilPT0_Pii,"axG",@progbits,_ZN9rocsolver6v33100L17syevj_diag_rotateILb0EffPfEEvbiiT2_iilPT0_Pii,comdat
.Lfunc_end11:
	.size	_ZN9rocsolver6v33100L17syevj_diag_rotateILb0EffPfEEvbiiT2_iilPT0_Pii, .Lfunc_end11-_ZN9rocsolver6v33100L17syevj_diag_rotateILb0EffPfEEvbiiT2_iilPT0_Pii
                                        ; -- End function
	.section	.AMDGPU.csdata,"",@progbits
; Kernel info:
; codeLenInByte = 1536
; NumSgprs: 62
; NumVgprs: 42
; ScratchSize: 64
; MemoryBound: 0
; FloatMode: 240
; IeeeMode: 1
; LDSByteSize: 0 bytes/workgroup (compile time only)
; SGPRBlocks: 7
; VGPRBlocks: 5
; NumSGPRsForWavesPerEU: 62
; NumVGPRsForWavesPerEU: 42
; Occupancy: 16
; WaveLimiterHint : 1
; COMPUTE_PGM_RSRC2:SCRATCH_EN: 1
; COMPUTE_PGM_RSRC2:USER_SGPR: 13
; COMPUTE_PGM_RSRC2:TRAP_HANDLER: 0
; COMPUTE_PGM_RSRC2:TGID_X_EN: 1
; COMPUTE_PGM_RSRC2:TGID_Y_EN: 1
; COMPUTE_PGM_RSRC2:TGID_Z_EN: 1
; COMPUTE_PGM_RSRC2:TIDIG_COMP_CNT: 1
	.section	.text._ZN9rocsolver6v33100L17syevj_diag_rotateILb1EffPfEEvbiiT2_iilPT0_Pii,"axG",@progbits,_ZN9rocsolver6v33100L17syevj_diag_rotateILb1EffPfEEvbiiT2_iilPT0_Pii,comdat
	.globl	_ZN9rocsolver6v33100L17syevj_diag_rotateILb1EffPfEEvbiiT2_iilPT0_Pii ; -- Begin function _ZN9rocsolver6v33100L17syevj_diag_rotateILb1EffPfEEvbiiT2_iilPT0_Pii
	.p2align	8
	.type	_ZN9rocsolver6v33100L17syevj_diag_rotateILb1EffPfEEvbiiT2_iilPT0_Pii,@function
_ZN9rocsolver6v33100L17syevj_diag_rotateILb1EffPfEEvbiiT2_iilPT0_Pii: ; @_ZN9rocsolver6v33100L17syevj_diag_rotateILb1EffPfEEvbiiT2_iilPT0_Pii
; %bb.0:
	s_load_b128 s[36:39], s[0:1], 0x0
	v_mov_b32_e32 v41, v0
	s_mov_b32 s26, s15
	s_mov_b64 s[22:23], s[0:1]
	s_mov_b32 s21, s14
	s_mov_b32 s24, s13
	s_mov_b32 s0, -1
	s_mov_b32 s32, 0
	s_waitcnt lgkmcnt(0)
	s_abs_i32 s27, s37
	s_mul_i32 s25, s37, s37
	v_cvt_f32_u32_e32 v0, s27
	s_cmpk_lt_u32 s25, 0x4001
	s_delay_alu instid0(VALU_DEP_1) | instskip(SKIP_2) | instid1(VALU_DEP_1)
	v_rcp_iflag_f32_e32 v0, v0
	s_waitcnt_depctr 0xfff
	v_mul_f32_e32 v0, 0x4f7ffffe, v0
	v_cvt_u32_f32_e32 v0, v0
	s_delay_alu instid0(VALU_DEP_1)
	v_readfirstlane_b32 s28, v0
	s_cbranch_scc1 .LBB12_2
; %bb.1:
	s_add_u32 s8, s22, 64
	s_addc_u32 s9, s23, 0
	s_getpc_b64 s[0:1]
	s_add_u32 s0, s0, __PRETTY_FUNCTION__._ZN9rocsolver6v33100L17syevj_diag_rotateILb1EffPfEEvbiiT2_iilPT0_Pii@rel32@lo+4
	s_addc_u32 s1, s1, __PRETTY_FUNCTION__._ZN9rocsolver6v33100L17syevj_diag_rotateILb1EffPfEEvbiiT2_iilPT0_Pii@rel32@hi+12
	s_delay_alu instid0(SALU_CYCLE_1) | instskip(SKIP_3) | instid1(SALU_CYCLE_1)
	v_dual_mov_b32 v0, s0 :: v_dual_mov_b32 v1, s1
	s_getpc_b64 s[2:3]
	s_add_u32 s2, s2, __assert_fail@rel32@lo+4
	s_addc_u32 s3, s3, __assert_fail@rel32@hi+12
	s_swappc_b64 s[30:31], s[2:3]
	; divergent unreachable
	s_mov_b32 s0, 0
.LBB12_2:
	s_delay_alu instid0(SALU_CYCLE_1)
	s_and_not1_b32 vcc_lo, exec_lo, s0
	s_cbranch_vccnz .LBB12_35
; %bb.3:
	s_load_b32 s16, s[22:23], 0x38
	s_waitcnt lgkmcnt(0)
	s_cmp_ge_u32 s26, s16
	s_cbranch_scc1 .LBB12_35
; %bb.4:
	s_load_b128 s[12:15], s[22:23], 0x40
	s_sub_i32 s0, 0, s27
	s_add_i32 s1, s38, -1
	s_mul_i32 s0, s0, s28
	s_abs_i32 s3, s1
	s_mul_hi_u32 s0, s28, s0
	s_ashr_i32 s2, s37, 31
	s_add_i32 s28, s28, s0
	s_ashr_i32 s1, s1, 31
	s_cmpk_lt_u32 s25, 0x2001
	s_mul_hi_u32 s0, s3, s28
	s_clause 0x1
	s_load_b256 s[4:11], s[22:23], 0x10
	s_load_b64 s[34:35], s[22:23], 0x30
	s_cselect_b32 s17, -1, 0
	s_bitcmp1_b32 s36, 0
	s_mul_i32 s19, s0, s27
	s_cselect_b32 s18, -1, 0
	s_xor_b32 s1, s1, s2
	s_sub_i32 s2, s3, s19
	s_add_i32 s3, s0, 1
	s_sub_i32 s20, s2, s27
	s_waitcnt lgkmcnt(0)
	s_lshr_b32 s19, s15, 16
	s_and_b32 s15, s15, 0xffff
	v_bfe_u32 v3, v41, 10, 10
	s_cmp_ge_u32 s2, s27
	v_and_b32_e32 v2, 0x3ff, v41
	s_cselect_b32 s0, s3, s0
	s_cselect_b32 s2, s20, s2
	s_add_i32 s3, s0, 1
	v_mul_lo_u32 v0, v3, s37
	s_cmp_ge_u32 s2, s27
	s_mov_b32 s40, s6
	s_cselect_b32 s0, s3, s0
	s_lshl_b32 s2, s25, 2
	s_xor_b32 s0, s0, s1
	s_add_i32 s23, s2, 0
	s_sub_i32 s20, s0, s1
	v_add_nc_u32_e32 v1, v2, v0
	s_add_i32 s22, s20, 1
	s_mov_b64 s[0:1], src_shared_base
	s_ashr_i32 s41, s6, 31
	s_cmp_lt_u32 s24, s22
	s_mul_i32 s0, s20, s37
	s_cselect_b32 s6, -1, 0
	s_sub_i32 s29, s38, s0
	v_lshl_add_u32 v6, v1, 2, 0
	v_mov_b32_e32 v1, 0
	v_mad_u32_u24 v4, v3, s15, v2
	s_cmp_lt_u32 s21, s22
	v_lshl_add_u32 v7, v0, 2, 0
	s_cselect_b32 s31, -1, 0
	s_ashr_i32 s33, s7, 31
	s_add_u32 s34, s34, 4
	v_cmp_gt_u32_e64 s0, s25, v4
	s_addc_u32 s35, s35, 0
	s_lshl_b64 s[38:39], s[40:41], 2
	v_lshl_add_u32 v5, v4, 2, s23
	s_mov_b32 s28, s1
	s_mul_i32 s30, s19, s15
	s_mul_i32 s1, s37, s19
	s_add_u32 s4, s4, s38
	s_mov_b32 s3, 0
	s_addc_u32 s5, s5, s39
	s_lshl_b32 s36, s30, 2
	s_mul_i32 s38, s24, s37
	s_mul_i32 s39, s12, s37
	s_lshl_b32 s40, s1, 2
	s_lshl_b32 s41, s15, 2
	s_branch .LBB12_6
.LBB12_5:                               ;   in Loop: Header=BB12_6 Depth=1
	s_add_i32 s26, s26, s14
	s_delay_alu instid0(SALU_CYCLE_1)
	s_cmp_lt_u32 s26, s16
	s_cbranch_scc0 .LBB12_35
.LBB12_6:                               ; =>This Loop Header: Depth=1
                                        ;     Child Loop BB12_10 Depth 2
                                        ;       Child Loop BB12_13 Depth 3
                                        ;       Child Loop BB12_19 Depth 3
                                        ;         Child Loop BB12_23 Depth 4
                                        ;           Child Loop BB12_25 Depth 5
                                        ;         Child Loop BB12_29 Depth 4
                                        ;           Child Loop BB12_32 Depth 5
                                        ;             Child Loop BB12_34 Depth 6
	s_mov_b32 s27, s3
	s_delay_alu instid0(SALU_CYCLE_1) | instskip(NEXT) | instid1(SALU_CYCLE_1)
	s_lshl_b64 s[42:43], s[26:27], 2
	s_add_u32 s42, s34, s42
	s_addc_u32 s43, s35, s43
	global_load_b32 v0, v1, s[42:43]
	s_waitcnt vmcnt(0)
	v_cmp_ne_u32_e32 vcc_lo, 0, v0
	s_cbranch_vccnz .LBB12_5
; %bb.7:                                ;   in Loop: Header=BB12_6 Depth=1
	s_and_not1_b32 vcc_lo, exec_lo, s6
	s_cbranch_vccnz .LBB12_5
; %bb.8:                                ;   in Loop: Header=BB12_6 Depth=1
	s_mul_i32 s1, s26, s9
	s_mul_hi_u32 s2, s26, s8
	s_mul_i32 s42, s26, s8
	s_add_i32 s43, s2, s1
	s_mul_i32 s27, s26, s22
	s_lshl_b64 s[42:43], s[42:43], 2
	s_mov_b32 s44, s38
	s_add_u32 s42, s4, s42
	s_addc_u32 s43, s5, s43
	s_mov_b32 s45, s24
	s_branch .LBB12_10
.LBB12_9:                               ;   in Loop: Header=BB12_10 Depth=2
	s_add_i32 s45, s45, s12
	s_add_i32 s44, s44, s39
	s_cmp_ge_u32 s45, s22
	s_cbranch_scc1 .LBB12_5
.LBB12_10:                              ;   Parent Loop BB12_6 Depth=1
                                        ; =>  This Loop Header: Depth=2
                                        ;       Child Loop BB12_13 Depth 3
                                        ;       Child Loop BB12_19 Depth 3
                                        ;         Child Loop BB12_23 Depth 4
                                        ;           Child Loop BB12_25 Depth 5
                                        ;         Child Loop BB12_29 Depth 4
                                        ;           Child Loop BB12_32 Depth 5
                                        ;             Child Loop BB12_34 Depth 6
	s_add_i32 s1, s45, s27
	s_delay_alu instid0(SALU_CYCLE_1) | instskip(NEXT) | instid1(SALU_CYCLE_1)
	s_mul_i32 s2, s1, s25
	s_lshl_b64 s[46:47], s[2:3], 2
	s_delay_alu instid0(SALU_CYCLE_1)
	s_add_u32 s1, s10, s46
	s_addc_u32 s2, s11, s47
	s_and_not1_b32 vcc_lo, exec_lo, s17
	s_cbranch_vccnz .LBB12_15
; %bb.11:                               ;   in Loop: Header=BB12_10 Depth=2
	s_waitcnt_vscnt null, 0x0
	s_barrier
	buffer_gl0_inv
	s_and_saveexec_b32 s46, s0
	s_cbranch_execz .LBB12_14
; %bb.12:                               ;   in Loop: Header=BB12_10 Depth=2
	v_mov_b32_e32 v8, v5
	v_mov_b32_e32 v0, v4
	s_mov_b32 s47, 0
.LBB12_13:                              ;   Parent Loop BB12_6 Depth=1
                                        ;     Parent Loop BB12_10 Depth=2
                                        ; =>    This Inner Loop Header: Depth=3
	s_delay_alu instid0(VALU_DEP_1) | instskip(SKIP_1) | instid1(VALU_DEP_2)
	v_lshlrev_b64 v[9:10], 2, v[0:1]
	v_add_nc_u32_e32 v0, s30, v0
	v_add_co_u32 v9, vcc_lo, s1, v9
	s_delay_alu instid0(VALU_DEP_3) | instskip(NEXT) | instid1(VALU_DEP_3)
	v_add_co_ci_u32_e32 v10, vcc_lo, s2, v10, vcc_lo
	v_cmp_le_u32_e32 vcc_lo, s25, v0
	global_load_b32 v9, v[9:10], off
	s_or_b32 s47, vcc_lo, s47
	s_waitcnt vmcnt(0)
	ds_store_b32 v8, v9
	v_add_nc_u32_e32 v8, s36, v8
	s_and_not1_b32 exec_lo, exec_lo, s47
	s_cbranch_execnz .LBB12_13
.LBB12_14:                              ;   in Loop: Header=BB12_10 Depth=2
	s_or_b32 exec_lo, exec_lo, s46
	s_waitcnt lgkmcnt(0)
	s_barrier
	buffer_gl0_inv
.LBB12_15:                              ;   in Loop: Header=BB12_10 Depth=2
	s_and_not1_b32 vcc_lo, exec_lo, s31
	s_cbranch_vccnz .LBB12_9
; %bb.16:                               ;   in Loop: Header=BB12_10 Depth=2
	s_and_b32 s46, s17, exec_lo
	s_cselect_b32 s46, s28, s2
	s_cselect_b32 s47, s23, s1
	s_cmp_eq_u32 s20, s45
	s_mul_i32 s50, s45, s37
	s_cselect_b32 s48, s29, s37
	s_mov_b32 s51, s21
	v_cmp_gt_u32_e64 s1, s48, v2
	s_cmp_gt_i32 s48, 0
	s_cselect_b32 s49, -1, 0
	s_branch .LBB12_19
.LBB12_17:                              ;   in Loop: Header=BB12_19 Depth=3
	s_or_b32 exec_lo, exec_lo, s54
	s_waitcnt_vscnt null, 0x0
	s_barrier
	buffer_gl0_inv
.LBB12_18:                              ;   in Loop: Header=BB12_19 Depth=3
	s_add_i32 s51, s51, s13
	s_delay_alu instid0(SALU_CYCLE_1)
	s_cmp_ge_u32 s51, s22
	s_cbranch_scc1 .LBB12_9
.LBB12_19:                              ;   Parent Loop BB12_6 Depth=1
                                        ;     Parent Loop BB12_10 Depth=2
                                        ; =>    This Loop Header: Depth=3
                                        ;         Child Loop BB12_23 Depth 4
                                        ;           Child Loop BB12_25 Depth 5
                                        ;         Child Loop BB12_29 Depth 4
                                        ;           Child Loop BB12_32 Depth 5
                                        ;             Child Loop BB12_34 Depth 6
	s_cmp_eq_u32 s45, s51
	s_cselect_b32 s2, -1, 0
	s_delay_alu instid0(SALU_CYCLE_1) | instskip(NEXT) | instid1(SALU_CYCLE_1)
	s_and_b32 s2, s2, s18
	s_and_b32 vcc_lo, exec_lo, s2
	s_cbranch_vccnz .LBB12_18
; %bb.20:                               ;   in Loop: Header=BB12_19 Depth=3
	s_cmp_eq_u32 s20, s51
	s_mul_i32 s53, s51, s37
	s_cselect_b32 s52, s29, s37
	s_waitcnt_vscnt null, 0x0
	v_cmp_gt_u32_e32 vcc_lo, s52, v3
	s_barrier
	buffer_gl0_inv
	s_and_saveexec_b32 s54, vcc_lo
	s_cbranch_execz .LBB12_26
; %bb.21:                               ;   in Loop: Header=BB12_19 Depth=3
	v_dual_mov_b32 v8, v6 :: v_dual_mov_b32 v9, v3
	s_mov_b32 s55, 0
	s_set_inst_prefetch_distance 0x1
	s_branch .LBB12_23
	.p2align	6
.LBB12_22:                              ;   in Loop: Header=BB12_23 Depth=4
	s_or_b32 exec_lo, exec_lo, s56
	v_add_nc_u32_e32 v9, s19, v9
	v_add_nc_u32_e32 v8, s40, v8
	s_delay_alu instid0(VALU_DEP_2) | instskip(NEXT) | instid1(VALU_DEP_1)
	v_cmp_le_u32_e64 s2, s52, v9
	s_or_b32 s55, s2, s55
	s_delay_alu instid0(SALU_CYCLE_1)
	s_and_not1_b32 exec_lo, exec_lo, s55
	s_cbranch_execz .LBB12_26
.LBB12_23:                              ;   Parent Loop BB12_6 Depth=1
                                        ;     Parent Loop BB12_10 Depth=2
                                        ;       Parent Loop BB12_19 Depth=3
                                        ; =>      This Loop Header: Depth=4
                                        ;           Child Loop BB12_25 Depth 5
	s_and_saveexec_b32 s56, s1
	s_cbranch_execz .LBB12_22
; %bb.24:                               ;   in Loop: Header=BB12_23 Depth=4
	v_add_nc_u32_e32 v13, s53, v9
	s_mov_b32 s57, 0
	s_delay_alu instid0(VALU_DEP_1) | instskip(NEXT) | instid1(VALU_DEP_1)
	v_mad_u64_u32 v[10:11], null, v13, s7, 0
	v_mov_b32_e32 v0, v11
	s_delay_alu instid0(VALU_DEP_1) | instskip(SKIP_1) | instid1(VALU_DEP_2)
	v_mad_u64_u32 v[11:12], null, v13, s33, v[0:1]
	v_mov_b32_e32 v13, v2
	v_lshlrev_b64 v[11:12], 2, v[10:11]
	v_mov_b32_e32 v10, v8
	s_delay_alu instid0(VALU_DEP_2) | instskip(NEXT) | instid1(VALU_DEP_1)
	v_add_co_u32 v11, s2, s42, v11
	v_add_co_ci_u32_e64 v12, s2, s43, v12, s2
	.p2align	6
.LBB12_25:                              ;   Parent Loop BB12_6 Depth=1
                                        ;     Parent Loop BB12_10 Depth=2
                                        ;       Parent Loop BB12_19 Depth=3
                                        ;         Parent Loop BB12_23 Depth=4
                                        ; =>        This Inner Loop Header: Depth=5
	v_add_nc_u32_e32 v0, s44, v13
	v_add_nc_u32_e32 v13, s15, v13
	s_delay_alu instid0(VALU_DEP_2) | instskip(NEXT) | instid1(VALU_DEP_1)
	v_lshlrev_b64 v[14:15], 2, v[0:1]
	v_add_co_u32 v14, s2, v11, v14
	s_delay_alu instid0(VALU_DEP_1) | instskip(NEXT) | instid1(VALU_DEP_4)
	v_add_co_ci_u32_e64 v15, s2, v12, v15, s2
	v_cmp_le_u32_e64 s2, s48, v13
	global_load_b32 v0, v[14:15], off
	s_or_b32 s57, s2, s57
	s_waitcnt vmcnt(0)
	ds_store_b32 v10, v0
	v_add_nc_u32_e32 v10, s41, v10
	s_and_not1_b32 exec_lo, exec_lo, s57
	s_cbranch_execnz .LBB12_25
	s_branch .LBB12_22
.LBB12_26:                              ;   in Loop: Header=BB12_19 Depth=3
	s_set_inst_prefetch_distance 0x2
	s_or_b32 exec_lo, exec_lo, s54
	s_waitcnt lgkmcnt(0)
	s_barrier
	buffer_gl0_inv
	s_and_saveexec_b32 s54, vcc_lo
	s_cbranch_execz .LBB12_17
; %bb.27:                               ;   in Loop: Header=BB12_19 Depth=3
	v_mov_b32_e32 v8, v7
	v_mov_b32_e32 v9, v3
	s_mov_b32 s55, 0
	s_branch .LBB12_29
.LBB12_28:                              ;   in Loop: Header=BB12_29 Depth=4
	s_set_inst_prefetch_distance 0x2
	s_or_b32 exec_lo, exec_lo, s56
	v_add_nc_u32_e32 v9, s19, v9
	v_add_nc_u32_e32 v8, s40, v8
	s_delay_alu instid0(VALU_DEP_2) | instskip(SKIP_1) | instid1(SALU_CYCLE_1)
	v_cmp_le_u32_e32 vcc_lo, s52, v9
	s_or_b32 s55, vcc_lo, s55
	s_and_not1_b32 exec_lo, exec_lo, s55
	s_cbranch_execz .LBB12_17
.LBB12_29:                              ;   Parent Loop BB12_6 Depth=1
                                        ;     Parent Loop BB12_10 Depth=2
                                        ;       Parent Loop BB12_19 Depth=3
                                        ; =>      This Loop Header: Depth=4
                                        ;           Child Loop BB12_32 Depth 5
                                        ;             Child Loop BB12_34 Depth 6
	s_and_saveexec_b32 s56, s1
	s_cbranch_execz .LBB12_28
; %bb.30:                               ;   in Loop: Header=BB12_29 Depth=4
	v_add_nc_u32_e32 v13, s53, v9
	s_mov_b32 s57, 0
	s_delay_alu instid0(VALU_DEP_1) | instskip(NEXT) | instid1(VALU_DEP_1)
	v_mad_u64_u32 v[10:11], null, v13, s7, 0
	v_mov_b32_e32 v0, v11
	s_delay_alu instid0(VALU_DEP_1) | instskip(SKIP_1) | instid1(VALU_DEP_2)
	v_mad_u64_u32 v[11:12], null, v13, s33, v[0:1]
	v_mov_b32_e32 v12, v2
	v_lshlrev_b64 v[10:11], 2, v[10:11]
	s_delay_alu instid0(VALU_DEP_1) | instskip(NEXT) | instid1(VALU_DEP_2)
	v_add_co_u32 v10, vcc_lo, s42, v10
	v_add_co_ci_u32_e32 v11, vcc_lo, s43, v11, vcc_lo
	s_set_inst_prefetch_distance 0x1
	s_branch .LBB12_32
	.p2align	6
.LBB12_31:                              ;   in Loop: Header=BB12_32 Depth=5
	v_add_nc_u32_e32 v0, s50, v12
	v_add_nc_u32_e32 v12, s15, v12
	s_delay_alu instid0(VALU_DEP_2) | instskip(NEXT) | instid1(VALU_DEP_2)
	v_lshlrev_b64 v[14:15], 2, v[0:1]
	v_cmp_le_u32_e32 vcc_lo, s48, v12
	s_or_b32 s57, vcc_lo, s57
	s_delay_alu instid0(VALU_DEP_2) | instskip(NEXT) | instid1(VALU_DEP_1)
	v_add_co_u32 v14, s2, v10, v14
	v_add_co_ci_u32_e64 v15, s2, v11, v15, s2
	global_store_b32 v[14:15], v13, off
	s_and_not1_b32 exec_lo, exec_lo, s57
	s_cbranch_execz .LBB12_28
.LBB12_32:                              ;   Parent Loop BB12_6 Depth=1
                                        ;     Parent Loop BB12_10 Depth=2
                                        ;       Parent Loop BB12_19 Depth=3
                                        ;         Parent Loop BB12_29 Depth=4
                                        ; =>        This Loop Header: Depth=5
                                        ;             Child Loop BB12_34 Depth 6
	v_mov_b32_e32 v13, 0
	s_and_not1_b32 vcc_lo, exec_lo, s49
	s_cbranch_vccnz .LBB12_31
; %bb.33:                               ;   in Loop: Header=BB12_32 Depth=5
	v_mov_b32_e32 v14, v8
	v_mov_b32_e32 v0, v12
	s_mov_b32 s2, s48
.LBB12_34:                              ;   Parent Loop BB12_6 Depth=1
                                        ;     Parent Loop BB12_10 Depth=2
                                        ;       Parent Loop BB12_19 Depth=3
                                        ;         Parent Loop BB12_29 Depth=4
                                        ;           Parent Loop BB12_32 Depth=5
                                        ; =>          This Inner Loop Header: Depth=6
	s_delay_alu instid0(VALU_DEP_1) | instskip(SKIP_2) | instid1(SALU_CYCLE_1)
	v_lshlrev_b64 v[15:16], 2, v[0:1]
	v_add_nc_u32_e32 v0, s37, v0
	s_add_i32 s2, s2, -1
	s_cmp_eq_u32 s2, 0
	s_delay_alu instid0(VALU_DEP_2) | instskip(NEXT) | instid1(VALU_DEP_3)
	v_add_co_u32 v15, vcc_lo, s47, v15
	v_add_co_ci_u32_e32 v16, vcc_lo, s46, v16, vcc_lo
	flat_load_b32 v15, v[15:16]
	ds_load_b32 v16, v14
	s_waitcnt vmcnt(0) lgkmcnt(0)
	v_dual_fmac_f32 v13, v15, v16 :: v_dual_add_nc_u32 v14, 4, v14
	s_cbranch_scc0 .LBB12_34
	s_branch .LBB12_31
.LBB12_35:
	s_endpgm
	.section	.rodata,"a",@progbits
	.p2align	6, 0x0
	.amdhsa_kernel _ZN9rocsolver6v33100L17syevj_diag_rotateILb1EffPfEEvbiiT2_iilPT0_Pii
		.amdhsa_group_segment_fixed_size 0
		.amdhsa_private_segment_fixed_size 64
		.amdhsa_kernarg_size 320
		.amdhsa_user_sgpr_count 13
		.amdhsa_user_sgpr_dispatch_ptr 0
		.amdhsa_user_sgpr_queue_ptr 0
		.amdhsa_user_sgpr_kernarg_segment_ptr 1
		.amdhsa_user_sgpr_dispatch_id 0
		.amdhsa_user_sgpr_private_segment_size 0
		.amdhsa_wavefront_size32 1
		.amdhsa_uses_dynamic_stack 0
		.amdhsa_enable_private_segment 1
		.amdhsa_system_sgpr_workgroup_id_x 1
		.amdhsa_system_sgpr_workgroup_id_y 1
		.amdhsa_system_sgpr_workgroup_id_z 1
		.amdhsa_system_sgpr_workgroup_info 0
		.amdhsa_system_vgpr_workitem_id 1
		.amdhsa_next_free_vgpr 42
		.amdhsa_next_free_sgpr 58
		.amdhsa_reserve_vcc 1
		.amdhsa_float_round_mode_32 0
		.amdhsa_float_round_mode_16_64 0
		.amdhsa_float_denorm_mode_32 3
		.amdhsa_float_denorm_mode_16_64 3
		.amdhsa_dx10_clamp 1
		.amdhsa_ieee_mode 1
		.amdhsa_fp16_overflow 0
		.amdhsa_workgroup_processor_mode 1
		.amdhsa_memory_ordered 1
		.amdhsa_forward_progress 0
		.amdhsa_shared_vgpr_count 0
		.amdhsa_exception_fp_ieee_invalid_op 0
		.amdhsa_exception_fp_denorm_src 0
		.amdhsa_exception_fp_ieee_div_zero 0
		.amdhsa_exception_fp_ieee_overflow 0
		.amdhsa_exception_fp_ieee_underflow 0
		.amdhsa_exception_fp_ieee_inexact 0
		.amdhsa_exception_int_div_zero 0
	.end_amdhsa_kernel
	.section	.text._ZN9rocsolver6v33100L17syevj_diag_rotateILb1EffPfEEvbiiT2_iilPT0_Pii,"axG",@progbits,_ZN9rocsolver6v33100L17syevj_diag_rotateILb1EffPfEEvbiiT2_iilPT0_Pii,comdat
.Lfunc_end12:
	.size	_ZN9rocsolver6v33100L17syevj_diag_rotateILb1EffPfEEvbiiT2_iilPT0_Pii, .Lfunc_end12-_ZN9rocsolver6v33100L17syevj_diag_rotateILb1EffPfEEvbiiT2_iilPT0_Pii
                                        ; -- End function
	.section	.AMDGPU.csdata,"",@progbits
; Kernel info:
; codeLenInByte = 1528
; NumSgprs: 60
; NumVgprs: 42
; ScratchSize: 64
; MemoryBound: 0
; FloatMode: 240
; IeeeMode: 1
; LDSByteSize: 0 bytes/workgroup (compile time only)
; SGPRBlocks: 7
; VGPRBlocks: 5
; NumSGPRsForWavesPerEU: 60
; NumVGPRsForWavesPerEU: 42
; Occupancy: 16
; WaveLimiterHint : 1
; COMPUTE_PGM_RSRC2:SCRATCH_EN: 1
; COMPUTE_PGM_RSRC2:USER_SGPR: 13
; COMPUTE_PGM_RSRC2:TRAP_HANDLER: 0
; COMPUTE_PGM_RSRC2:TGID_X_EN: 1
; COMPUTE_PGM_RSRC2:TGID_Y_EN: 1
; COMPUTE_PGM_RSRC2:TGID_Z_EN: 1
; COMPUTE_PGM_RSRC2:TIDIG_COMP_CNT: 1
	.section	.text._ZN9rocsolver6v33100L21syevj_offd_kernel_orgIffPfEEviiT1_iilT0_PT_PiS7_S7_,"axG",@progbits,_ZN9rocsolver6v33100L21syevj_offd_kernel_orgIffPfEEviiT1_iilT0_PT_PiS7_S7_,comdat
	.globl	_ZN9rocsolver6v33100L21syevj_offd_kernel_orgIffPfEEviiT1_iilT0_PT_PiS7_S7_ ; -- Begin function _ZN9rocsolver6v33100L21syevj_offd_kernel_orgIffPfEEviiT1_iilT0_PT_PiS7_S7_
	.p2align	8
	.type	_ZN9rocsolver6v33100L21syevj_offd_kernel_orgIffPfEEviiT1_iilT0_PT_PiS7_S7_,@function
_ZN9rocsolver6v33100L21syevj_offd_kernel_orgIffPfEEviiT1_iilT0_PT_PiS7_S7_: ; @_ZN9rocsolver6v33100L21syevj_offd_kernel_orgIffPfEEviiT1_iilT0_PT_PiS7_S7_
; %bb.0:
	s_load_b256 s[4:11], s[0:1], 0x28
	s_mov_b32 s12, s15
	s_ashr_i32 s13, s15, 31
	s_mov_b32 s15, 0
	s_lshl_b64 s[2:3], s[12:13], 2
	s_waitcnt lgkmcnt(0)
	s_add_u32 s2, s10, s2
	s_addc_u32 s3, s11, s3
	s_load_b32 s2, s[2:3], 0x4
	s_waitcnt lgkmcnt(0)
	s_cmp_lg_u32 s2, 0
	s_cbranch_scc1 .LBB13_39
; %bb.1:
	s_lshl_b64 s[2:3], s[14:15], 2
	s_delay_alu instid0(SALU_CYCLE_1)
	s_add_u32 s6, s6, s2
	s_addc_u32 s7, s7, s3
	s_add_u32 s2, s8, s2
	s_addc_u32 s3, s9, s3
	s_load_b32 s6, s[6:7], 0x0
	s_load_b32 s7, s[2:3], 0x0
	s_load_b64 s[8:9], s[0:1], 0x0
	s_waitcnt lgkmcnt(0)
	s_max_i32 s17, s6, s7
	s_delay_alu instid0(SALU_CYCLE_1)
	s_cmp_ge_i32 s17, s8
	s_cbranch_scc1 .LBB13_39
; %bb.2:
	s_load_b32 s8, s[0:1], 0x54
	s_add_u32 s2, s0, 0x48
	v_bfe_u32 v6, v0, 10, 10
	s_addc_u32 s3, s1, 0
	s_min_i32 s18, s6, s7
	s_mov_b32 s6, exec_lo
	s_waitcnt lgkmcnt(0)
	s_and_b32 s8, s8, 0xffff
	s_delay_alu instid0(SALU_CYCLE_1) | instskip(NEXT) | instid1(SALU_CYCLE_1)
	s_mul_i32 s18, s18, s8
	v_add_nc_u32_e32 v20, s18, v6
	s_delay_alu instid0(VALU_DEP_1)
	v_cmpx_gt_i32_e64 s9, v20
	s_cbranch_execz .LBB13_39
; %bb.3:
	s_cmp_eq_u64 s[4:5], 0
	s_mov_b64 s[10:11], 0
	s_cbranch_scc1 .LBB13_5
; %bb.4:
	s_load_b32 s2, s[2:3], 0x0
	s_waitcnt lgkmcnt(0)
	s_mul_i32 s2, s2, s12
	s_delay_alu instid0(SALU_CYCLE_1) | instskip(NEXT) | instid1(SALU_CYCLE_1)
	s_add_i32 s2, s2, s14
	s_mul_i32 s2, s2, s8
	s_delay_alu instid0(SALU_CYCLE_1) | instskip(NEXT) | instid1(SALU_CYCLE_1)
	s_mul_i32 s2, s2, s8
	s_lshl_b32 s2, s2, 2
	s_delay_alu instid0(SALU_CYCLE_1) | instskip(NEXT) | instid1(SALU_CYCLE_1)
	s_ashr_i32 s3, s2, 31
	s_lshl_b64 s[2:3], s[2:3], 2
	s_delay_alu instid0(SALU_CYCLE_1)
	s_add_u32 s10, s4, s2
	s_addc_u32 s11, s5, s3
.LBB13_5:
	s_lshl_b32 s2, s8, 1
	v_and_b32_e32 v0, 0x3ff, v0
	v_add_nc_u32_e32 v7, s8, v6
	v_mul_u32_u24_e32 v21, s2, v6
	s_cmp_lg_u64 s[10:11], 0
	s_cselect_b32 s16, -1, 0
	s_delay_alu instid0(VALU_DEP_2) | instskip(NEXT) | instid1(VALU_DEP_2)
	v_mad_u32_u24 v1, v7, s2, v0
	v_add_lshl_u32 v4, v21, v0, 2
	s_cmp_eq_u64 s[10:11], 0
	s_cbranch_scc1 .LBB13_7
; %bb.6:
	v_dual_mov_b32 v2, 0 :: v_dual_add_nc_u32 v3, s8, v0
	v_cmp_eq_u32_e32 vcc_lo, v0, v6
	v_add_co_u32 v10, s3, s10, v4
	s_delay_alu instid0(VALU_DEP_3) | instskip(NEXT) | instid1(VALU_DEP_4)
	v_mov_b32_e32 v13, v2
	v_mad_u32_u24 v12, v7, s2, v3
	v_lshlrev_b64 v[8:9], 2, v[1:2]
	v_add_lshl_u32 v14, v21, v3, 2
	v_cndmask_b32_e64 v5, 0, 1.0, vcc_lo
	v_add_co_ci_u32_e64 v11, null, s11, 0, s3
	v_lshlrev_b64 v[12:13], 2, v[12:13]
	v_add_co_u32 v8, vcc_lo, s10, v8
	v_add_co_ci_u32_e32 v9, vcc_lo, s11, v9, vcc_lo
	v_add_co_u32 v14, s3, s10, v14
	s_delay_alu instid0(VALU_DEP_4)
	v_add_co_u32 v12, vcc_lo, s10, v12
	v_add_co_ci_u32_e64 v15, null, s11, 0, s3
	v_add_co_ci_u32_e32 v13, vcc_lo, s11, v13, vcc_lo
	s_clause 0x3
	flat_store_b32 v[10:11], v5
	flat_store_b32 v[8:9], v2
	;; [unrolled: 1-line block ×4, first 2 shown]
.LBB13_7:
	s_cmp_eq_u32 s8, 0
	s_cbranch_scc1 .LBB13_39
; %bb.8:
	s_clause 0x2
	s_load_b32 s3, s[0:1], 0x20
	s_load_b128 s[4:7], s[0:1], 0x8
	s_load_b64 s[14:15], s[0:1], 0x18
	v_dual_mov_b32 v2, 0 :: v_dual_add_nc_u32 v3, s18, v0
	v_cvt_f32_u32_e32 v9, s8
	s_mul_i32 s17, s17, s8
	v_cmp_eq_u32_e64 s0, 0, v6
	v_mul_u32_u24_e32 v22, s2, v7
	v_add_nc_u32_e32 v23, s17, v6
	v_rcp_iflag_f32_e32 v9, v9
	v_lshlrev_b64 v[6:7], 2, v[1:2]
	v_lshlrev_b32_e32 v8, 2, v0
	s_lshl_b32 s20, s8, 2
	s_mov_b32 s19, 0x800000
	v_add_co_u32 v4, s1, s10, v4
	s_delay_alu instid0(VALU_DEP_3)
	v_add_co_u32 v6, vcc_lo, s10, v6
	v_add_co_ci_u32_e32 v7, vcc_lo, s11, v7, vcc_lo
	s_waitcnt_depctr 0xfff
	v_mul_f32_e32 v15, 0x4f7ffffe, v9
	s_waitcnt lgkmcnt(0)
	v_div_scale_f32 v14, null, s3, s3, 0x800000
	v_add3_u32 v25, 0, s20, v8
	v_div_scale_f32 v16, vcc_lo, s19, s3, s19
	s_delay_alu instid0(VALU_DEP_3)
	v_rcp_f32_e32 v1, v14
	v_add_nc_u32_e32 v24, 0, v8
	v_mul_lo_u32 v26, v3, s7
	s_mul_i32 s15, s12, s15
	s_mul_hi_u32 s18, s12, s14
	s_mul_i32 s13, s13, s14
	s_add_i32 s15, s18, s15
	s_mul_i32 s12, s12, s14
	s_add_i32 s13, s15, s13
	s_ashr_i32 s19, s6, 31
	s_waitcnt_depctr 0xfff
	v_fma_f32 v8, -v14, v1, 1.0
	s_lshl_b64 s[12:13], s[12:13], 2
	s_mov_b32 s18, s6
	s_add_u32 s4, s4, s12
	s_addc_u32 s6, s5, s13
	v_fmac_f32_e32 v1, v8, v1
	s_lshl_b64 s[12:13], s[18:19], 2
	v_mul_lo_u32 v27, v20, s7
	v_add_nc_u32_e32 v8, v26, v3
	v_cvt_u32_f32_e32 v30, v15
	v_mul_f32_e32 v17, v16, v1
	s_add_u32 s5, s4, s12
	s_addc_u32 s6, s6, s13
	v_mul_lo_u32 v28, v23, s7
	v_ashrrev_i32_e32 v9, 31, v8
	v_fma_f32 v11, -v14, v17, v16
	v_add_nc_u32_e32 v10, v26, v20
	v_add_nc_u32_e32 v12, v26, v23
	v_add_co_ci_u32_e64 v5, null, s11, 0, s1
	s_delay_alu instid0(VALU_DEP_4) | instskip(NEXT) | instid1(VALU_DEP_4)
	v_fmac_f32_e32 v17, v11, v1
	v_ashrrev_i32_e32 v11, 31, v10
	v_lshlrev_b64 v[8:9], 2, v[8:9]
	v_ashrrev_i32_e32 v13, 31, v12
	v_cmp_gt_i32_e64 s1, s9, v3
	v_fma_f32 v14, -v14, v17, v16
	v_add_nc_u32_e32 v16, v28, v3
	v_lshlrev_b64 v[10:11], 2, v[10:11]
	v_lshlrev_b64 v[12:13], 2, v[12:13]
	v_cmp_gt_i32_e64 s2, s9, v23
	v_div_fmas_f32 v1, v14, v1, v17
	v_add_nc_u32_e32 v14, v27, v3
	v_add_co_u32 v8, vcc_lo, s5, v8
	v_ashrrev_i32_e32 v17, 31, v16
	s_delay_alu instid0(VALU_DEP_4)
	v_div_fixup_f32 v29, v1, s3, 0x800000
	s_sub_i32 s3, 0, s8
	v_ashrrev_i32_e32 v15, 31, v14
	v_mul_lo_u32 v1, s3, v30
	v_add_co_ci_u32_e32 v9, vcc_lo, s6, v9, vcc_lo
	v_add_co_u32 v10, vcc_lo, s5, v10
	s_delay_alu instid0(VALU_DEP_4)
	v_lshlrev_b64 v[14:15], 2, v[14:15]
	v_add_co_ci_u32_e32 v11, vcc_lo, s6, v11, vcc_lo
	v_mul_hi_u32 v1, v30, v1
	v_add_co_u32 v12, vcc_lo, s5, v12
	v_lshlrev_b64 v[18:19], 2, v[16:17]
	v_add_co_ci_u32_e32 v13, vcc_lo, s6, v13, vcc_lo
	v_add_co_u32 v14, vcc_lo, s5, v14
	v_add_nc_u32_e32 v30, v30, v1
	v_add_co_ci_u32_e32 v15, vcc_lo, s6, v15, vcc_lo
	v_add_co_u32 v18, vcc_lo, s5, v18
	s_delay_alu instid0(VALU_DEP_3)
	v_mad_u64_u32 v[16:17], null, v0, v30, 0
	v_add_co_ci_u32_e32 v19, vcc_lo, s6, v19, vcc_lo
	s_and_b32 s12, s0, s1
	s_mov_b32 s13, s8
                                        ; implicit-def: $vgpr31
                                        ; implicit-def: $vgpr36
                                        ; implicit-def: $vgpr34
	s_branch .LBB13_10
.LBB13_9:                               ;   in Loop: Header=BB13_10 Depth=1
	s_or_b32 exec_lo, exec_lo, s3
	v_add_co_u32 v16, vcc_lo, v16, v30
	v_add_nc_u32_e32 v0, 1, v0
	v_add_co_ci_u32_e32 v17, vcc_lo, 0, v17, vcc_lo
	s_add_i32 s13, s13, -1
	s_delay_alu instid0(SALU_CYCLE_1)
	s_cmp_lg_u32 s13, 0
	s_cbranch_scc0 .LBB13_39
.LBB13_10:                              ; =>This Inner Loop Header: Depth=1
	s_delay_alu instid0(VALU_DEP_1) | instskip(SKIP_1) | instid1(VALU_DEP_1)
	v_mul_lo_u32 v1, s8, v17
	v_not_b32_e32 v35, v17
	v_mad_u64_u32 v[32:33], null, s8, v35, v[0:1]
	v_sub_nc_u32_e32 v1, v0, v1
	s_delay_alu instid0(VALU_DEP_1) | instskip(NEXT) | instid1(VALU_DEP_3)
	v_cmp_le_u32_e32 vcc_lo, s8, v1
	v_cndmask_b32_e32 v1, v1, v32, vcc_lo
	s_delay_alu instid0(VALU_DEP_1) | instskip(SKIP_1) | instid1(VALU_DEP_2)
	v_subrev_nc_u32_e32 v32, s8, v1
	v_cmp_le_u32_e32 vcc_lo, s8, v1
	v_cndmask_b32_e32 v1, v1, v32, vcc_lo
	s_delay_alu instid0(VALU_DEP_1) | instskip(NEXT) | instid1(VALU_DEP_1)
	v_add_nc_u32_e32 v32, s17, v1
	v_mul_lo_u32 v33, v32, s7
	v_cmp_gt_i32_e64 s3, s9, v32
	s_delay_alu instid0(VALU_DEP_1) | instskip(NEXT) | instid1(SALU_CYCLE_1)
	s_and_b32 s4, s12, s3
	s_and_saveexec_b32 s14, s4
	s_cbranch_execz .LBB13_26
; %bb.11:                               ;   in Loop: Header=BB13_10 Depth=1
	s_delay_alu instid0(VALU_DEP_2) | instskip(SKIP_1) | instid1(VALU_DEP_2)
	v_add_nc_u32_e32 v34, v33, v3
	v_mov_b32_e32 v36, 0
	v_ashrrev_i32_e32 v35, 31, v34
	s_delay_alu instid0(VALU_DEP_1) | instskip(NEXT) | instid1(VALU_DEP_1)
	v_lshlrev_b64 v[34:35], 2, v[34:35]
	v_add_co_u32 v34, vcc_lo, s5, v34
	s_delay_alu instid0(VALU_DEP_2) | instskip(SKIP_3) | instid1(VALU_DEP_1)
	v_add_co_ci_u32_e32 v35, vcc_lo, s6, v35, vcc_lo
	global_load_b32 v35, v[34:35], off
	s_waitcnt vmcnt(0)
	v_mul_f32_e32 v34, v35, v35
	v_cmp_nlt_f32_e32 vcc_lo, v34, v29
	v_mov_b32_e32 v34, 1.0
	s_and_saveexec_b32 s15, vcc_lo
	s_cbranch_execz .LBB13_25
; %bb.12:                               ;   in Loop: Header=BB13_10 Depth=1
	v_add_nc_u32_e32 v36, v33, v32
	s_mov_b32 s4, exec_lo
	s_delay_alu instid0(VALU_DEP_1) | instskip(NEXT) | instid1(VALU_DEP_1)
	v_ashrrev_i32_e32 v37, 31, v36
	v_lshlrev_b64 v[36:37], 2, v[36:37]
	s_delay_alu instid0(VALU_DEP_1) | instskip(NEXT) | instid1(VALU_DEP_2)
	v_add_co_u32 v36, vcc_lo, s5, v36
	v_add_co_ci_u32_e32 v37, vcc_lo, s6, v37, vcc_lo
	s_clause 0x1
	global_load_b32 v34, v[36:37], off
	global_load_b32 v37, v[8:9], off
	v_add_f32_e64 v36, |v35|, |v35|
	s_waitcnt vmcnt(0)
	v_sub_f32_e32 v37, v34, v37
	s_delay_alu instid0(VALU_DEP_1) | instskip(NEXT) | instid1(VALU_DEP_1)
	v_max_f32_e64 v34, |v37|, |v36|
	v_cvt_f64_f32_e32 v[38:39], v34
	s_delay_alu instid0(VALU_DEP_1) | instskip(NEXT) | instid1(VALU_DEP_1)
	v_frexp_exp_i32_f64_e32 v38, v[38:39]
	v_sub_nc_u32_e32 v39, 0, v38
	s_delay_alu instid0(VALU_DEP_1) | instskip(SKIP_1) | instid1(VALU_DEP_2)
	v_ldexp_f32 v40, |v36|, v39
	v_ldexp_f32 v39, |v37|, v39
	v_mul_f32_e32 v40, v40, v40
	s_delay_alu instid0(VALU_DEP_1) | instskip(NEXT) | instid1(VALU_DEP_1)
	v_fmac_f32_e32 v40, v39, v39
                                        ; implicit-def: $vgpr39
	v_sqrt_f32_e32 v40, v40
	v_cmpx_ngt_f32_e32 0, v37
	s_xor_b32 s4, exec_lo, s4
; %bb.13:                               ;   in Loop: Header=BB13_10 Depth=1
	s_waitcnt_depctr 0xfff
	v_ldexp_f32 v38, v40, v38
	v_cmp_neq_f32_e32 vcc_lo, 0x7f800000, v34
                                        ; implicit-def: $vgpr40
                                        ; implicit-def: $vgpr34
	s_delay_alu instid0(VALU_DEP_2)
	v_cndmask_b32_e32 v39, 0x7f800000, v38, vcc_lo
                                        ; implicit-def: $vgpr38
; %bb.14:                               ;   in Loop: Header=BB13_10 Depth=1
	s_and_not1_saveexec_b32 s4, s4
; %bb.15:                               ;   in Loop: Header=BB13_10 Depth=1
	v_ldexp_f32 v38, -v40, v38
	v_cmp_neq_f32_e32 vcc_lo, 0x7f800000, v34
	s_delay_alu instid0(VALU_DEP_2)
	v_cndmask_b32_e32 v39, 0xff800000, v38, vcc_lo
; %bb.16:                               ;   in Loop: Header=BB13_10 Depth=1
	s_or_b32 exec_lo, exec_lo, s4
	v_mov_b32_e32 v34, 1.0
	v_mov_b32_e32 v38, 0
	s_mov_b32 s18, exec_lo
	v_cmpx_neq_f32_e32 0, v36
	s_cbranch_execz .LBB13_24
; %bb.17:                               ;   in Loop: Header=BB13_10 Depth=1
	v_dual_add_f32 v37, v37, v39 :: v_dual_mov_b32 v38, 1.0
	v_mov_b32_e32 v34, 0
	s_mov_b32 s19, exec_lo
	s_delay_alu instid0(VALU_DEP_2)
	v_cmpx_neq_f32_e32 0, v37
	s_cbranch_execz .LBB13_23
; %bb.18:                               ;   in Loop: Header=BB13_10 Depth=1
	s_mov_b32 s20, exec_lo
                                        ; implicit-def: $vgpr38
                                        ; implicit-def: $vgpr34
	v_cmpx_ngt_f32_e64 |v36|, |v37|
	s_xor_b32 s20, exec_lo, s20
	s_cbranch_execz .LBB13_20
; %bb.19:                               ;   in Loop: Header=BB13_10 Depth=1
	v_div_scale_f32 v34, null, v37, v37, -v36
	v_div_scale_f32 v40, vcc_lo, -v36, v37, -v36
	s_delay_alu instid0(VALU_DEP_2) | instskip(SKIP_2) | instid1(VALU_DEP_1)
	v_rcp_f32_e32 v38, v34
	s_waitcnt_depctr 0xfff
	v_fma_f32 v39, -v34, v38, 1.0
	v_fmac_f32_e32 v38, v39, v38
	s_delay_alu instid0(VALU_DEP_1) | instskip(NEXT) | instid1(VALU_DEP_1)
	v_mul_f32_e32 v39, v40, v38
	v_fma_f32 v41, -v34, v39, v40
	s_delay_alu instid0(VALU_DEP_1) | instskip(NEXT) | instid1(VALU_DEP_1)
	v_fmac_f32_e32 v39, v41, v38
	v_fma_f32 v34, -v34, v39, v40
	s_delay_alu instid0(VALU_DEP_1) | instskip(NEXT) | instid1(VALU_DEP_1)
	v_div_fmas_f32 v34, v34, v38, v39
	v_div_fixup_f32 v36, v34, v37, -v36
	s_delay_alu instid0(VALU_DEP_1) | instskip(NEXT) | instid1(VALU_DEP_1)
	v_fma_f32 v34, v36, v36, 1.0
	v_mul_f32_e32 v37, 0x4f800000, v34
	v_cmp_gt_f32_e32 vcc_lo, 0xf800000, v34
	s_delay_alu instid0(VALU_DEP_2) | instskip(NEXT) | instid1(VALU_DEP_1)
	v_cndmask_b32_e32 v34, v34, v37, vcc_lo
	v_sqrt_f32_e32 v37, v34
	s_waitcnt_depctr 0xfff
	v_add_nc_u32_e32 v38, -1, v37
	v_add_nc_u32_e32 v39, 1, v37
	s_delay_alu instid0(VALU_DEP_2) | instskip(NEXT) | instid1(VALU_DEP_2)
	v_fma_f32 v40, -v38, v37, v34
	v_fma_f32 v41, -v39, v37, v34
	s_delay_alu instid0(VALU_DEP_2) | instskip(NEXT) | instid1(VALU_DEP_1)
	v_cmp_ge_f32_e64 s4, 0, v40
	v_cndmask_b32_e64 v37, v37, v38, s4
	s_delay_alu instid0(VALU_DEP_3) | instskip(NEXT) | instid1(VALU_DEP_1)
	v_cmp_lt_f32_e64 s4, 0, v41
	v_cndmask_b32_e64 v37, v37, v39, s4
	s_delay_alu instid0(VALU_DEP_1) | instskip(NEXT) | instid1(VALU_DEP_1)
	v_mul_f32_e32 v38, 0x37800000, v37
	v_cndmask_b32_e32 v37, v37, v38, vcc_lo
	v_cmp_class_f32_e64 vcc_lo, v34, 0x260
	s_delay_alu instid0(VALU_DEP_2) | instskip(NEXT) | instid1(VALU_DEP_1)
	v_cndmask_b32_e32 v34, v37, v34, vcc_lo
	v_div_scale_f32 v37, null, v34, v34, 1.0
	s_delay_alu instid0(VALU_DEP_1) | instskip(SKIP_2) | instid1(VALU_DEP_1)
	v_rcp_f32_e32 v38, v37
	s_waitcnt_depctr 0xfff
	v_fma_f32 v39, -v37, v38, 1.0
	v_fmac_f32_e32 v38, v39, v38
	v_div_scale_f32 v39, vcc_lo, 1.0, v34, 1.0
	s_delay_alu instid0(VALU_DEP_1) | instskip(NEXT) | instid1(VALU_DEP_1)
	v_mul_f32_e32 v40, v39, v38
	v_fma_f32 v41, -v37, v40, v39
	s_delay_alu instid0(VALU_DEP_1) | instskip(NEXT) | instid1(VALU_DEP_1)
	v_fmac_f32_e32 v40, v41, v38
	v_fma_f32 v37, -v37, v40, v39
	s_delay_alu instid0(VALU_DEP_1) | instskip(NEXT) | instid1(VALU_DEP_1)
	v_div_fmas_f32 v37, v37, v38, v40
	v_div_fixup_f32 v34, v37, v34, 1.0
                                        ; implicit-def: $vgpr37
	s_delay_alu instid0(VALU_DEP_1)
	v_mul_f32_e32 v38, v36, v34
                                        ; implicit-def: $vgpr36
.LBB13_20:                              ;   in Loop: Header=BB13_10 Depth=1
	s_and_not1_saveexec_b32 s20, s20
	s_cbranch_execz .LBB13_22
; %bb.21:                               ;   in Loop: Header=BB13_10 Depth=1
	v_div_scale_f32 v34, null, v36, v36, -v37
	v_div_scale_f32 v40, vcc_lo, -v37, v36, -v37
	s_delay_alu instid0(VALU_DEP_2) | instskip(SKIP_2) | instid1(VALU_DEP_1)
	v_rcp_f32_e32 v38, v34
	s_waitcnt_depctr 0xfff
	v_fma_f32 v39, -v34, v38, 1.0
	v_fmac_f32_e32 v38, v39, v38
	s_delay_alu instid0(VALU_DEP_1) | instskip(NEXT) | instid1(VALU_DEP_1)
	v_mul_f32_e32 v39, v40, v38
	v_fma_f32 v41, -v34, v39, v40
	s_delay_alu instid0(VALU_DEP_1) | instskip(NEXT) | instid1(VALU_DEP_1)
	v_fmac_f32_e32 v39, v41, v38
	v_fma_f32 v34, -v34, v39, v40
	s_delay_alu instid0(VALU_DEP_1) | instskip(NEXT) | instid1(VALU_DEP_1)
	v_div_fmas_f32 v34, v34, v38, v39
	v_div_fixup_f32 v34, v34, v36, -v37
	s_delay_alu instid0(VALU_DEP_1) | instskip(NEXT) | instid1(VALU_DEP_1)
	v_fma_f32 v36, v34, v34, 1.0
	v_mul_f32_e32 v37, 0x4f800000, v36
	v_cmp_gt_f32_e32 vcc_lo, 0xf800000, v36
	s_delay_alu instid0(VALU_DEP_2) | instskip(NEXT) | instid1(VALU_DEP_1)
	v_cndmask_b32_e32 v36, v36, v37, vcc_lo
	v_sqrt_f32_e32 v37, v36
	s_waitcnt_depctr 0xfff
	v_add_nc_u32_e32 v38, -1, v37
	v_add_nc_u32_e32 v39, 1, v37
	s_delay_alu instid0(VALU_DEP_2) | instskip(NEXT) | instid1(VALU_DEP_2)
	v_fma_f32 v40, -v38, v37, v36
	v_fma_f32 v41, -v39, v37, v36
	s_delay_alu instid0(VALU_DEP_2) | instskip(NEXT) | instid1(VALU_DEP_1)
	v_cmp_ge_f32_e64 s4, 0, v40
	v_cndmask_b32_e64 v37, v37, v38, s4
	s_delay_alu instid0(VALU_DEP_3) | instskip(NEXT) | instid1(VALU_DEP_1)
	v_cmp_lt_f32_e64 s4, 0, v41
	v_cndmask_b32_e64 v37, v37, v39, s4
	s_delay_alu instid0(VALU_DEP_1) | instskip(NEXT) | instid1(VALU_DEP_1)
	v_mul_f32_e32 v38, 0x37800000, v37
	v_cndmask_b32_e32 v37, v37, v38, vcc_lo
	v_cmp_class_f32_e64 vcc_lo, v36, 0x260
	s_delay_alu instid0(VALU_DEP_2) | instskip(NEXT) | instid1(VALU_DEP_1)
	v_cndmask_b32_e32 v36, v37, v36, vcc_lo
	v_div_scale_f32 v37, null, v36, v36, 1.0
	s_delay_alu instid0(VALU_DEP_1) | instskip(SKIP_2) | instid1(VALU_DEP_1)
	v_rcp_f32_e32 v38, v37
	s_waitcnt_depctr 0xfff
	v_fma_f32 v39, -v37, v38, 1.0
	v_fmac_f32_e32 v38, v39, v38
	v_div_scale_f32 v39, vcc_lo, 1.0, v36, 1.0
	s_delay_alu instid0(VALU_DEP_1) | instskip(NEXT) | instid1(VALU_DEP_1)
	v_mul_f32_e32 v40, v39, v38
	v_fma_f32 v41, -v37, v40, v39
	s_delay_alu instid0(VALU_DEP_1) | instskip(NEXT) | instid1(VALU_DEP_1)
	v_fmac_f32_e32 v40, v41, v38
	v_fma_f32 v37, -v37, v40, v39
	s_delay_alu instid0(VALU_DEP_1) | instskip(NEXT) | instid1(VALU_DEP_1)
	v_div_fmas_f32 v37, v37, v38, v40
	v_div_fixup_f32 v38, v37, v36, 1.0
	s_delay_alu instid0(VALU_DEP_1)
	v_mul_f32_e32 v34, v34, v38
.LBB13_22:                              ;   in Loop: Header=BB13_10 Depth=1
	s_or_b32 exec_lo, exec_lo, s20
.LBB13_23:                              ;   in Loop: Header=BB13_10 Depth=1
	s_delay_alu instid0(SALU_CYCLE_1)
	s_or_b32 exec_lo, exec_lo, s19
.LBB13_24:                              ;   in Loop: Header=BB13_10 Depth=1
	s_delay_alu instid0(SALU_CYCLE_1) | instskip(SKIP_1) | instid1(VALU_DEP_1)
	s_or_b32 exec_lo, exec_lo, s18
	v_dual_mul_f32 v36, v35, v38 :: v_dual_and_b32 v37, 0x7fffffff, v35
	v_div_scale_f32 v38, null, v37, v37, v36
	v_div_scale_f32 v37, vcc_lo, v36, v37, v36
	s_delay_alu instid0(VALU_DEP_2) | instskip(SKIP_2) | instid1(VALU_DEP_1)
	v_rcp_f32_e32 v39, v38
	s_waitcnt_depctr 0xfff
	v_fma_f32 v40, -v38, v39, 1.0
	v_fmac_f32_e32 v39, v40, v39
	s_delay_alu instid0(VALU_DEP_1) | instskip(NEXT) | instid1(VALU_DEP_1)
	v_mul_f32_e32 v40, v37, v39
	v_fma_f32 v41, -v38, v40, v37
	s_delay_alu instid0(VALU_DEP_1) | instskip(NEXT) | instid1(VALU_DEP_1)
	v_fmac_f32_e32 v40, v41, v39
	v_fma_f32 v37, -v38, v40, v37
	s_delay_alu instid0(VALU_DEP_1) | instskip(NEXT) | instid1(VALU_DEP_1)
	v_div_fmas_f32 v37, v37, v39, v40
	v_div_fixup_f32 v36, v37, |v35|, v36
.LBB13_25:                              ;   in Loop: Header=BB13_10 Depth=1
	s_or_b32 exec_lo, exec_lo, s15
	ds_store_b32 v24, v34
	ds_store_b32 v25, v36
.LBB13_26:                              ;   in Loop: Header=BB13_10 Depth=1
	s_or_b32 exec_lo, exec_lo, s14
	s_and_b32 s4, s1, s3
	s_waitcnt lgkmcnt(0)
	s_waitcnt_vscnt null, 0x0
	s_barrier
	buffer_gl0_inv
	s_and_saveexec_b32 s14, s4
	s_cbranch_execz .LBB13_34
; %bb.27:                               ;   in Loop: Header=BB13_10 Depth=1
	ds_load_b32 v34, v24
	ds_load_b32 v31, v25
	s_and_not1_b32 vcc_lo, exec_lo, s16
	s_cbranch_vccnz .LBB13_31
; %bb.28:                               ;   in Loop: Header=BB13_10 Depth=1
	v_add_nc_u32_e32 v35, s8, v1
	s_delay_alu instid0(VALU_DEP_1) | instskip(NEXT) | instid1(VALU_DEP_1)
	v_add_nc_u32_e32 v1, v35, v21
	v_lshlrev_b64 v[36:37], 2, v[1:2]
	s_delay_alu instid0(VALU_DEP_1) | instskip(NEXT) | instid1(VALU_DEP_2)
	v_add_co_u32 v36, vcc_lo, s10, v36
	v_add_co_ci_u32_e32 v37, vcc_lo, s11, v37, vcc_lo
	s_clause 0x1
	flat_load_b32 v1, v[36:37]
	flat_load_b32 v38, v[4:5]
	s_waitcnt vmcnt(1) lgkmcnt(1)
	v_mul_f32_e32 v39, v31, v1
	s_waitcnt vmcnt(0) lgkmcnt(0)
	v_mul_f32_e32 v40, v31, v38
	s_delay_alu instid0(VALU_DEP_2) | instskip(NEXT) | instid1(VALU_DEP_2)
	v_fmac_f32_e32 v39, v34, v38
	v_fma_f32 v1, v34, v1, -v40
	s_clause 0x1
	flat_store_b32 v[4:5], v39
	flat_store_b32 v[36:37], v1
	s_and_saveexec_b32 s15, s2
	s_cbranch_execz .LBB13_30
; %bb.29:                               ;   in Loop: Header=BB13_10 Depth=1
	v_add_nc_u32_e32 v1, v35, v22
	s_delay_alu instid0(VALU_DEP_1) | instskip(NEXT) | instid1(VALU_DEP_1)
	v_lshlrev_b64 v[35:36], 2, v[1:2]
	v_add_co_u32 v35, vcc_lo, s10, v35
	s_delay_alu instid0(VALU_DEP_2)
	v_add_co_ci_u32_e32 v36, vcc_lo, s11, v36, vcc_lo
	s_clause 0x1
	flat_load_b32 v1, v[35:36]
	flat_load_b32 v37, v[6:7]
	s_waitcnt vmcnt(1) lgkmcnt(1)
	v_mul_f32_e32 v38, v31, v1
	s_waitcnt vmcnt(0) lgkmcnt(0)
	v_mul_f32_e32 v39, v31, v37
	s_delay_alu instid0(VALU_DEP_2) | instskip(NEXT) | instid1(VALU_DEP_2)
	v_fmac_f32_e32 v38, v34, v37
	v_fma_f32 v1, v34, v1, -v39
	s_clause 0x1
	flat_store_b32 v[6:7], v38
	flat_store_b32 v[35:36], v1
.LBB13_30:                              ;   in Loop: Header=BB13_10 Depth=1
	s_or_b32 exec_lo, exec_lo, s15
.LBB13_31:                              ;   in Loop: Header=BB13_10 Depth=1
	v_add_nc_u32_e32 v35, v33, v20
	s_delay_alu instid0(VALU_DEP_1) | instskip(NEXT) | instid1(VALU_DEP_1)
	v_ashrrev_i32_e32 v36, 31, v35
	v_lshlrev_b64 v[35:36], 2, v[35:36]
	s_delay_alu instid0(VALU_DEP_1) | instskip(NEXT) | instid1(VALU_DEP_2)
	v_add_co_u32 v35, vcc_lo, s5, v35
	v_add_co_ci_u32_e32 v36, vcc_lo, s6, v36, vcc_lo
	s_clause 0x1
	global_load_b32 v1, v[35:36], off
	global_load_b32 v37, v[10:11], off
	s_waitcnt vmcnt(1) lgkmcnt(0)
	v_mul_f32_e32 v38, v31, v1
	s_waitcnt vmcnt(0)
	v_mul_f32_e32 v39, v31, v37
	s_delay_alu instid0(VALU_DEP_2) | instskip(NEXT) | instid1(VALU_DEP_2)
	v_fmac_f32_e32 v38, v34, v37
	v_fma_f32 v1, v34, v1, -v39
	s_clause 0x1
	global_store_b32 v[10:11], v38, off
	global_store_b32 v[35:36], v1, off
	s_and_saveexec_b32 s15, s2
	s_cbranch_execz .LBB13_33
; %bb.32:                               ;   in Loop: Header=BB13_10 Depth=1
	v_add_nc_u32_e32 v35, v33, v23
	s_delay_alu instid0(VALU_DEP_1) | instskip(NEXT) | instid1(VALU_DEP_1)
	v_ashrrev_i32_e32 v36, 31, v35
	v_lshlrev_b64 v[35:36], 2, v[35:36]
	s_delay_alu instid0(VALU_DEP_1) | instskip(NEXT) | instid1(VALU_DEP_2)
	v_add_co_u32 v35, vcc_lo, s5, v35
	v_add_co_ci_u32_e32 v36, vcc_lo, s6, v36, vcc_lo
	s_clause 0x1
	global_load_b32 v1, v[35:36], off
	global_load_b32 v33, v[12:13], off
	s_waitcnt vmcnt(1)
	v_mul_f32_e32 v37, v31, v1
	s_waitcnt vmcnt(0)
	v_mul_f32_e32 v38, v31, v33
	s_delay_alu instid0(VALU_DEP_2) | instskip(NEXT) | instid1(VALU_DEP_2)
	v_fmac_f32_e32 v37, v34, v33
	v_fma_f32 v1, v34, v1, -v38
	s_clause 0x1
	global_store_b32 v[12:13], v37, off
	global_store_b32 v[35:36], v1, off
.LBB13_33:                              ;   in Loop: Header=BB13_10 Depth=1
	s_or_b32 exec_lo, exec_lo, s15
	v_mov_b32_e32 v36, v31
.LBB13_34:                              ;   in Loop: Header=BB13_10 Depth=1
	s_or_b32 exec_lo, exec_lo, s14
	s_waitcnt_vscnt null, 0x0
	s_barrier
	buffer_gl0_inv
	s_and_saveexec_b32 s14, s4
	s_cbranch_execz .LBB13_37
; %bb.35:                               ;   in Loop: Header=BB13_10 Depth=1
	v_add_nc_u32_e32 v37, v32, v27
	s_delay_alu instid0(VALU_DEP_1) | instskip(NEXT) | instid1(VALU_DEP_1)
	v_ashrrev_i32_e32 v38, 31, v37
	v_lshlrev_b64 v[37:38], 2, v[37:38]
	s_delay_alu instid0(VALU_DEP_1) | instskip(NEXT) | instid1(VALU_DEP_2)
	v_add_co_u32 v37, vcc_lo, s5, v37
	v_add_co_ci_u32_e32 v38, vcc_lo, s6, v38, vcc_lo
	s_clause 0x1
	global_load_b32 v1, v[37:38], off
	global_load_b32 v33, v[14:15], off
	s_waitcnt vmcnt(1)
	v_mul_f32_e32 v35, v36, v1
	s_waitcnt vmcnt(0)
	v_mul_f32_e32 v39, v31, v33
	s_delay_alu instid0(VALU_DEP_2) | instskip(NEXT) | instid1(VALU_DEP_2)
	v_fmac_f32_e32 v35, v34, v33
	v_fma_f32 v1, v34, v1, -v39
	s_clause 0x1
	global_store_b32 v[14:15], v35, off
	global_store_b32 v[37:38], v1, off
	s_and_b32 exec_lo, exec_lo, s2
	s_cbranch_execz .LBB13_37
; %bb.36:                               ;   in Loop: Header=BB13_10 Depth=1
	v_add_nc_u32_e32 v37, v32, v28
	s_delay_alu instid0(VALU_DEP_1) | instskip(NEXT) | instid1(VALU_DEP_1)
	v_ashrrev_i32_e32 v38, 31, v37
	v_lshlrev_b64 v[37:38], 2, v[37:38]
	s_delay_alu instid0(VALU_DEP_1) | instskip(NEXT) | instid1(VALU_DEP_2)
	v_add_co_u32 v37, vcc_lo, s5, v37
	v_add_co_ci_u32_e32 v38, vcc_lo, s6, v38, vcc_lo
	s_clause 0x1
	global_load_b32 v1, v[37:38], off
	global_load_b32 v33, v[18:19], off
	s_waitcnt vmcnt(1)
	v_mul_f32_e32 v35, v36, v1
	s_waitcnt vmcnt(0)
	v_mul_f32_e32 v39, v31, v33
	s_delay_alu instid0(VALU_DEP_2) | instskip(NEXT) | instid1(VALU_DEP_2)
	v_fmac_f32_e32 v35, v34, v33
	v_fma_f32 v1, v34, v1, -v39
	s_clause 0x1
	global_store_b32 v[18:19], v35, off
	global_store_b32 v[37:38], v1, off
.LBB13_37:                              ;   in Loop: Header=BB13_10 Depth=1
	s_or_b32 exec_lo, exec_lo, s14
	s_and_b32 s4, s0, s3
	s_waitcnt_vscnt null, 0x0
	s_barrier
	buffer_gl0_inv
	s_and_saveexec_b32 s3, s4
	s_cbranch_execz .LBB13_9
; %bb.38:                               ;   in Loop: Header=BB13_10 Depth=1
	v_mad_u64_u32 v[37:38], null, v32, s7, v[3:4]
	v_add_nc_u32_e32 v32, v32, v26
	s_delay_alu instid0(VALU_DEP_1) | instskip(NEXT) | instid1(VALU_DEP_3)
	v_ashrrev_i32_e32 v33, 31, v32
	v_ashrrev_i32_e32 v38, 31, v37
	s_delay_alu instid0(VALU_DEP_2) | instskip(NEXT) | instid1(VALU_DEP_2)
	v_lshlrev_b64 v[32:33], 2, v[32:33]
	v_lshlrev_b64 v[37:38], 2, v[37:38]
	s_delay_alu instid0(VALU_DEP_1) | instskip(NEXT) | instid1(VALU_DEP_2)
	v_add_co_u32 v37, vcc_lo, s5, v37
	v_add_co_ci_u32_e32 v38, vcc_lo, s6, v38, vcc_lo
	s_delay_alu instid0(VALU_DEP_4)
	v_add_co_u32 v32, vcc_lo, s5, v32
	v_add_co_ci_u32_e32 v33, vcc_lo, s6, v33, vcc_lo
	s_clause 0x1
	global_store_b32 v[37:38], v2, off
	global_store_b32 v[32:33], v2, off
	s_branch .LBB13_9
.LBB13_39:
	s_endpgm
	.section	.rodata,"a",@progbits
	.p2align	6, 0x0
	.amdhsa_kernel _ZN9rocsolver6v33100L21syevj_offd_kernel_orgIffPfEEviiT1_iilT0_PT_PiS7_S7_
		.amdhsa_group_segment_fixed_size 0
		.amdhsa_private_segment_fixed_size 0
		.amdhsa_kernarg_size 328
		.amdhsa_user_sgpr_count 14
		.amdhsa_user_sgpr_dispatch_ptr 0
		.amdhsa_user_sgpr_queue_ptr 0
		.amdhsa_user_sgpr_kernarg_segment_ptr 1
		.amdhsa_user_sgpr_dispatch_id 0
		.amdhsa_user_sgpr_private_segment_size 0
		.amdhsa_wavefront_size32 1
		.amdhsa_uses_dynamic_stack 0
		.amdhsa_enable_private_segment 0
		.amdhsa_system_sgpr_workgroup_id_x 1
		.amdhsa_system_sgpr_workgroup_id_y 0
		.amdhsa_system_sgpr_workgroup_id_z 1
		.amdhsa_system_sgpr_workgroup_info 0
		.amdhsa_system_vgpr_workitem_id 1
		.amdhsa_next_free_vgpr 42
		.amdhsa_next_free_sgpr 21
		.amdhsa_reserve_vcc 1
		.amdhsa_float_round_mode_32 0
		.amdhsa_float_round_mode_16_64 0
		.amdhsa_float_denorm_mode_32 3
		.amdhsa_float_denorm_mode_16_64 3
		.amdhsa_dx10_clamp 1
		.amdhsa_ieee_mode 1
		.amdhsa_fp16_overflow 0
		.amdhsa_workgroup_processor_mode 1
		.amdhsa_memory_ordered 1
		.amdhsa_forward_progress 0
		.amdhsa_shared_vgpr_count 0
		.amdhsa_exception_fp_ieee_invalid_op 0
		.amdhsa_exception_fp_denorm_src 0
		.amdhsa_exception_fp_ieee_div_zero 0
		.amdhsa_exception_fp_ieee_overflow 0
		.amdhsa_exception_fp_ieee_underflow 0
		.amdhsa_exception_fp_ieee_inexact 0
		.amdhsa_exception_int_div_zero 0
	.end_amdhsa_kernel
	.section	.text._ZN9rocsolver6v33100L21syevj_offd_kernel_orgIffPfEEviiT1_iilT0_PT_PiS7_S7_,"axG",@progbits,_ZN9rocsolver6v33100L21syevj_offd_kernel_orgIffPfEEviiT1_iilT0_PT_PiS7_S7_,comdat
.Lfunc_end13:
	.size	_ZN9rocsolver6v33100L21syevj_offd_kernel_orgIffPfEEviiT1_iilT0_PT_PiS7_S7_, .Lfunc_end13-_ZN9rocsolver6v33100L21syevj_offd_kernel_orgIffPfEEviiT1_iilT0_PT_PiS7_S7_
                                        ; -- End function
	.section	.AMDGPU.csdata,"",@progbits
; Kernel info:
; codeLenInByte = 3260
; NumSgprs: 23
; NumVgprs: 42
; ScratchSize: 0
; MemoryBound: 0
; FloatMode: 240
; IeeeMode: 1
; LDSByteSize: 0 bytes/workgroup (compile time only)
; SGPRBlocks: 2
; VGPRBlocks: 5
; NumSGPRsForWavesPerEU: 23
; NumVGPRsForWavesPerEU: 42
; Occupancy: 16
; WaveLimiterHint : 0
; COMPUTE_PGM_RSRC2:SCRATCH_EN: 0
; COMPUTE_PGM_RSRC2:USER_SGPR: 14
; COMPUTE_PGM_RSRC2:TRAP_HANDLER: 0
; COMPUTE_PGM_RSRC2:TGID_X_EN: 1
; COMPUTE_PGM_RSRC2:TGID_Y_EN: 0
; COMPUTE_PGM_RSRC2:TGID_Z_EN: 1
; COMPUTE_PGM_RSRC2:TIDIG_COMP_CNT: 1
	.section	.text._ZN9rocsolver6v33100L17syevj_offd_kernelIffPfEEviiT1_iilT0_PT_PiS7_S7_i,"axG",@progbits,_ZN9rocsolver6v33100L17syevj_offd_kernelIffPfEEviiT1_iilT0_PT_PiS7_S7_i,comdat
	.globl	_ZN9rocsolver6v33100L17syevj_offd_kernelIffPfEEviiT1_iilT0_PT_PiS7_S7_i ; -- Begin function _ZN9rocsolver6v33100L17syevj_offd_kernelIffPfEEviiT1_iilT0_PT_PiS7_S7_i
	.p2align	8
	.type	_ZN9rocsolver6v33100L17syevj_offd_kernelIffPfEEviiT1_iilT0_PT_PiS7_S7_i,@function
_ZN9rocsolver6v33100L17syevj_offd_kernelIffPfEEviiT1_iilT0_PT_PiS7_S7_i: ; @_ZN9rocsolver6v33100L17syevj_offd_kernelIffPfEEviiT1_iilT0_PT_PiS7_S7_i
; %bb.0:
	s_mov_b32 s12, s15
	s_clause 0x1
	s_load_b64 s[20:21], s[0:1], 0x0
	s_load_b32 s15, s[0:1], 0x48
	s_waitcnt lgkmcnt(0)
	s_abs_i32 s2, s20
	s_cmp_ge_u32 s12, s15
	v_cvt_f32_u32_e32 v1, s2
	s_delay_alu instid0(VALU_DEP_1) | instskip(SKIP_2) | instid1(VALU_DEP_1)
	v_rcp_iflag_f32_e32 v1, v1
	s_waitcnt_depctr 0xfff
	v_mul_f32_e32 v1, 0x4f7ffffe, v1
	v_cvt_u32_f32_e32 v1, v1
	s_delay_alu instid0(VALU_DEP_1)
	v_readfirstlane_b32 s4, v1
	s_cbranch_scc1 .LBB14_82
; %bb.1:
	s_sub_i32 s3, 0, s2
	s_add_i32 s5, s21, -1
	s_delay_alu instid0(VALU_DEP_1)
	s_mul_i32 s6, s3, s4
	s_abs_i32 s7, s5
	s_mul_hi_u32 s6, s4, s6
	s_load_b32 s13, s[0:1], 0x20
	s_add_i32 s4, s4, s6
	s_ashr_i32 s3, s20, 31
	s_mul_hi_u32 s4, s7, s4
	s_ashr_i32 s5, s5, 31
	s_mul_i32 s6, s4, s2
	s_xor_b32 s5, s5, s3
	s_sub_i32 s6, s7, s6
	s_add_i32 s7, s4, 1
	s_sub_i32 s8, s6, s2
	s_cmp_ge_u32 s6, s2
	s_clause 0x1
	s_load_b64 s[22:23], s[0:1], 0x58
	s_load_b32 s26, s[0:1], 0x50
	s_cselect_b32 s4, s7, s4
	s_cselect_b32 s6, s8, s6
	s_add_i32 s7, s4, 1
	s_cmp_ge_u32 s6, s2
	s_clause 0x1
	s_load_b128 s[16:19], s[0:1], 0x8
	s_load_b64 s[24:25], s[0:1], 0x18
	s_cselect_b32 s2, s7, s4
	s_lshl_b32 s31, s20, 1
	s_xor_b32 s2, s2, s5
	s_waitcnt lgkmcnt(0)
	v_div_scale_f32 v1, null, s13, s13, 0x800000
	s_sub_i32 s27, s2, s5
	s_load_b256 s[4:11], s[0:1], 0x28
	s_add_i32 s29, s27, 1
	s_delay_alu instid0(VALU_DEP_1)
	v_rcp_f32_e32 v2, v1
	s_lshr_b32 s0, s29, 31
	s_mov_b32 s2, s20
	s_add_i32 s0, s29, s0
	v_cvt_f32_u32_e32 v4, s20
	s_and_b32 s0, s0, -2
	s_lshl_b64 s[2:3], s[2:3], 3
	s_sub_i32 s0, s29, s0
	s_lshr_b32 s28, s23, 16
	s_add_i32 s0, s0, s29
	s_lshl_b32 s29, s20, 2
	s_lshr_b32 s1, s0, 31
	s_waitcnt_depctr 0xfff
	v_fma_f32 v3, -v1, v2, 1.0
	s_add_i32 s0, s0, s1
	s_add_i32 s1, s29, 0
	s_ashr_i32 s30, s0, 1
	s_add_i32 s33, s1, s29
	s_mul_hi_i32 s1, s31, s31
	s_mul_i32 s0, s31, s31
	s_and_b32 s23, s23, 0xffff
	s_lshl_b64 s[0:1], s[0:1], 2
	v_rcp_iflag_f32_e32 v4, v4
	s_add_u32 s0, s0, s2
	s_mov_b32 s2, 0x800000
	v_bfe_u32 v7, v0, 10, 10
	v_fmac_f32_e32 v2, v3, v2
	v_div_scale_f32 v3, vcc_lo, s2, s13, s2
	s_mul_i32 s2, s20, s20
	s_addc_u32 s1, s1, s3
	s_ashr_i32 s3, s18, 31
	s_waitcnt_depctr 0xfff
	v_dual_mul_f32 v5, v3, v2 :: v_dual_mul_f32 v4, 0x4f7ffffe, v4
	s_lshl_b32 s34, s2, 2
	s_cmp_lt_u32 s14, s30
	s_mul_i32 s2, s27, s20
	s_cselect_b32 s35, -1, 0
	s_sub_i32 s36, s21, s2
	v_fma_f32 v6, -v1, v5, v3
	s_waitcnt lgkmcnt(0)
	s_cmp_lg_u64 s[4:5], 0
	s_mov_b32 s2, s18
	s_cselect_b32 s18, -1, 0
	s_cmp_gt_i32 s20, 0
	v_dual_fmac_f32 v5, v6, v2 :: v_dual_and_b32 v6, 0x3ff, v0
	s_cselect_b32 s37, -1, 0
	s_ashr_i32 s38, s19, 31
	s_add_u32 s39, s10, 4
	s_addc_u32 s40, s11, 0
	s_lshl_b64 s[2:3], s[2:3], 2
	v_cvt_u32_f32_e32 v4, v4
	s_add_u32 s41, s16, s2
	s_addc_u32 s42, s17, s3
	s_sub_i32 s43, 0, s20
	v_fma_f32 v1, -v1, v5, v3
	v_mul_lo_u32 v8, s43, v4
	v_add_nc_u32_e32 v3, s20, v7
	v_cmp_lt_u64_e64 s45, 0x10000, s[0:1]
	s_mov_b64 s[2:3], src_shared_base
	v_div_fmas_f32 v0, v1, v2, v5
	v_mul_lo_u32 v2, v7, s20
	v_cmp_gt_u32_e64 s0, s20, v7
	v_cmp_gt_u32_e64 s1, s20, v6
	v_mul_hi_u32 v1, v4, v8
	v_div_fixup_f32 v8, v0, s13, 0x800000
	v_mul_lo_u32 v0, s20, v3
	v_lshl_add_u32 v11, v6, 2, 0
	s_mul_i32 s2, s20, s28
	v_lshlrev_b32_e32 v9, 1, v2
	s_mov_b32 s11, 0
	s_mov_b32 s44, s3
	v_dual_mov_b32 v1, 0 :: v_dual_add_nc_u32 v10, v4, v1
	s_delay_alu instid0(VALU_DEP_2)
	v_add_nc_u32_e32 v12, v6, v9
	v_lshl_add_u32 v13, v0, 1, v6
	s_lshl_b32 s46, s2, 1
	s_lshl_b32 s47, s23, 2
	s_branch .LBB14_3
.LBB14_2:                               ;   in Loop: Header=BB14_3 Depth=1
	s_add_i32 s12, s12, s22
	s_delay_alu instid0(SALU_CYCLE_1)
	s_cmp_ge_u32 s12, s15
	s_cbranch_scc1 .LBB14_82
.LBB14_3:                               ; =>This Loop Header: Depth=1
                                        ;     Child Loop BB14_8 Depth 2
                                        ;       Child Loop BB14_16 Depth 3
                                        ;         Child Loop BB14_18 Depth 4
                                        ;       Child Loop BB14_23 Depth 3
                                        ;         Child Loop BB14_26 Depth 4
                                        ;           Child Loop BB14_33 Depth 5
                                        ;         Child Loop BB14_48 Depth 4
                                        ;           Child Loop BB14_51 Depth 5
	;; [unrolled: 2-line block ×4, first 2 shown]
                                        ;       Child Loop BB14_79 Depth 3
                                        ;         Child Loop BB14_81 Depth 4
	s_mov_b32 s13, s11
	s_delay_alu instid0(SALU_CYCLE_1) | instskip(NEXT) | instid1(SALU_CYCLE_1)
	s_lshl_b64 s[2:3], s[12:13], 2
	s_add_u32 s2, s39, s2
	s_addc_u32 s3, s40, s3
	global_load_b32 v0, v1, s[2:3]
	s_waitcnt vmcnt(0)
	v_cmp_ne_u32_e32 vcc_lo, 0, v0
	s_cbranch_vccnz .LBB14_2
; %bb.4:                                ;   in Loop: Header=BB14_3 Depth=1
	s_and_not1_b32 vcc_lo, exec_lo, s35
	s_cbranch_vccnz .LBB14_2
; %bb.5:                                ;   in Loop: Header=BB14_3 Depth=1
	s_mul_i32 s3, s12, s25
	s_mul_hi_u32 s10, s12, s24
	s_mul_i32 s2, s12, s24
	s_add_i32 s3, s10, s3
	s_mul_i32 s13, s12, s30
	s_lshl_b64 s[2:3], s[2:3], 2
	s_mov_b32 s10, s14
	s_add_u32 s48, s41, s2
	s_addc_u32 s49, s42, s3
	s_branch .LBB14_8
.LBB14_6:                               ;   in Loop: Header=BB14_8 Depth=2
	s_set_inst_prefetch_distance 0x2
	s_or_b32 exec_lo, exec_lo, s52
	s_waitcnt lgkmcnt(0)
	s_waitcnt_vscnt null, 0x0
	s_barrier
	buffer_gl0_inv
.LBB14_7:                               ;   in Loop: Header=BB14_8 Depth=2
	s_add_i32 s10, s10, s26
	s_delay_alu instid0(SALU_CYCLE_1)
	s_cmp_lt_u32 s10, s30
	s_cbranch_scc0 .LBB14_2
.LBB14_8:                               ;   Parent Loop BB14_3 Depth=1
                                        ; =>  This Loop Header: Depth=2
                                        ;       Child Loop BB14_16 Depth 3
                                        ;         Child Loop BB14_18 Depth 4
                                        ;       Child Loop BB14_23 Depth 3
                                        ;         Child Loop BB14_26 Depth 4
                                        ;           Child Loop BB14_33 Depth 5
                                        ;         Child Loop BB14_48 Depth 4
                                        ;           Child Loop BB14_51 Depth 5
	;; [unrolled: 2-line block ×4, first 2 shown]
                                        ;       Child Loop BB14_79 Depth 3
                                        ;         Child Loop BB14_81 Depth 4
	s_lshl_b64 s[2:3], s[10:11], 2
	s_delay_alu instid0(SALU_CYCLE_1)
	s_add_u32 s16, s6, s2
	s_addc_u32 s17, s7, s3
	s_add_u32 s2, s8, s2
	s_addc_u32 s3, s9, s3
	s_clause 0x1
	global_load_b32 v0, v1, s[16:17]
	global_load_b32 v2, v1, s[2:3]
	s_waitcnt vmcnt(1)
	v_readfirstlane_b32 s2, v0
	s_waitcnt vmcnt(0)
	v_readfirstlane_b32 s3, v2
	s_delay_alu instid0(VALU_DEP_1) | instskip(NEXT) | instid1(SALU_CYCLE_1)
	s_max_i32 s54, s2, s3
	s_cmp_gt_i32 s54, s27
	s_cbranch_scc1 .LBB14_7
; %bb.9:                                ;   in Loop: Header=BB14_8 Depth=2
	s_and_not1_b32 vcc_lo, exec_lo, s18
	s_cbranch_vccnz .LBB14_11
; %bb.10:                               ;   in Loop: Header=BB14_8 Depth=2
	s_add_i32 s2, s10, s13
	s_mov_b32 s3, s11
	s_mul_i32 s2, s34, s2
	s_delay_alu instid0(SALU_CYCLE_1) | instskip(NEXT) | instid1(SALU_CYCLE_1)
	s_lshl_b64 s[2:3], s[2:3], 2
	s_add_u32 s16, s4, s2
	s_addc_u32 s17, s5, s3
	s_branch .LBB14_12
.LBB14_11:                              ;   in Loop: Header=BB14_8 Depth=2
	s_mov_b64 s[16:17], 0
.LBB14_12:                              ;   in Loop: Header=BB14_8 Depth=2
	v_min_i32_e32 v2, v2, v0
	v_mov_b32_e32 v0, s36
	s_cmp_eq_u32 s27, s54
	s_cselect_b32 s2, s36, s20
	s_delay_alu instid0(VALU_DEP_2)
	v_cmp_eq_u32_e32 vcc_lo, s27, v2
	s_and_b32 s3, s45, exec_lo
	s_cselect_b32 s50, s17, s44
	s_cselect_b32 s51, s16, s33
	s_cmp_eq_u64 s[16:17], 0
	v_cndmask_b32_e32 v0, s20, v0, vcc_lo
	s_cselect_b32 s52, -1, 0
	s_cmp_lg_u64 s[16:17], 0
	s_cselect_b32 s53, -1, 0
	s_delay_alu instid0(VALU_DEP_1)
	v_add_nc_u32_e32 v14, s2, v0
	s_and_b32 vcc_lo, exec_lo, s52
	s_cbranch_vccnz .LBB14_20
; %bb.13:                               ;   in Loop: Header=BB14_8 Depth=2
	s_mov_b32 s55, exec_lo
	s_waitcnt_vscnt null, 0x0
	s_barrier
	buffer_gl0_inv
	v_cmpx_lt_u32_e64 v7, v14
	s_cbranch_execz .LBB14_19
; %bb.14:                               ;   in Loop: Header=BB14_8 Depth=2
	v_cmp_lt_u32_e32 vcc_lo, v6, v14
	v_dual_mov_b32 v3, v9 :: v_dual_mov_b32 v4, v7
	s_mov_b32 s56, 0
	s_set_inst_prefetch_distance 0x1
	s_branch .LBB14_16
	.p2align	6
.LBB14_15:                              ;   in Loop: Header=BB14_16 Depth=3
	s_or_b32 exec_lo, exec_lo, s57
	v_add_nc_u32_e32 v4, s28, v4
	v_add_nc_u32_e32 v3, s46, v3
	s_delay_alu instid0(VALU_DEP_2) | instskip(NEXT) | instid1(VALU_DEP_1)
	v_cmp_ge_u32_e64 s2, v4, v14
	s_or_b32 s56, s2, s56
	s_delay_alu instid0(SALU_CYCLE_1)
	s_and_not1_b32 exec_lo, exec_lo, s56
	s_cbranch_execz .LBB14_19
.LBB14_16:                              ;   Parent Loop BB14_3 Depth=1
                                        ;     Parent Loop BB14_8 Depth=2
                                        ; =>    This Loop Header: Depth=3
                                        ;         Child Loop BB14_18 Depth 4
	s_and_saveexec_b32 s57, vcc_lo
	s_cbranch_execz .LBB14_15
; %bb.17:                               ;   in Loop: Header=BB14_16 Depth=3
	v_mov_b32_e32 v5, v6
	s_mov_b32 s58, 0
	.p2align	6
.LBB14_18:                              ;   Parent Loop BB14_3 Depth=1
                                        ;     Parent Loop BB14_8 Depth=2
                                        ;       Parent Loop BB14_16 Depth=3
                                        ; =>      This Inner Loop Header: Depth=4
	s_delay_alu instid0(VALU_DEP_1) | instskip(SKIP_2) | instid1(VALU_DEP_3)
	v_add_nc_u32_e32 v0, v3, v5
	v_cmp_eq_u32_e64 s2, v4, v5
	v_add_nc_u32_e32 v5, s23, v5
	v_lshlrev_b64 v[15:16], 2, v[0:1]
	s_delay_alu instid0(VALU_DEP_3) | instskip(NEXT) | instid1(VALU_DEP_3)
	v_cndmask_b32_e64 v0, 0, 1.0, s2
	v_cmp_ge_u32_e64 s2, v5, v14
	s_delay_alu instid0(VALU_DEP_3) | instskip(NEXT) | instid1(VALU_DEP_1)
	v_add_co_u32 v15, s3, s51, v15
	v_add_co_ci_u32_e64 v16, s3, s50, v16, s3
	s_delay_alu instid0(VALU_DEP_3)
	s_or_b32 s58, s2, s58
	flat_store_b32 v[15:16], v0
	s_and_not1_b32 exec_lo, exec_lo, s58
	s_cbranch_execnz .LBB14_18
	s_branch .LBB14_15
.LBB14_19:                              ;   in Loop: Header=BB14_8 Depth=2
	s_set_inst_prefetch_distance 0x2
	s_or_b32 exec_lo, exec_lo, s55
	s_waitcnt lgkmcnt(0)
	s_waitcnt_vscnt null, 0x0
	s_barrier
	buffer_gl0_inv
.LBB14_20:                              ;   in Loop: Header=BB14_8 Depth=2
	s_and_not1_b32 vcc_lo, exec_lo, s37
	s_cbranch_vccnz .LBB14_75
; %bb.21:                               ;   in Loop: Header=BB14_8 Depth=2
	v_mul_lo_u32 v15, v2, s20
	v_mov_b32_e32 v17, v6
	s_mul_i32 s54, s54, s20
	s_mov_b32 s55, 0
	s_delay_alu instid0(VALU_DEP_2)
	v_add_nc_u32_e32 v16, v6, v15
	s_branch .LBB14_23
.LBB14_22:                              ;   in Loop: Header=BB14_23 Depth=3
	s_or_b32 exec_lo, exec_lo, s3
	v_add_nc_u32_e32 v17, 1, v17
	s_add_i32 s55, s55, 1
	s_delay_alu instid0(SALU_CYCLE_1)
	s_cmp_eq_u32 s55, s20
	s_cbranch_scc1 .LBB14_75
.LBB14_23:                              ;   Parent Loop BB14_3 Depth=1
                                        ;     Parent Loop BB14_8 Depth=2
                                        ; =>    This Loop Header: Depth=3
                                        ;         Child Loop BB14_26 Depth 4
                                        ;           Child Loop BB14_33 Depth 5
                                        ;         Child Loop BB14_48 Depth 4
                                        ;           Child Loop BB14_51 Depth 5
	;; [unrolled: 2-line block ×4, first 2 shown]
	s_and_saveexec_b32 s56, s0
	s_cbranch_execz .LBB14_45
; %bb.24:                               ;   in Loop: Header=BB14_23 Depth=3
	v_mov_b32_e32 v18, v7
	s_mov_b32 s57, 0
	s_branch .LBB14_26
.LBB14_25:                              ;   in Loop: Header=BB14_26 Depth=4
	s_or_b32 exec_lo, exec_lo, s58
	v_add_nc_u32_e32 v18, s28, v18
	s_delay_alu instid0(VALU_DEP_1) | instskip(SKIP_1) | instid1(SALU_CYCLE_1)
	v_cmp_le_u32_e32 vcc_lo, s20, v18
	s_or_b32 s57, vcc_lo, s57
	s_and_not1_b32 exec_lo, exec_lo, s57
	s_cbranch_execz .LBB14_45
.LBB14_26:                              ;   Parent Loop BB14_3 Depth=1
                                        ;     Parent Loop BB14_8 Depth=2
                                        ;       Parent Loop BB14_23 Depth=3
                                        ; =>      This Loop Header: Depth=4
                                        ;           Child Loop BB14_33 Depth 5
	s_and_saveexec_b32 s58, s1
	s_cbranch_execz .LBB14_25
; %bb.27:                               ;   in Loop: Header=BB14_26 Depth=4
	v_cmp_eq_u32_e64 s2, 0, v18
	v_dual_mov_b32 v19, v11 :: v_dual_mov_b32 v20, v17
	s_mov_b32 s59, 0
	s_mov_b32 s60, 0
	s_branch .LBB14_33
.LBB14_28:                              ;   in Loop: Header=BB14_33 Depth=5
	s_or_b32 exec_lo, exec_lo, s65
.LBB14_29:                              ;   in Loop: Header=BB14_33 Depth=5
	s_delay_alu instid0(SALU_CYCLE_1)
	s_or_b32 exec_lo, exec_lo, s64
.LBB14_30:                              ;   in Loop: Header=BB14_33 Depth=5
	s_delay_alu instid0(SALU_CYCLE_1) | instskip(SKIP_2) | instid1(VALU_DEP_1)
	s_or_b32 exec_lo, exec_lo, s63
	v_mul_f32_e32 v0, v21, v4
	v_and_b32_e32 v2, 0x7fffffff, v21
	v_div_scale_f32 v4, null, v2, v2, v0
	s_delay_alu instid0(VALU_DEP_1) | instskip(SKIP_2) | instid1(VALU_DEP_1)
	v_rcp_f32_e32 v5, v4
	s_waitcnt_depctr 0xfff
	v_fma_f32 v22, -v4, v5, 1.0
	v_fmac_f32_e32 v5, v22, v5
	v_div_scale_f32 v2, vcc_lo, v0, v2, v0
	s_delay_alu instid0(VALU_DEP_1) | instskip(NEXT) | instid1(VALU_DEP_1)
	v_mul_f32_e32 v22, v2, v5
	v_fma_f32 v23, -v4, v22, v2
	s_delay_alu instid0(VALU_DEP_1) | instskip(NEXT) | instid1(VALU_DEP_1)
	v_fmac_f32_e32 v22, v23, v5
	v_fma_f32 v2, -v4, v22, v2
	s_delay_alu instid0(VALU_DEP_1) | instskip(NEXT) | instid1(VALU_DEP_1)
	v_div_fmas_f32 v2, v2, v5, v22
	v_div_fixup_f32 v24, v2, |v21|, v0
.LBB14_31:                              ;   in Loop: Header=BB14_33 Depth=5
	s_or_b32 exec_lo, exec_lo, s62
	v_add_nc_u32_e32 v0, s29, v19
	ds_store_b32 v19, v3
	ds_store_b32 v0, v24
.LBB14_32:                              ;   in Loop: Header=BB14_33 Depth=5
	s_or_b32 exec_lo, exec_lo, s61
	s_add_i32 s60, s60, s23
	v_add_nc_u32_e32 v20, s23, v20
	v_add_nc_u32_e32 v0, s60, v6
	;; [unrolled: 1-line block ×3, first 2 shown]
	s_delay_alu instid0(VALU_DEP_2) | instskip(SKIP_1) | instid1(SALU_CYCLE_1)
	v_cmp_le_u32_e32 vcc_lo, s20, v0
	s_or_b32 s59, vcc_lo, s59
	s_and_not1_b32 exec_lo, exec_lo, s59
	s_cbranch_execz .LBB14_25
.LBB14_33:                              ;   Parent Loop BB14_3 Depth=1
                                        ;     Parent Loop BB14_8 Depth=2
                                        ;       Parent Loop BB14_23 Depth=3
                                        ;         Parent Loop BB14_26 Depth=4
                                        ; =>        This Inner Loop Header: Depth=5
	s_delay_alu instid0(VALU_DEP_1) | instskip(SKIP_1) | instid1(VALU_DEP_2)
	v_mul_hi_u32 v0, v10, v20
	v_add_nc_u32_e32 v3, s60, v6
	v_mul_lo_u32 v2, s20, v0
	v_not_b32_e32 v0, v0
	s_delay_alu instid0(VALU_DEP_1) | instskip(NEXT) | instid1(VALU_DEP_3)
	v_mul_lo_u32 v0, s20, v0
	v_sub_nc_u32_e32 v2, s55, v2
	s_delay_alu instid0(VALU_DEP_1) | instskip(NEXT) | instid1(VALU_DEP_3)
	v_add_nc_u32_e32 v2, v3, v2
	v_add3_u32 v0, s55, v0, v3
	s_delay_alu instid0(VALU_DEP_2) | instskip(NEXT) | instid1(VALU_DEP_2)
	v_cmp_le_u32_e32 vcc_lo, s20, v2
	v_cndmask_b32_e32 v0, v2, v0, vcc_lo
	s_delay_alu instid0(VALU_DEP_1) | instskip(SKIP_1) | instid1(VALU_DEP_2)
	v_subrev_nc_u32_e32 v2, s20, v0
	v_cmp_le_u32_e32 vcc_lo, s20, v0
	v_cndmask_b32_e32 v2, v0, v2, vcc_lo
	v_add_nc_u32_e32 v0, s60, v16
	s_delay_alu instid0(VALU_DEP_2) | instskip(NEXT) | instid1(VALU_DEP_2)
	v_add_nc_u32_e32 v2, s54, v2
	v_cmp_gt_u32_e32 vcc_lo, s21, v0
	s_delay_alu instid0(VALU_DEP_2)
	v_cmp_gt_u32_e64 s3, s21, v2
	s_and_b32 s61, s2, vcc_lo
	s_delay_alu instid0(VALU_DEP_1) | instid1(SALU_CYCLE_1)
	s_and_b32 s3, s61, s3
	s_delay_alu instid0(SALU_CYCLE_1)
	s_and_saveexec_b32 s61, s3
	s_cbranch_execz .LBB14_32
; %bb.34:                               ;   in Loop: Header=BB14_33 Depth=5
	v_mad_u64_u32 v[3:4], null, v2, s19, 0
	s_delay_alu instid0(VALU_DEP_1) | instskip(NEXT) | instid1(VALU_DEP_1)
	v_mad_u64_u32 v[21:22], null, v2, s38, v[4:5]
	v_mov_b32_e32 v4, v21
	s_delay_alu instid0(VALU_DEP_1) | instskip(SKIP_1) | instid1(VALU_DEP_2)
	v_lshlrev_b64 v[22:23], 2, v[3:4]
	v_lshlrev_b64 v[4:5], 2, v[0:1]
	v_add_co_u32 v22, vcc_lo, s48, v22
	s_delay_alu instid0(VALU_DEP_3) | instskip(NEXT) | instid1(VALU_DEP_2)
	v_add_co_ci_u32_e32 v23, vcc_lo, s49, v23, vcc_lo
	v_add_co_u32 v24, vcc_lo, v22, v4
	s_delay_alu instid0(VALU_DEP_2) | instskip(SKIP_3) | instid1(VALU_DEP_1)
	v_add_co_ci_u32_e32 v25, vcc_lo, v23, v5, vcc_lo
	global_load_b32 v21, v[24:25], off
	s_waitcnt vmcnt(0)
	v_dual_mov_b32 v24, 0 :: v_dual_mul_f32 v3, v21, v21
	v_cmp_nlt_f32_e32 vcc_lo, v3, v8
	v_mov_b32_e32 v3, 1.0
	s_and_saveexec_b32 s62, vcc_lo
	s_cbranch_execz .LBB14_31
; %bb.35:                               ;   in Loop: Header=BB14_33 Depth=5
	v_mad_u64_u32 v[24:25], null, v0, s19, 0
	s_mov_b32 s3, exec_lo
	s_delay_alu instid0(VALU_DEP_1) | instskip(NEXT) | instid1(VALU_DEP_1)
	v_mov_b32_e32 v3, v25
	v_mad_u64_u32 v[25:26], null, v0, s38, v[3:4]
	v_mov_b32_e32 v3, v1
	s_delay_alu instid0(VALU_DEP_1) | instskip(NEXT) | instid1(VALU_DEP_3)
	v_lshlrev_b64 v[2:3], 2, v[2:3]
	v_lshlrev_b64 v[24:25], 2, v[24:25]
	s_delay_alu instid0(VALU_DEP_1) | instskip(NEXT) | instid1(VALU_DEP_2)
	v_add_co_u32 v0, vcc_lo, s48, v24
	v_add_co_ci_u32_e32 v24, vcc_lo, s49, v25, vcc_lo
	s_delay_alu instid0(VALU_DEP_4) | instskip(SKIP_1) | instid1(VALU_DEP_4)
	v_add_co_u32 v2, vcc_lo, v22, v2
	v_add_co_ci_u32_e32 v3, vcc_lo, v23, v3, vcc_lo
	v_add_co_u32 v4, vcc_lo, v0, v4
	s_delay_alu instid0(VALU_DEP_4)
	v_add_co_ci_u32_e32 v5, vcc_lo, v24, v5, vcc_lo
	s_clause 0x1
	global_load_b32 v2, v[2:3], off
	global_load_b32 v3, v[4:5], off
	v_add_f32_e64 v0, |v21|, |v21|
	s_waitcnt vmcnt(0)
	v_sub_f32_e32 v2, v2, v3
	s_delay_alu instid0(VALU_DEP_1) | instskip(NEXT) | instid1(VALU_DEP_1)
	v_max_f32_e64 v3, |v2|, |v0|
	v_cvt_f64_f32_e32 v[4:5], v3
	s_delay_alu instid0(VALU_DEP_1) | instskip(NEXT) | instid1(VALU_DEP_1)
	v_frexp_exp_i32_f64_e32 v4, v[4:5]
	v_sub_nc_u32_e32 v5, 0, v4
	s_delay_alu instid0(VALU_DEP_1) | instskip(SKIP_1) | instid1(VALU_DEP_2)
	v_ldexp_f32 v22, |v0|, v5
	v_ldexp_f32 v5, |v2|, v5
	v_mul_f32_e32 v22, v22, v22
	s_delay_alu instid0(VALU_DEP_1) | instskip(NEXT) | instid1(VALU_DEP_1)
	v_fmac_f32_e32 v22, v5, v5
                                        ; implicit-def: $vgpr5
	v_sqrt_f32_e32 v22, v22
	v_cmpx_ngt_f32_e32 0, v2
	s_xor_b32 s3, exec_lo, s3
; %bb.36:                               ;   in Loop: Header=BB14_33 Depth=5
	s_waitcnt_depctr 0xfff
	v_ldexp_f32 v4, v22, v4
	v_cmp_neq_f32_e32 vcc_lo, 0x7f800000, v3
                                        ; implicit-def: $vgpr22
                                        ; implicit-def: $vgpr3
	s_delay_alu instid0(VALU_DEP_2)
	v_cndmask_b32_e32 v5, 0x7f800000, v4, vcc_lo
                                        ; implicit-def: $vgpr4
; %bb.37:                               ;   in Loop: Header=BB14_33 Depth=5
	s_and_not1_saveexec_b32 s3, s3
; %bb.38:                               ;   in Loop: Header=BB14_33 Depth=5
	v_ldexp_f32 v4, -v22, v4
	v_cmp_neq_f32_e32 vcc_lo, 0x7f800000, v3
	s_delay_alu instid0(VALU_DEP_2)
	v_cndmask_b32_e32 v5, 0xff800000, v4, vcc_lo
; %bb.39:                               ;   in Loop: Header=BB14_33 Depth=5
	s_or_b32 exec_lo, exec_lo, s3
	v_dual_mov_b32 v4, 0 :: v_dual_mov_b32 v3, 1.0
	s_mov_b32 s63, exec_lo
	v_cmpx_neq_f32_e32 0, v0
	s_cbranch_execz .LBB14_30
; %bb.40:                               ;   in Loop: Header=BB14_33 Depth=5
	v_dual_add_f32 v2, v2, v5 :: v_dual_mov_b32 v3, 0
	v_mov_b32_e32 v4, 1.0
	s_mov_b32 s64, exec_lo
	s_delay_alu instid0(VALU_DEP_2)
	v_cmpx_neq_f32_e32 0, v2
	s_cbranch_execz .LBB14_29
; %bb.41:                               ;   in Loop: Header=BB14_33 Depth=5
	s_mov_b32 s65, exec_lo
                                        ; implicit-def: $vgpr3
                                        ; implicit-def: $vgpr4
	v_cmpx_ngt_f32_e64 |v0|, |v2|
	s_xor_b32 s65, exec_lo, s65
	s_cbranch_execz .LBB14_43
; %bb.42:                               ;   in Loop: Header=BB14_33 Depth=5
	v_div_scale_f32 v3, null, v2, v2, -v0
	v_div_scale_f32 v22, vcc_lo, -v0, v2, -v0
	s_delay_alu instid0(VALU_DEP_2) | instskip(SKIP_2) | instid1(VALU_DEP_1)
	v_rcp_f32_e32 v4, v3
	s_waitcnt_depctr 0xfff
	v_fma_f32 v5, -v3, v4, 1.0
	v_fmac_f32_e32 v4, v5, v4
	s_delay_alu instid0(VALU_DEP_1) | instskip(NEXT) | instid1(VALU_DEP_1)
	v_mul_f32_e32 v5, v22, v4
	v_fma_f32 v23, -v3, v5, v22
	s_delay_alu instid0(VALU_DEP_1) | instskip(NEXT) | instid1(VALU_DEP_1)
	v_fmac_f32_e32 v5, v23, v4
	v_fma_f32 v3, -v3, v5, v22
	s_delay_alu instid0(VALU_DEP_1) | instskip(NEXT) | instid1(VALU_DEP_1)
	v_div_fmas_f32 v3, v3, v4, v5
	v_div_fixup_f32 v0, v3, v2, -v0
	s_delay_alu instid0(VALU_DEP_1) | instskip(NEXT) | instid1(VALU_DEP_1)
	v_fma_f32 v2, v0, v0, 1.0
	v_mul_f32_e32 v3, 0x4f800000, v2
	v_cmp_gt_f32_e32 vcc_lo, 0xf800000, v2
	s_delay_alu instid0(VALU_DEP_2) | instskip(NEXT) | instid1(VALU_DEP_1)
	v_cndmask_b32_e32 v2, v2, v3, vcc_lo
	v_sqrt_f32_e32 v3, v2
	s_waitcnt_depctr 0xfff
	v_add_nc_u32_e32 v4, -1, v3
	v_add_nc_u32_e32 v5, 1, v3
	s_delay_alu instid0(VALU_DEP_2) | instskip(NEXT) | instid1(VALU_DEP_2)
	v_fma_f32 v22, -v4, v3, v2
	v_fma_f32 v23, -v5, v3, v2
	s_delay_alu instid0(VALU_DEP_2) | instskip(NEXT) | instid1(VALU_DEP_1)
	v_cmp_ge_f32_e64 s3, 0, v22
	v_cndmask_b32_e64 v3, v3, v4, s3
	s_delay_alu instid0(VALU_DEP_3) | instskip(NEXT) | instid1(VALU_DEP_1)
	v_cmp_lt_f32_e64 s3, 0, v23
	v_cndmask_b32_e64 v3, v3, v5, s3
	s_delay_alu instid0(VALU_DEP_1) | instskip(NEXT) | instid1(VALU_DEP_1)
	v_mul_f32_e32 v4, 0x37800000, v3
	v_cndmask_b32_e32 v3, v3, v4, vcc_lo
	v_cmp_class_f32_e64 vcc_lo, v2, 0x260
	s_delay_alu instid0(VALU_DEP_2) | instskip(NEXT) | instid1(VALU_DEP_1)
	v_cndmask_b32_e32 v2, v3, v2, vcc_lo
	v_div_scale_f32 v3, null, v2, v2, 1.0
	s_delay_alu instid0(VALU_DEP_1) | instskip(SKIP_2) | instid1(VALU_DEP_1)
	v_rcp_f32_e32 v4, v3
	s_waitcnt_depctr 0xfff
	v_fma_f32 v5, -v3, v4, 1.0
	v_fmac_f32_e32 v4, v5, v4
	v_div_scale_f32 v5, vcc_lo, 1.0, v2, 1.0
	s_delay_alu instid0(VALU_DEP_1) | instskip(NEXT) | instid1(VALU_DEP_1)
	v_mul_f32_e32 v22, v5, v4
	v_fma_f32 v23, -v3, v22, v5
	s_delay_alu instid0(VALU_DEP_1) | instskip(NEXT) | instid1(VALU_DEP_1)
	v_fmac_f32_e32 v22, v23, v4
	v_fma_f32 v3, -v3, v22, v5
	s_delay_alu instid0(VALU_DEP_1) | instskip(NEXT) | instid1(VALU_DEP_1)
	v_div_fmas_f32 v3, v3, v4, v22
	v_div_fixup_f32 v3, v3, v2, 1.0
                                        ; implicit-def: $vgpr2
	s_delay_alu instid0(VALU_DEP_1)
	v_mul_f32_e32 v4, v0, v3
                                        ; implicit-def: $vgpr0
.LBB14_43:                              ;   in Loop: Header=BB14_33 Depth=5
	s_and_not1_saveexec_b32 s65, s65
	s_cbranch_execz .LBB14_28
; %bb.44:                               ;   in Loop: Header=BB14_33 Depth=5
	v_div_scale_f32 v3, null, v0, v0, -v2
	v_div_scale_f32 v22, vcc_lo, -v2, v0, -v2
	s_delay_alu instid0(VALU_DEP_2) | instskip(SKIP_2) | instid1(VALU_DEP_1)
	v_rcp_f32_e32 v4, v3
	s_waitcnt_depctr 0xfff
	v_fma_f32 v5, -v3, v4, 1.0
	v_fmac_f32_e32 v4, v5, v4
	s_delay_alu instid0(VALU_DEP_1) | instskip(NEXT) | instid1(VALU_DEP_1)
	v_mul_f32_e32 v5, v22, v4
	v_fma_f32 v23, -v3, v5, v22
	s_delay_alu instid0(VALU_DEP_1) | instskip(NEXT) | instid1(VALU_DEP_1)
	v_fmac_f32_e32 v5, v23, v4
	v_fma_f32 v3, -v3, v5, v22
	s_delay_alu instid0(VALU_DEP_1) | instskip(NEXT) | instid1(VALU_DEP_1)
	v_div_fmas_f32 v3, v3, v4, v5
	v_div_fixup_f32 v0, v3, v0, -v2
	s_delay_alu instid0(VALU_DEP_1) | instskip(NEXT) | instid1(VALU_DEP_1)
	v_fma_f32 v2, v0, v0, 1.0
	v_mul_f32_e32 v3, 0x4f800000, v2
	v_cmp_gt_f32_e32 vcc_lo, 0xf800000, v2
	s_delay_alu instid0(VALU_DEP_2) | instskip(NEXT) | instid1(VALU_DEP_1)
	v_cndmask_b32_e32 v2, v2, v3, vcc_lo
	v_sqrt_f32_e32 v3, v2
	s_waitcnt_depctr 0xfff
	v_add_nc_u32_e32 v4, -1, v3
	v_add_nc_u32_e32 v5, 1, v3
	s_delay_alu instid0(VALU_DEP_2) | instskip(NEXT) | instid1(VALU_DEP_2)
	v_fma_f32 v22, -v4, v3, v2
	v_fma_f32 v23, -v5, v3, v2
	s_delay_alu instid0(VALU_DEP_2) | instskip(NEXT) | instid1(VALU_DEP_1)
	v_cmp_ge_f32_e64 s3, 0, v22
	v_cndmask_b32_e64 v3, v3, v4, s3
	s_delay_alu instid0(VALU_DEP_3) | instskip(NEXT) | instid1(VALU_DEP_1)
	v_cmp_lt_f32_e64 s3, 0, v23
	v_cndmask_b32_e64 v3, v3, v5, s3
	s_delay_alu instid0(VALU_DEP_1) | instskip(NEXT) | instid1(VALU_DEP_1)
	v_mul_f32_e32 v4, 0x37800000, v3
	v_cndmask_b32_e32 v3, v3, v4, vcc_lo
	v_cmp_class_f32_e64 vcc_lo, v2, 0x260
	s_delay_alu instid0(VALU_DEP_2) | instskip(NEXT) | instid1(VALU_DEP_1)
	v_cndmask_b32_e32 v2, v3, v2, vcc_lo
	v_div_scale_f32 v3, null, v2, v2, 1.0
	s_delay_alu instid0(VALU_DEP_1) | instskip(SKIP_2) | instid1(VALU_DEP_1)
	v_rcp_f32_e32 v4, v3
	s_waitcnt_depctr 0xfff
	v_fma_f32 v5, -v3, v4, 1.0
	v_fmac_f32_e32 v4, v5, v4
	v_div_scale_f32 v5, vcc_lo, 1.0, v2, 1.0
	s_delay_alu instid0(VALU_DEP_1) | instskip(NEXT) | instid1(VALU_DEP_1)
	v_mul_f32_e32 v22, v5, v4
	v_fma_f32 v23, -v3, v22, v5
	s_delay_alu instid0(VALU_DEP_1) | instskip(NEXT) | instid1(VALU_DEP_1)
	v_fmac_f32_e32 v22, v23, v4
	v_fma_f32 v3, -v3, v22, v5
	s_delay_alu instid0(VALU_DEP_1) | instskip(NEXT) | instid1(VALU_DEP_1)
	v_div_fmas_f32 v3, v3, v4, v22
	v_div_fixup_f32 v4, v3, v2, 1.0
	s_delay_alu instid0(VALU_DEP_1)
	v_mul_f32_e32 v3, v0, v4
	s_branch .LBB14_28
.LBB14_45:                              ;   in Loop: Header=BB14_23 Depth=3
	s_or_b32 exec_lo, exec_lo, s56
	s_waitcnt lgkmcnt(0)
	s_waitcnt_vscnt null, 0x0
	s_barrier
	buffer_gl0_inv
	s_and_saveexec_b32 s3, s0
	s_cbranch_execz .LBB14_58
; %bb.46:                               ;   in Loop: Header=BB14_23 Depth=3
	v_dual_mov_b32 v18, v13 :: v_dual_mov_b32 v19, v12
	v_mov_b32_e32 v20, v7
	s_mov_b32 s56, 0
	s_branch .LBB14_48
.LBB14_47:                              ;   in Loop: Header=BB14_48 Depth=4
	s_or_b32 exec_lo, exec_lo, s57
	v_add_nc_u32_e32 v20, s28, v20
	v_add_nc_u32_e32 v19, s46, v19
	;; [unrolled: 1-line block ×3, first 2 shown]
	s_delay_alu instid0(VALU_DEP_3) | instskip(SKIP_1) | instid1(SALU_CYCLE_1)
	v_cmp_le_u32_e32 vcc_lo, s20, v20
	s_or_b32 s56, vcc_lo, s56
	s_and_not1_b32 exec_lo, exec_lo, s56
	s_cbranch_execz .LBB14_58
.LBB14_48:                              ;   Parent Loop BB14_3 Depth=1
                                        ;     Parent Loop BB14_8 Depth=2
                                        ;       Parent Loop BB14_23 Depth=3
                                        ; =>      This Loop Header: Depth=4
                                        ;           Child Loop BB14_51 Depth 5
	s_and_saveexec_b32 s57, s1
	s_cbranch_execz .LBB14_47
; %bb.49:                               ;   in Loop: Header=BB14_48 Depth=4
	v_dual_mov_b32 v23, v11 :: v_dual_add_nc_u32 v2, s20, v20
	v_dual_mov_b32 v5, v1 :: v_dual_add_nc_u32 v4, s54, v20
	v_add_nc_u32_e32 v0, v20, v15
	v_mul_lo_u32 v21, v20, s31
	s_delay_alu instid0(VALU_DEP_4) | instskip(NEXT) | instid1(VALU_DEP_4)
	v_mul_lo_u32 v22, v2, s31
	v_cmp_gt_u32_e64 s2, s21, v4
	v_lshlrev_b64 v[4:5], 2, v[4:5]
	v_lshlrev_b64 v[2:3], 2, v[0:1]
	v_mov_b32_e32 v24, v17
	s_mov_b32 s58, 0
	s_mov_b32 s59, 0
	s_branch .LBB14_51
.LBB14_50:                              ;   in Loop: Header=BB14_51 Depth=5
	s_or_b32 exec_lo, exec_lo, s60
	s_add_i32 s59, s59, s23
	v_add_nc_u32_e32 v24, s23, v24
	v_add_nc_u32_e32 v0, s59, v6
	;; [unrolled: 1-line block ×3, first 2 shown]
	s_delay_alu instid0(VALU_DEP_2) | instskip(SKIP_1) | instid1(SALU_CYCLE_1)
	v_cmp_le_u32_e32 vcc_lo, s20, v0
	s_or_b32 s58, vcc_lo, s58
	s_and_not1_b32 exec_lo, exec_lo, s58
	s_cbranch_execz .LBB14_47
.LBB14_51:                              ;   Parent Loop BB14_3 Depth=1
                                        ;     Parent Loop BB14_8 Depth=2
                                        ;       Parent Loop BB14_23 Depth=3
                                        ;         Parent Loop BB14_48 Depth=4
                                        ; =>        This Inner Loop Header: Depth=5
	s_delay_alu instid0(VALU_DEP_1) | instskip(SKIP_3) | instid1(VALU_DEP_3)
	v_mul_hi_u32 v0, v10, v24
	v_add_nc_u32_e32 v26, s59, v6
	v_add_nc_u32_e32 v27, s59, v16
	s_mov_b32 s60, exec_lo
	v_mul_lo_u32 v25, s20, v0
	v_not_b32_e32 v0, v0
	s_delay_alu instid0(VALU_DEP_1) | instskip(NEXT) | instid1(VALU_DEP_3)
	v_mul_lo_u32 v0, s20, v0
	v_sub_nc_u32_e32 v25, s55, v25
	s_delay_alu instid0(VALU_DEP_1) | instskip(NEXT) | instid1(VALU_DEP_3)
	v_add_nc_u32_e32 v25, v26, v25
	v_add3_u32 v0, s55, v0, v26
	s_delay_alu instid0(VALU_DEP_2) | instskip(NEXT) | instid1(VALU_DEP_2)
	v_cmp_le_u32_e32 vcc_lo, s20, v25
	v_cndmask_b32_e32 v0, v25, v0, vcc_lo
	s_delay_alu instid0(VALU_DEP_1) | instskip(SKIP_1) | instid1(VALU_DEP_2)
	v_subrev_nc_u32_e32 v25, s20, v0
	v_cmp_le_u32_e32 vcc_lo, s20, v0
	v_cndmask_b32_e32 v29, v0, v25, vcc_lo
	s_delay_alu instid0(VALU_DEP_1) | instskip(NEXT) | instid1(VALU_DEP_1)
	v_add_nc_u32_e32 v28, s54, v29
	v_max_u32_e32 v0, v27, v28
	s_delay_alu instid0(VALU_DEP_1)
	v_cmpx_gt_u32_e64 s21, v0
	s_cbranch_execz .LBB14_50
; %bb.52:                               ;   in Loop: Header=BB14_51 Depth=5
	v_add_nc_u32_e32 v0, s29, v23
	s_and_not1_b32 vcc_lo, exec_lo, s53
	ds_load_b32 v25, v23
	ds_load_b32 v26, v0
	s_cbranch_vccnz .LBB14_56
; %bb.53:                               ;   in Loop: Header=BB14_51 Depth=5
	v_add_nc_u32_e32 v0, s59, v19
	v_add_nc_u32_e32 v29, s20, v29
	s_delay_alu instid0(VALU_DEP_2) | instskip(NEXT) | instid1(VALU_DEP_2)
	v_lshlrev_b64 v[30:31], 2, v[0:1]
	v_add_nc_u32_e32 v0, v29, v21
	s_delay_alu instid0(VALU_DEP_1) | instskip(NEXT) | instid1(VALU_DEP_1)
	v_lshlrev_b64 v[32:33], 2, v[0:1]
	v_add_co_u32 v32, vcc_lo, s51, v32
	s_delay_alu instid0(VALU_DEP_2)
	v_add_co_ci_u32_e32 v33, vcc_lo, s50, v33, vcc_lo
	v_add_co_u32 v30, vcc_lo, s51, v30
	v_add_co_ci_u32_e32 v31, vcc_lo, s50, v31, vcc_lo
	s_clause 0x1
	flat_load_b32 v0, v[32:33]
	flat_load_b32 v34, v[30:31]
	s_waitcnt vmcnt(1) lgkmcnt(1)
	v_mul_f32_e32 v35, v26, v0
	s_waitcnt vmcnt(0) lgkmcnt(0)
	v_mul_f32_e32 v36, v26, v34
	s_delay_alu instid0(VALU_DEP_2) | instskip(NEXT) | instid1(VALU_DEP_2)
	v_fmac_f32_e32 v35, v25, v34
	v_fma_f32 v0, v25, v0, -v36
	s_clause 0x1
	flat_store_b32 v[30:31], v35
	flat_store_b32 v[32:33], v0
	s_and_saveexec_b32 s61, s2
	s_cbranch_execz .LBB14_55
; %bb.54:                               ;   in Loop: Header=BB14_51 Depth=5
	v_add_nc_u32_e32 v0, s59, v18
	s_delay_alu instid0(VALU_DEP_1) | instskip(SKIP_1) | instid1(VALU_DEP_1)
	v_lshlrev_b64 v[30:31], 2, v[0:1]
	v_add_nc_u32_e32 v0, v29, v22
	v_lshlrev_b64 v[32:33], 2, v[0:1]
	s_delay_alu instid0(VALU_DEP_1) | instskip(NEXT) | instid1(VALU_DEP_2)
	v_add_co_u32 v32, vcc_lo, s51, v32
	v_add_co_ci_u32_e32 v33, vcc_lo, s50, v33, vcc_lo
	v_add_co_u32 v29, vcc_lo, s51, v30
	v_add_co_ci_u32_e32 v30, vcc_lo, s50, v31, vcc_lo
	s_clause 0x1
	flat_load_b32 v0, v[32:33]
	flat_load_b32 v31, v[29:30]
	s_waitcnt vmcnt(1) lgkmcnt(1)
	v_mul_f32_e32 v34, v26, v0
	s_waitcnt vmcnt(0) lgkmcnt(0)
	v_mul_f32_e32 v35, v26, v31
	s_delay_alu instid0(VALU_DEP_2) | instskip(NEXT) | instid1(VALU_DEP_2)
	v_fmac_f32_e32 v34, v25, v31
	v_fma_f32 v0, v25, v0, -v35
	s_clause 0x1
	flat_store_b32 v[29:30], v34
	flat_store_b32 v[32:33], v0
.LBB14_55:                              ;   in Loop: Header=BB14_51 Depth=5
	s_or_b32 exec_lo, exec_lo, s61
.LBB14_56:                              ;   in Loop: Header=BB14_51 Depth=5
	v_mad_u64_u32 v[29:30], null, v28, s19, 0
	v_mad_u64_u32 v[31:32], null, v27, s19, 0
	s_delay_alu instid0(VALU_DEP_2) | instskip(NEXT) | instid1(VALU_DEP_2)
	v_mov_b32_e32 v0, v30
	v_mov_b32_e32 v30, v32
	s_delay_alu instid0(VALU_DEP_2) | instskip(NEXT) | instid1(VALU_DEP_2)
	v_mad_u64_u32 v[32:33], null, v28, s38, v[0:1]
	v_mad_u64_u32 v[33:34], null, v27, s38, v[30:31]
	s_delay_alu instid0(VALU_DEP_2) | instskip(NEXT) | instid1(VALU_DEP_2)
	v_mov_b32_e32 v30, v32
	v_mov_b32_e32 v32, v33
	s_delay_alu instid0(VALU_DEP_2) | instskip(NEXT) | instid1(VALU_DEP_2)
	v_lshlrev_b64 v[28:29], 2, v[29:30]
	v_lshlrev_b64 v[30:31], 2, v[31:32]
	s_delay_alu instid0(VALU_DEP_2) | instskip(NEXT) | instid1(VALU_DEP_3)
	v_add_co_u32 v28, vcc_lo, s48, v28
	v_add_co_ci_u32_e32 v29, vcc_lo, s49, v29, vcc_lo
	s_delay_alu instid0(VALU_DEP_3) | instskip(NEXT) | instid1(VALU_DEP_4)
	v_add_co_u32 v0, vcc_lo, s48, v30
	v_add_co_ci_u32_e32 v27, vcc_lo, s49, v31, vcc_lo
	s_delay_alu instid0(VALU_DEP_4) | instskip(NEXT) | instid1(VALU_DEP_4)
	v_add_co_u32 v30, vcc_lo, v28, v2
	v_add_co_ci_u32_e32 v31, vcc_lo, v29, v3, vcc_lo
	s_delay_alu instid0(VALU_DEP_4) | instskip(NEXT) | instid1(VALU_DEP_4)
	v_add_co_u32 v32, vcc_lo, v0, v2
	v_add_co_ci_u32_e32 v33, vcc_lo, v27, v3, vcc_lo
	s_clause 0x1
	global_load_b32 v34, v[30:31], off
	global_load_b32 v35, v[32:33], off
	s_waitcnt vmcnt(1) lgkmcnt(0)
	v_mul_f32_e32 v36, v26, v34
	s_waitcnt vmcnt(0)
	v_mul_f32_e32 v37, v26, v35
	s_delay_alu instid0(VALU_DEP_2) | instskip(NEXT) | instid1(VALU_DEP_2)
	v_fmac_f32_e32 v36, v25, v35
	v_fma_f32 v34, v25, v34, -v37
	s_clause 0x1
	global_store_b32 v[32:33], v36, off
	global_store_b32 v[30:31], v34, off
	s_and_b32 exec_lo, exec_lo, s2
	s_cbranch_execz .LBB14_50
; %bb.57:                               ;   in Loop: Header=BB14_51 Depth=5
	v_add_co_u32 v28, vcc_lo, v28, v4
	v_add_co_ci_u32_e32 v29, vcc_lo, v29, v5, vcc_lo
	v_add_co_u32 v30, vcc_lo, v0, v4
	v_add_co_ci_u32_e32 v31, vcc_lo, v27, v5, vcc_lo
	s_clause 0x1
	global_load_b32 v0, v[28:29], off
	global_load_b32 v27, v[30:31], off
	s_waitcnt vmcnt(1)
	v_mul_f32_e32 v32, v26, v0
	s_waitcnt vmcnt(0)
	v_mul_f32_e32 v26, v26, v27
	s_delay_alu instid0(VALU_DEP_2) | instskip(NEXT) | instid1(VALU_DEP_2)
	v_fmac_f32_e32 v32, v25, v27
	v_fma_f32 v0, v25, v0, -v26
	s_clause 0x1
	global_store_b32 v[30:31], v32, off
	global_store_b32 v[28:29], v0, off
	s_branch .LBB14_50
.LBB14_58:                              ;   in Loop: Header=BB14_23 Depth=3
	s_or_b32 exec_lo, exec_lo, s3
	s_waitcnt_vscnt null, 0x0
	s_barrier
	buffer_gl0_inv
	s_and_saveexec_b32 s3, s0
	s_cbranch_execz .LBB14_67
; %bb.59:                               ;   in Loop: Header=BB14_23 Depth=3
	v_mov_b32_e32 v18, v7
	s_mov_b32 s56, 0
	s_branch .LBB14_61
.LBB14_60:                              ;   in Loop: Header=BB14_61 Depth=4
	s_or_b32 exec_lo, exec_lo, s57
	v_add_nc_u32_e32 v18, s28, v18
	s_delay_alu instid0(VALU_DEP_1) | instskip(SKIP_1) | instid1(SALU_CYCLE_1)
	v_cmp_le_u32_e32 vcc_lo, s20, v18
	s_or_b32 s56, vcc_lo, s56
	s_and_not1_b32 exec_lo, exec_lo, s56
	s_cbranch_execz .LBB14_67
.LBB14_61:                              ;   Parent Loop BB14_3 Depth=1
                                        ;     Parent Loop BB14_8 Depth=2
                                        ;       Parent Loop BB14_23 Depth=3
                                        ; =>      This Loop Header: Depth=4
                                        ;           Child Loop BB14_64 Depth 5
	s_and_saveexec_b32 s57, s1
	s_cbranch_execz .LBB14_60
; %bb.62:                               ;   in Loop: Header=BB14_61 Depth=4
	v_add_nc_u32_e32 v21, v18, v15
	v_add_nc_u32_e32 v22, s54, v18
	s_mov_b32 s58, 0
	s_mov_b32 s59, 0
	v_mov_b32_e32 v24, v17
	v_mad_u64_u32 v[2:3], null, v21, s19, 0
	v_mad_u64_u32 v[4:5], null, v22, s19, 0
	s_delay_alu instid0(VALU_DEP_1) | instskip(SKIP_1) | instid1(VALU_DEP_2)
	v_dual_mov_b32 v0, v3 :: v_dual_mov_b32 v3, v5
	v_cmp_gt_u32_e32 vcc_lo, s21, v22
	v_mad_u64_u32 v[19:20], null, v21, s38, v[0:1]
	s_delay_alu instid0(VALU_DEP_3) | instskip(NEXT) | instid1(VALU_DEP_2)
	v_mad_u64_u32 v[20:21], null, v22, s38, v[3:4]
	v_mov_b32_e32 v3, v19
	v_mov_b32_e32 v19, v11
	s_delay_alu instid0(VALU_DEP_3) | instskip(NEXT) | instid1(VALU_DEP_3)
	v_mov_b32_e32 v5, v20
	v_lshlrev_b64 v[2:3], 2, v[2:3]
	s_delay_alu instid0(VALU_DEP_2) | instskip(NEXT) | instid1(VALU_DEP_2)
	v_lshlrev_b64 v[4:5], 2, v[4:5]
	v_add_co_u32 v20, s2, s48, v2
	s_delay_alu instid0(VALU_DEP_1) | instskip(NEXT) | instid1(VALU_DEP_3)
	v_add_co_ci_u32_e64 v21, s2, s49, v3, s2
	v_add_co_u32 v22, s2, s48, v4
	s_delay_alu instid0(VALU_DEP_1)
	v_add_co_ci_u32_e64 v23, s2, s49, v5, s2
	s_branch .LBB14_64
.LBB14_63:                              ;   in Loop: Header=BB14_64 Depth=5
	s_or_b32 exec_lo, exec_lo, s60
	s_add_i32 s59, s59, s23
	v_add_nc_u32_e32 v24, s23, v24
	v_add_nc_u32_e32 v0, s59, v6
	;; [unrolled: 1-line block ×3, first 2 shown]
	s_delay_alu instid0(VALU_DEP_2) | instskip(NEXT) | instid1(VALU_DEP_1)
	v_cmp_le_u32_e64 s2, s20, v0
	s_or_b32 s58, s2, s58
	s_delay_alu instid0(SALU_CYCLE_1)
	s_and_not1_b32 exec_lo, exec_lo, s58
	s_cbranch_execz .LBB14_60
.LBB14_64:                              ;   Parent Loop BB14_3 Depth=1
                                        ;     Parent Loop BB14_8 Depth=2
                                        ;       Parent Loop BB14_23 Depth=3
                                        ;         Parent Loop BB14_61 Depth=4
                                        ; =>        This Inner Loop Header: Depth=5
	v_mul_hi_u32 v0, v10, v24
	v_add_nc_u32_e32 v3, s59, v6
	s_mov_b32 s60, exec_lo
	s_delay_alu instid0(VALU_DEP_2) | instskip(SKIP_1) | instid1(VALU_DEP_1)
	v_mul_lo_u32 v2, s20, v0
	v_not_b32_e32 v0, v0
	v_mul_lo_u32 v0, s20, v0
	s_delay_alu instid0(VALU_DEP_3) | instskip(NEXT) | instid1(VALU_DEP_1)
	v_sub_nc_u32_e32 v2, s55, v2
	v_add_nc_u32_e32 v2, v3, v2
	s_delay_alu instid0(VALU_DEP_3) | instskip(NEXT) | instid1(VALU_DEP_2)
	v_add3_u32 v0, s55, v0, v3
	v_cmp_le_u32_e64 s2, s20, v2
	s_delay_alu instid0(VALU_DEP_1) | instskip(NEXT) | instid1(VALU_DEP_1)
	v_cndmask_b32_e64 v0, v2, v0, s2
	v_subrev_nc_u32_e32 v2, s20, v0
	v_cmp_le_u32_e64 s2, s20, v0
	s_delay_alu instid0(VALU_DEP_1) | instskip(SKIP_1) | instid1(VALU_DEP_2)
	v_cndmask_b32_e64 v2, v0, v2, s2
	v_add_nc_u32_e32 v0, s59, v16
	v_add_nc_u32_e32 v2, s54, v2
	s_delay_alu instid0(VALU_DEP_1) | instskip(NEXT) | instid1(VALU_DEP_1)
	v_max_u32_e32 v3, v0, v2
	v_cmpx_gt_u32_e64 s21, v3
	s_cbranch_execz .LBB14_63
; %bb.65:                               ;   in Loop: Header=BB14_64 Depth=5
	v_mov_b32_e32 v3, v1
	s_delay_alu instid0(VALU_DEP_1) | instskip(SKIP_2) | instid1(VALU_DEP_3)
	v_lshlrev_b64 v[4:5], 2, v[2:3]
	v_lshlrev_b64 v[2:3], 2, v[0:1]
	v_add_nc_u32_e32 v0, s29, v19
	v_add_co_u32 v26, s2, v20, v4
	s_delay_alu instid0(VALU_DEP_1) | instskip(NEXT) | instid1(VALU_DEP_4)
	v_add_co_ci_u32_e64 v27, s2, v21, v5, s2
	v_add_co_u32 v28, s2, v20, v2
	s_delay_alu instid0(VALU_DEP_1)
	v_add_co_ci_u32_e64 v29, s2, v21, v3, s2
	s_clause 0x1
	global_load_b32 v30, v[26:27], off
	global_load_b32 v31, v[28:29], off
	ds_load_b32 v25, v0
	ds_load_b32 v0, v19
	s_waitcnt vmcnt(1) lgkmcnt(1)
	v_mul_f32_e32 v32, v25, v30
	s_waitcnt vmcnt(0)
	v_mul_f32_e32 v33, v25, v31
	s_waitcnt lgkmcnt(0)
	s_delay_alu instid0(VALU_DEP_2) | instskip(NEXT) | instid1(VALU_DEP_2)
	v_fmac_f32_e32 v32, v0, v31
	v_fma_f32 v30, v0, v30, -v33
	s_clause 0x1
	global_store_b32 v[28:29], v32, off
	global_store_b32 v[26:27], v30, off
	s_and_b32 exec_lo, exec_lo, vcc_lo
	s_cbranch_execz .LBB14_63
; %bb.66:                               ;   in Loop: Header=BB14_64 Depth=5
	v_add_co_u32 v4, s2, v22, v4
	s_delay_alu instid0(VALU_DEP_1) | instskip(SKIP_1) | instid1(VALU_DEP_1)
	v_add_co_ci_u32_e64 v5, s2, v23, v5, s2
	v_add_co_u32 v2, s2, v22, v2
	v_add_co_ci_u32_e64 v3, s2, v23, v3, s2
	s_clause 0x1
	global_load_b32 v26, v[4:5], off
	global_load_b32 v27, v[2:3], off
	s_waitcnt vmcnt(1)
	v_mul_f32_e32 v28, v25, v26
	s_waitcnt vmcnt(0)
	v_mul_f32_e32 v25, v25, v27
	s_delay_alu instid0(VALU_DEP_2) | instskip(NEXT) | instid1(VALU_DEP_2)
	v_fmac_f32_e32 v28, v0, v27
	v_fma_f32 v0, v0, v26, -v25
	s_clause 0x1
	global_store_b32 v[2:3], v28, off
	global_store_b32 v[4:5], v0, off
	s_branch .LBB14_63
.LBB14_67:                              ;   in Loop: Header=BB14_23 Depth=3
	s_or_b32 exec_lo, exec_lo, s3
	s_waitcnt_vscnt null, 0x0
	s_barrier
	buffer_gl0_inv
	s_and_saveexec_b32 s3, s0
	s_cbranch_execz .LBB14_22
; %bb.68:                               ;   in Loop: Header=BB14_23 Depth=3
	v_mov_b32_e32 v4, v7
	s_mov_b32 s56, 0
	s_branch .LBB14_70
.LBB14_69:                              ;   in Loop: Header=BB14_70 Depth=4
	s_or_b32 exec_lo, exec_lo, s57
	v_add_nc_u32_e32 v4, s28, v4
	s_delay_alu instid0(VALU_DEP_1) | instskip(SKIP_1) | instid1(SALU_CYCLE_1)
	v_cmp_le_u32_e32 vcc_lo, s20, v4
	s_or_b32 s56, vcc_lo, s56
	s_and_not1_b32 exec_lo, exec_lo, s56
	s_cbranch_execz .LBB14_22
.LBB14_70:                              ;   Parent Loop BB14_3 Depth=1
                                        ;     Parent Loop BB14_8 Depth=2
                                        ;       Parent Loop BB14_23 Depth=3
                                        ; =>      This Loop Header: Depth=4
                                        ;           Child Loop BB14_73 Depth 5
	s_and_saveexec_b32 s57, s1
	s_cbranch_execz .LBB14_69
; %bb.71:                               ;   in Loop: Header=BB14_70 Depth=4
	v_cmp_eq_u32_e32 vcc_lo, 0, v4
	v_dual_mov_b32 v5, v17 :: v_dual_mov_b32 v18, v6
	s_mov_b32 s58, 0
	s_branch .LBB14_73
.LBB14_72:                              ;   in Loop: Header=BB14_73 Depth=5
	s_or_b32 exec_lo, exec_lo, s59
	v_add_nc_u32_e32 v18, s23, v18
	v_add_nc_u32_e32 v5, s23, v5
	s_delay_alu instid0(VALU_DEP_2) | instskip(NEXT) | instid1(VALU_DEP_1)
	v_cmp_le_u32_e64 s2, s20, v18
	s_or_b32 s58, s2, s58
	s_delay_alu instid0(SALU_CYCLE_1)
	s_and_not1_b32 exec_lo, exec_lo, s58
	s_cbranch_execz .LBB14_69
.LBB14_73:                              ;   Parent Loop BB14_3 Depth=1
                                        ;     Parent Loop BB14_8 Depth=2
                                        ;       Parent Loop BB14_23 Depth=3
                                        ;         Parent Loop BB14_70 Depth=4
                                        ; =>        This Inner Loop Header: Depth=5
	s_delay_alu instid0(VALU_DEP_1) | instskip(NEXT) | instid1(VALU_DEP_2)
	v_mul_hi_u32 v19, v10, v5
	v_add_nc_u32_e32 v0, s55, v18
	s_delay_alu instid0(VALU_DEP_2) | instskip(NEXT) | instid1(VALU_DEP_2)
	v_not_b32_e32 v21, v19
	v_mad_u64_u32 v[2:3], null, s43, v19, v[0:1]
	s_delay_alu instid0(VALU_DEP_2) | instskip(NEXT) | instid1(VALU_DEP_2)
	v_mad_u64_u32 v[19:20], null, s20, v21, v[0:1]
	v_cmp_le_u32_e64 s2, s20, v2
	s_delay_alu instid0(VALU_DEP_1) | instskip(NEXT) | instid1(VALU_DEP_1)
	v_cndmask_b32_e64 v0, v2, v19, s2
	v_subrev_nc_u32_e32 v2, s20, v0
	v_cmp_le_u32_e64 s2, s20, v0
	s_delay_alu instid0(VALU_DEP_1) | instskip(NEXT) | instid1(VALU_DEP_1)
	v_cndmask_b32_e64 v0, v0, v2, s2
	v_add_nc_u32_e32 v2, s54, v0
	s_delay_alu instid0(VALU_DEP_1) | instskip(NEXT) | instid1(VALU_DEP_1)
	v_cmp_gt_u32_e64 s2, s21, v2
	s_and_b32 s2, vcc_lo, s2
	s_delay_alu instid0(SALU_CYCLE_1)
	s_and_saveexec_b32 s59, s2
	s_cbranch_execz .LBB14_72
; %bb.74:                               ;   in Loop: Header=BB14_73 Depth=5
	v_mad_u64_u32 v[19:20], null, v2, s19, 0
	s_delay_alu instid0(VALU_DEP_1) | instskip(NEXT) | instid1(VALU_DEP_1)
	v_dual_mov_b32 v3, v20 :: v_dual_add_nc_u32 v0, v15, v18
	v_mad_u64_u32 v[21:22], null, v0, s19, 0
	s_delay_alu instid0(VALU_DEP_1) | instskip(NEXT) | instid1(VALU_DEP_3)
	v_mov_b32_e32 v20, v22
	v_mad_u64_u32 v[22:23], null, v2, s38, v[3:4]
	v_mov_b32_e32 v3, v1
	s_delay_alu instid0(VALU_DEP_3) | instskip(NEXT) | instid1(VALU_DEP_2)
	v_mad_u64_u32 v[23:24], null, v0, s38, v[20:21]
	v_lshlrev_b64 v[2:3], 2, v[2:3]
	s_delay_alu instid0(VALU_DEP_4) | instskip(NEXT) | instid1(VALU_DEP_3)
	v_mov_b32_e32 v20, v22
	v_mov_b32_e32 v22, v23
	s_delay_alu instid0(VALU_DEP_2) | instskip(SKIP_1) | instid1(VALU_DEP_3)
	v_lshlrev_b64 v[19:20], 2, v[19:20]
	v_lshlrev_b64 v[23:24], 2, v[0:1]
	;; [unrolled: 1-line block ×3, first 2 shown]
	s_delay_alu instid0(VALU_DEP_3) | instskip(NEXT) | instid1(VALU_DEP_1)
	v_add_co_u32 v0, s2, s48, v19
	v_add_co_ci_u32_e64 v20, s2, s49, v20, s2
	s_delay_alu instid0(VALU_DEP_3) | instskip(NEXT) | instid1(VALU_DEP_1)
	v_add_co_u32 v21, s2, s48, v21
	v_add_co_ci_u32_e64 v22, s2, s49, v22, s2
	s_delay_alu instid0(VALU_DEP_4) | instskip(NEXT) | instid1(VALU_DEP_1)
	v_add_co_u32 v19, s2, v0, v23
	v_add_co_ci_u32_e64 v20, s2, v20, v24, s2
	s_delay_alu instid0(VALU_DEP_4) | instskip(NEXT) | instid1(VALU_DEP_1)
	v_add_co_u32 v2, s2, v21, v2
	v_add_co_ci_u32_e64 v3, s2, v22, v3, s2
	s_clause 0x1
	global_store_b32 v[19:20], v1, off
	global_store_b32 v[2:3], v1, off
	s_branch .LBB14_72
.LBB14_75:                              ;   in Loop: Header=BB14_8 Depth=2
	s_or_b32 s2, s52, s45
	s_delay_alu instid0(SALU_CYCLE_1)
	s_and_not1_b32 vcc_lo, exec_lo, s2
	s_cbranch_vccz .LBB14_7
; %bb.76:                               ;   in Loop: Header=BB14_8 Depth=2
	s_mov_b32 s52, exec_lo
	s_waitcnt_vscnt null, 0x0
	s_barrier
	buffer_gl0_inv
	v_cmpx_lt_u32_e64 v7, v14
	s_cbranch_execz .LBB14_6
; %bb.77:                               ;   in Loop: Header=BB14_8 Depth=2
	v_cmp_lt_u32_e32 vcc_lo, v6, v14
	v_dual_mov_b32 v2, v9 :: v_dual_mov_b32 v3, v7
	s_mov_b32 s53, 0
	s_set_inst_prefetch_distance 0x1
	s_branch .LBB14_79
	.p2align	6
.LBB14_78:                              ;   in Loop: Header=BB14_79 Depth=3
	s_or_b32 exec_lo, exec_lo, s54
	v_add_nc_u32_e32 v3, s28, v3
	v_add_nc_u32_e32 v2, s46, v2
	s_delay_alu instid0(VALU_DEP_2) | instskip(NEXT) | instid1(VALU_DEP_1)
	v_cmp_ge_u32_e64 s2, v3, v14
	s_or_b32 s53, s2, s53
	s_delay_alu instid0(SALU_CYCLE_1)
	s_and_not1_b32 exec_lo, exec_lo, s53
	s_cbranch_execz .LBB14_6
.LBB14_79:                              ;   Parent Loop BB14_3 Depth=1
                                        ;     Parent Loop BB14_8 Depth=2
                                        ; =>    This Loop Header: Depth=3
                                        ;         Child Loop BB14_81 Depth 4
	s_and_saveexec_b32 s54, vcc_lo
	s_cbranch_execz .LBB14_78
; %bb.80:                               ;   in Loop: Header=BB14_79 Depth=3
	v_mov_b32_e32 v4, v6
	s_mov_b32 s55, 0
	.p2align	6
.LBB14_81:                              ;   Parent Loop BB14_3 Depth=1
                                        ;     Parent Loop BB14_8 Depth=2
                                        ;       Parent Loop BB14_79 Depth=3
                                        ; =>      This Inner Loop Header: Depth=4
	s_delay_alu instid0(VALU_DEP_1) | instskip(SKIP_1) | instid1(VALU_DEP_2)
	v_add_nc_u32_e32 v0, v2, v4
	v_add_nc_u32_e32 v4, s23, v4
	v_lshlrev_b64 v[15:16], 2, v[0:1]
	s_delay_alu instid0(VALU_DEP_1) | instskip(NEXT) | instid1(VALU_DEP_1)
	v_add_co_u32 v17, s2, s51, v15
	v_add_co_ci_u32_e64 v18, s2, s50, v16, s2
	s_delay_alu instid0(VALU_DEP_4)
	v_cmp_ge_u32_e64 s2, v4, v14
	v_add_co_u32 v15, s3, s16, v15
	flat_load_b32 v0, v[17:18]
	v_add_co_ci_u32_e64 v16, s3, s17, v16, s3
	s_or_b32 s55, s2, s55
	s_waitcnt vmcnt(0) lgkmcnt(0)
	flat_store_b32 v[15:16], v0
	s_and_not1_b32 exec_lo, exec_lo, s55
	s_cbranch_execnz .LBB14_81
	s_branch .LBB14_78
.LBB14_82:
	s_nop 0
	s_sendmsg sendmsg(MSG_DEALLOC_VGPRS)
	s_endpgm
	.section	.rodata,"a",@progbits
	.p2align	6, 0x0
	.amdhsa_kernel _ZN9rocsolver6v33100L17syevj_offd_kernelIffPfEEviiT1_iilT0_PT_PiS7_S7_i
		.amdhsa_group_segment_fixed_size 0
		.amdhsa_private_segment_fixed_size 0
		.amdhsa_kernarg_size 336
		.amdhsa_user_sgpr_count 14
		.amdhsa_user_sgpr_dispatch_ptr 0
		.amdhsa_user_sgpr_queue_ptr 0
		.amdhsa_user_sgpr_kernarg_segment_ptr 1
		.amdhsa_user_sgpr_dispatch_id 0
		.amdhsa_user_sgpr_private_segment_size 0
		.amdhsa_wavefront_size32 1
		.amdhsa_uses_dynamic_stack 0
		.amdhsa_enable_private_segment 0
		.amdhsa_system_sgpr_workgroup_id_x 1
		.amdhsa_system_sgpr_workgroup_id_y 0
		.amdhsa_system_sgpr_workgroup_id_z 1
		.amdhsa_system_sgpr_workgroup_info 0
		.amdhsa_system_vgpr_workitem_id 1
		.amdhsa_next_free_vgpr 38
		.amdhsa_next_free_sgpr 66
		.amdhsa_reserve_vcc 1
		.amdhsa_float_round_mode_32 0
		.amdhsa_float_round_mode_16_64 0
		.amdhsa_float_denorm_mode_32 3
		.amdhsa_float_denorm_mode_16_64 3
		.amdhsa_dx10_clamp 1
		.amdhsa_ieee_mode 1
		.amdhsa_fp16_overflow 0
		.amdhsa_workgroup_processor_mode 1
		.amdhsa_memory_ordered 1
		.amdhsa_forward_progress 0
		.amdhsa_shared_vgpr_count 0
		.amdhsa_exception_fp_ieee_invalid_op 0
		.amdhsa_exception_fp_denorm_src 0
		.amdhsa_exception_fp_ieee_div_zero 0
		.amdhsa_exception_fp_ieee_overflow 0
		.amdhsa_exception_fp_ieee_underflow 0
		.amdhsa_exception_fp_ieee_inexact 0
		.amdhsa_exception_int_div_zero 0
	.end_amdhsa_kernel
	.section	.text._ZN9rocsolver6v33100L17syevj_offd_kernelIffPfEEviiT1_iilT0_PT_PiS7_S7_i,"axG",@progbits,_ZN9rocsolver6v33100L17syevj_offd_kernelIffPfEEviiT1_iilT0_PT_PiS7_S7_i,comdat
.Lfunc_end14:
	.size	_ZN9rocsolver6v33100L17syevj_offd_kernelIffPfEEviiT1_iilT0_PT_PiS7_S7_i, .Lfunc_end14-_ZN9rocsolver6v33100L17syevj_offd_kernelIffPfEEviiT1_iilT0_PT_PiS7_S7_i
                                        ; -- End function
	.section	.AMDGPU.csdata,"",@progbits
; Kernel info:
; codeLenInByte = 5236
; NumSgprs: 68
; NumVgprs: 38
; ScratchSize: 0
; MemoryBound: 0
; FloatMode: 240
; IeeeMode: 1
; LDSByteSize: 0 bytes/workgroup (compile time only)
; SGPRBlocks: 8
; VGPRBlocks: 4
; NumSGPRsForWavesPerEU: 68
; NumVGPRsForWavesPerEU: 38
; Occupancy: 16
; WaveLimiterHint : 1
; COMPUTE_PGM_RSRC2:SCRATCH_EN: 0
; COMPUTE_PGM_RSRC2:USER_SGPR: 14
; COMPUTE_PGM_RSRC2:TRAP_HANDLER: 0
; COMPUTE_PGM_RSRC2:TGID_X_EN: 1
; COMPUTE_PGM_RSRC2:TGID_Y_EN: 0
; COMPUTE_PGM_RSRC2:TGID_Z_EN: 1
; COMPUTE_PGM_RSRC2:TIDIG_COMP_CNT: 1
	.section	.text._ZN9rocsolver6v33100L21syevj_offd_rotate_orgILb0EffPfEEvbiiT2_iilPT0_PiS6_S6_,"axG",@progbits,_ZN9rocsolver6v33100L21syevj_offd_rotate_orgILb0EffPfEEvbiiT2_iilPT0_PiS6_S6_,comdat
	.globl	_ZN9rocsolver6v33100L21syevj_offd_rotate_orgILb0EffPfEEvbiiT2_iilPT0_PiS6_S6_ ; -- Begin function _ZN9rocsolver6v33100L21syevj_offd_rotate_orgILb0EffPfEEvbiiT2_iilPT0_PiS6_S6_
	.p2align	8
	.type	_ZN9rocsolver6v33100L21syevj_offd_rotate_orgILb0EffPfEEvbiiT2_iilPT0_PiS6_S6_,@function
_ZN9rocsolver6v33100L21syevj_offd_rotate_orgILb0EffPfEEvbiiT2_iilPT0_PiS6_S6_: ; @_ZN9rocsolver6v33100L21syevj_offd_rotate_orgILb0EffPfEEvbiiT2_iilPT0_PiS6_S6_
; %bb.0:
	s_load_b64 s[2:3], s[0:1], 0x40
	s_mov_b32 s12, s15
	s_mov_b32 s16, s13
	s_ashr_i32 s13, s15, 31
	s_delay_alu instid0(SALU_CYCLE_1)
	s_lshl_b64 s[4:5], s[12:13], 2
	s_waitcnt lgkmcnt(0)
	s_add_u32 s2, s2, s4
	s_addc_u32 s3, s3, s5
	s_load_b32 s2, s[2:3], 0x4
	s_waitcnt lgkmcnt(0)
	s_cmp_lg_u32 s2, 0
	s_cbranch_scc0 .LBB15_2
.LBB15_1:
	s_endpgm
.LBB15_2:
	s_load_b256 s[4:11], s[0:1], 0x20
	s_ashr_i32 s17, s16, 31
	s_delay_alu instid0(SALU_CYCLE_1)
	s_lshl_b64 s[2:3], s[16:17], 2
	s_waitcnt lgkmcnt(0)
	s_add_u32 s8, s8, s2
	s_addc_u32 s9, s9, s3
	s_add_u32 s2, s10, s2
	s_addc_u32 s3, s11, s3
	s_load_b32 s15, s[8:9], 0x0
	s_load_b32 s17, s[2:3], 0x0
	s_load_b128 s[8:11], s[0:1], 0x0
	s_waitcnt lgkmcnt(0)
	s_max_i32 s11, s15, s17
	s_delay_alu instid0(SALU_CYCLE_1)
	s_cmp_ge_i32 s11, s9
	s_cbranch_scc1 .LBB15_1
; %bb.3:
	s_add_u32 s2, s0, 0x48
	s_addc_u32 s3, s1, 0
	s_bitcmp1_b32 s8, 0
	s_cselect_b32 s8, -1, 0
	s_min_i32 s15, s15, s17
	s_xor_b32 s8, s8, -1
	s_delay_alu instid0(SALU_CYCLE_1)
	s_and_b32 vcc_lo, exec_lo, s8
	s_cbranch_vccnz .LBB15_5
; %bb.4:
	s_lshr_b32 s8, s14, 31
	s_delay_alu instid0(SALU_CYCLE_1) | instskip(NEXT) | instid1(SALU_CYCLE_1)
	s_add_i32 s8, s14, s8
	s_ashr_i32 s8, s8, 1
	s_delay_alu instid0(SALU_CYCLE_1) | instskip(SKIP_3) | instid1(SALU_CYCLE_1)
	s_cmp_lg_u32 s8, s15
	s_cselect_b32 s9, -1, 0
	s_cmp_lg_u32 s8, s11
	s_cselect_b32 s8, -1, 0
	s_and_b32 s8, s9, s8
.LBB15_5:
	s_delay_alu instid0(SALU_CYCLE_1)
	s_and_not1_b32 vcc_lo, exec_lo, s8
	s_cbranch_vccnz .LBB15_1
; %bb.6:
	s_load_b32 s17, s[2:3], 0xc
	v_bfe_u32 v8, v0, 10, 10
	s_waitcnt lgkmcnt(0)
	s_bfe_u32 s8, s17, 0xf0001
	s_delay_alu instid0(SALU_CYCLE_1) | instskip(NEXT) | instid1(SALU_CYCLE_1)
	s_mul_i32 s2, s15, s8
	v_dual_mov_b32 v1, s2 :: v_dual_and_b32 v6, 0x3ff, v0
	s_mul_i32 s9, s11, s8
	s_delay_alu instid0(SALU_CYCLE_1) | instskip(NEXT) | instid1(VALU_DEP_1)
	s_sub_i32 s2, s9, s8
	v_cmp_gt_u32_e32 vcc_lo, s8, v6
	s_delay_alu instid0(VALU_DEP_2) | instskip(SKIP_1) | instid1(SALU_CYCLE_1)
	v_cndmask_b32_e32 v1, s2, v1, vcc_lo
	s_lshr_b32 s2, s17, 16
	s_mul_i32 s14, s14, s2
	s_mov_b32 s2, exec_lo
	s_delay_alu instid0(VALU_DEP_1) | instskip(SKIP_1) | instid1(VALU_DEP_1)
	v_add_nc_u32_e32 v5, v1, v6
	v_add_nc_u32_e32 v0, s14, v8
	v_max_i32_e32 v1, v5, v0
	s_delay_alu instid0(VALU_DEP_1)
	v_cmpx_gt_i32_e64 s10, v1
	s_cbranch_execz .LBB15_1
; %bb.7:
	s_clause 0x1
	s_load_b32 s20, s[0:1], 0x48
	s_load_b128 s[0:3], s[0:1], 0x10
	s_mul_i32 s5, s12, s5
	s_mul_hi_u32 s18, s12, s4
	s_mul_i32 s13, s13, s4
	s_add_i32 s5, s18, s5
	s_mul_i32 s18, s12, s4
	s_add_i32 s19, s5, s13
	s_and_b32 s17, s17, 0xffff
	s_lshl_b64 s[18:19], s[18:19], 2
	s_lshl_b32 s4, s8, 1
	v_mov_b32_e32 v7, 0
	s_waitcnt lgkmcnt(0)
	s_mul_i32 s5, s20, s12
	s_ashr_i32 s13, s2, 31
	s_mov_b32 s12, s2
	s_add_i32 s2, s5, s16
	s_add_u32 s5, s0, s18
	s_mul_i32 s2, s2, s8
	s_addc_u32 s16, s1, s19
	s_lshl_b64 s[0:1], s[12:13], 2
	s_mul_i32 s2, s2, s8
	s_add_u32 s0, s5, s0
	s_addc_u32 s1, s16, s1
	s_lshl_b32 s12, s2, 2
	s_delay_alu instid0(SALU_CYCLE_1) | instskip(NEXT) | instid1(SALU_CYCLE_1)
	s_ashr_i32 s13, s12, 31
	s_lshl_b64 s[12:13], s[12:13], 2
	s_delay_alu instid0(SALU_CYCLE_1)
	s_add_u32 s2, s6, s12
	s_addc_u32 s5, s7, s13
	s_cmp_lt_u32 s17, 2
	s_cbranch_scc1 .LBB15_10
; %bb.8:
	v_dual_mov_b32 v2, 0 :: v_dual_mov_b32 v1, v6
	s_mul_i32 s6, s3, s15
	s_delay_alu instid0(SALU_CYCLE_1) | instskip(NEXT) | instid1(VALU_DEP_1)
	s_mul_i32 s6, s6, s8
	v_mov_b32_e32 v7, v2
	v_add3_u32 v3, s14, s6, v8
	s_mov_b32 s6, s8
	.p2align	6
.LBB15_9:                               ; =>This Inner Loop Header: Depth=1
	s_delay_alu instid0(VALU_DEP_1) | instskip(SKIP_3) | instid1(SALU_CYCLE_1)
	v_ashrrev_i32_e32 v4, 31, v3
	v_lshlrev_b64 v[9:10], 2, v[1:2]
	v_add_nc_u32_e32 v1, s4, v1
	s_add_i32 s6, s6, -1
	s_cmp_eq_u32 s6, 0
	v_lshlrev_b64 v[11:12], 2, v[3:4]
	s_delay_alu instid0(VALU_DEP_3) | instskip(SKIP_2) | instid1(VALU_DEP_4)
	v_add_co_u32 v9, vcc_lo, s2, v9
	v_add_co_ci_u32_e32 v10, vcc_lo, s5, v10, vcc_lo
	v_add_nc_u32_e32 v3, s3, v3
	v_add_co_u32 v11, vcc_lo, s0, v11
	v_add_co_ci_u32_e32 v12, vcc_lo, s1, v12, vcc_lo
	global_load_b32 v4, v[9:10], off
	global_load_b32 v9, v[11:12], off
	s_waitcnt vmcnt(0)
	v_fmac_f32_e32 v7, v4, v9
	s_cbranch_scc0 .LBB15_9
.LBB15_10:
	s_sub_i32 s6, s10, s9
	s_delay_alu instid0(SALU_CYCLE_1) | instskip(NEXT) | instid1(SALU_CYCLE_1)
	s_min_i32 s6, s6, s8
	s_cmp_lt_i32 s6, 1
	s_cbranch_scc1 .LBB15_13
; %bb.11:
	s_mul_i32 s7, s3, s11
	s_mul_i32 s9, s8, s8
	;; [unrolled: 1-line block ×3, first 2 shown]
	v_lshl_add_u32 v1, s9, 1, v6
	v_add3_u32 v3, s14, s7, v8
	v_mov_b32_e32 v2, 0
	.p2align	6
.LBB15_12:                              ; =>This Inner Loop Header: Depth=1
	s_delay_alu instid0(VALU_DEP_2) | instskip(NEXT) | instid1(VALU_DEP_2)
	v_ashrrev_i32_e32 v4, 31, v3
	v_lshlrev_b64 v[8:9], 2, v[1:2]
	v_add_nc_u32_e32 v1, s4, v1
	s_add_i32 s6, s6, -1
	s_delay_alu instid0(SALU_CYCLE_1) | instskip(SKIP_1) | instid1(VALU_DEP_3)
	s_cmp_lg_u32 s6, 0
	v_lshlrev_b64 v[10:11], 2, v[3:4]
	v_add_co_u32 v8, vcc_lo, s2, v8
	v_add_co_ci_u32_e32 v9, vcc_lo, s5, v9, vcc_lo
	v_add_nc_u32_e32 v3, s3, v3
	s_delay_alu instid0(VALU_DEP_4)
	v_add_co_u32 v10, vcc_lo, s0, v10
	v_add_co_ci_u32_e32 v11, vcc_lo, s1, v11, vcc_lo
	global_load_b32 v4, v[8:9], off
	global_load_b32 v6, v[10:11], off
	s_waitcnt vmcnt(0)
	v_fmac_f32_e32 v7, v4, v6
	s_cbranch_scc1 .LBB15_12
.LBB15_13:
	v_mad_u64_u32 v[1:2], null, v5, s3, v[0:1]
	s_barrier
	buffer_gl0_inv
	v_ashrrev_i32_e32 v2, 31, v1
	s_delay_alu instid0(VALU_DEP_1) | instskip(NEXT) | instid1(VALU_DEP_1)
	v_lshlrev_b64 v[0:1], 2, v[1:2]
	v_add_co_u32 v0, vcc_lo, s0, v0
	s_delay_alu instid0(VALU_DEP_2)
	v_add_co_ci_u32_e32 v1, vcc_lo, s1, v1, vcc_lo
	global_store_b32 v[0:1], v7, off
	s_nop 0
	s_sendmsg sendmsg(MSG_DEALLOC_VGPRS)
	s_endpgm
	.section	.rodata,"a",@progbits
	.p2align	6, 0x0
	.amdhsa_kernel _ZN9rocsolver6v33100L21syevj_offd_rotate_orgILb0EffPfEEvbiiT2_iilPT0_PiS6_S6_
		.amdhsa_group_segment_fixed_size 0
		.amdhsa_private_segment_fixed_size 0
		.amdhsa_kernarg_size 328
		.amdhsa_user_sgpr_count 13
		.amdhsa_user_sgpr_dispatch_ptr 0
		.amdhsa_user_sgpr_queue_ptr 0
		.amdhsa_user_sgpr_kernarg_segment_ptr 1
		.amdhsa_user_sgpr_dispatch_id 0
		.amdhsa_user_sgpr_private_segment_size 0
		.amdhsa_wavefront_size32 1
		.amdhsa_uses_dynamic_stack 0
		.amdhsa_enable_private_segment 0
		.amdhsa_system_sgpr_workgroup_id_x 1
		.amdhsa_system_sgpr_workgroup_id_y 1
		.amdhsa_system_sgpr_workgroup_id_z 1
		.amdhsa_system_sgpr_workgroup_info 0
		.amdhsa_system_vgpr_workitem_id 1
		.amdhsa_next_free_vgpr 13
		.amdhsa_next_free_sgpr 21
		.amdhsa_reserve_vcc 1
		.amdhsa_float_round_mode_32 0
		.amdhsa_float_round_mode_16_64 0
		.amdhsa_float_denorm_mode_32 3
		.amdhsa_float_denorm_mode_16_64 3
		.amdhsa_dx10_clamp 1
		.amdhsa_ieee_mode 1
		.amdhsa_fp16_overflow 0
		.amdhsa_workgroup_processor_mode 1
		.amdhsa_memory_ordered 1
		.amdhsa_forward_progress 0
		.amdhsa_shared_vgpr_count 0
		.amdhsa_exception_fp_ieee_invalid_op 0
		.amdhsa_exception_fp_denorm_src 0
		.amdhsa_exception_fp_ieee_div_zero 0
		.amdhsa_exception_fp_ieee_overflow 0
		.amdhsa_exception_fp_ieee_underflow 0
		.amdhsa_exception_fp_ieee_inexact 0
		.amdhsa_exception_int_div_zero 0
	.end_amdhsa_kernel
	.section	.text._ZN9rocsolver6v33100L21syevj_offd_rotate_orgILb0EffPfEEvbiiT2_iilPT0_PiS6_S6_,"axG",@progbits,_ZN9rocsolver6v33100L21syevj_offd_rotate_orgILb0EffPfEEvbiiT2_iilPT0_PiS6_S6_,comdat
.Lfunc_end15:
	.size	_ZN9rocsolver6v33100L21syevj_offd_rotate_orgILb0EffPfEEvbiiT2_iilPT0_PiS6_S6_, .Lfunc_end15-_ZN9rocsolver6v33100L21syevj_offd_rotate_orgILb0EffPfEEvbiiT2_iilPT0_PiS6_S6_
                                        ; -- End function
	.section	.AMDGPU.csdata,"",@progbits
; Kernel info:
; codeLenInByte = 860
; NumSgprs: 23
; NumVgprs: 13
; ScratchSize: 0
; MemoryBound: 0
; FloatMode: 240
; IeeeMode: 1
; LDSByteSize: 0 bytes/workgroup (compile time only)
; SGPRBlocks: 2
; VGPRBlocks: 1
; NumSGPRsForWavesPerEU: 23
; NumVGPRsForWavesPerEU: 13
; Occupancy: 16
; WaveLimiterHint : 0
; COMPUTE_PGM_RSRC2:SCRATCH_EN: 0
; COMPUTE_PGM_RSRC2:USER_SGPR: 13
; COMPUTE_PGM_RSRC2:TRAP_HANDLER: 0
; COMPUTE_PGM_RSRC2:TGID_X_EN: 1
; COMPUTE_PGM_RSRC2:TGID_Y_EN: 1
; COMPUTE_PGM_RSRC2:TGID_Z_EN: 1
; COMPUTE_PGM_RSRC2:TIDIG_COMP_CNT: 1
	.section	.text._ZN9rocsolver6v33100L17syevj_offd_rotateILb0EffPfEEvbiiT2_iilPT0_PiS6_S6_i,"axG",@progbits,_ZN9rocsolver6v33100L17syevj_offd_rotateILb0EffPfEEvbiiT2_iilPT0_PiS6_S6_i,comdat
	.globl	_ZN9rocsolver6v33100L17syevj_offd_rotateILb0EffPfEEvbiiT2_iilPT0_PiS6_S6_i ; -- Begin function _ZN9rocsolver6v33100L17syevj_offd_rotateILb0EffPfEEvbiiT2_iilPT0_PiS6_S6_i
	.p2align	8
	.type	_ZN9rocsolver6v33100L17syevj_offd_rotateILb0EffPfEEvbiiT2_iilPT0_PiS6_S6_i,@function
_ZN9rocsolver6v33100L17syevj_offd_rotateILb0EffPfEEvbiiT2_iilPT0_PiS6_S6_i: ; @_ZN9rocsolver6v33100L17syevj_offd_rotateILb0EffPfEEvbiiT2_iilPT0_PiS6_S6_i
; %bb.0:
	s_clause 0x1
	s_load_b128 s[16:19], s[0:1], 0x0
	s_load_b32 s12, s[0:1], 0x48
	s_waitcnt lgkmcnt(0)
	s_abs_i32 s2, s17
	s_cmp_ge_u32 s15, s12
	v_cvt_f32_u32_e32 v1, s2
	s_delay_alu instid0(VALU_DEP_1) | instskip(SKIP_2) | instid1(VALU_DEP_1)
	v_rcp_iflag_f32_e32 v1, v1
	s_waitcnt_depctr 0xfff
	v_mul_f32_e32 v1, 0x4f7ffffe, v1
	v_cvt_u32_f32_e32 v1, v1
	s_delay_alu instid0(VALU_DEP_1)
	v_readfirstlane_b32 s3, v1
	s_cbranch_scc1 .LBB16_35
; %bb.1:
	s_sub_i32 s5, 0, s2
	s_add_i32 s4, s18, -1
	s_delay_alu instid0(VALU_DEP_1)
	s_mul_i32 s5, s5, s3
	s_ashr_i32 s6, s4, 31
	s_mul_hi_u32 s5, s3, s5
	s_ashr_i32 s7, s17, 31
	s_abs_i32 s4, s4
	s_add_i32 s3, s3, s5
	s_bitcmp1_b32 s16, 0
	s_mul_hi_u32 s3, s4, s3
	s_cselect_b32 s5, -1, 0
	s_mov_b32 s24, s15
	v_cndmask_b32_e64 v4, 0, 1, s5
	s_xor_b32 s15, s5, -1
	s_mul_i32 s5, s3, s2
	s_xor_b32 s6, s6, s7
	s_sub_i32 s4, s4, s5
	s_add_i32 s5, s3, 1
	s_sub_i32 s7, s4, s2
	s_cmp_ge_u32 s4, s2
	s_load_b128 s[20:23], s[0:1], 0x50
	s_cselect_b32 s3, s5, s3
	s_cselect_b32 s4, s7, s4
	s_add_i32 s5, s3, 1
	s_cmp_ge_u32 s4, s2
	s_load_b128 s[44:47], s[0:1], 0x10
	s_cselect_b32 s2, s5, s3
	s_lshl_b32 s28, s17, 1
	s_xor_b32 s2, s2, s6
	v_and_b32_e32 v1, 0x3ff, v0
	s_sub_i32 s16, s2, s6
	s_load_b64 s[2:3], s[0:1], 0x40
	s_add_i32 s26, s16, 1
	v_bfe_u32 v0, v0, 10, 10
	s_lshr_b32 s4, s26, 31
	v_lshl_add_u32 v7, v1, 2, 0
	s_add_i32 s25, s26, s4
	s_load_b256 s[4:11], s[0:1], 0x20
	s_and_b32 s0, s25, -2
	v_mov_b32_e32 v3, 0
	s_sub_i32 s0, s26, s0
	s_waitcnt lgkmcnt(0)
	s_lshr_b32 s27, s23, 16
	s_add_i32 s0, s0, s26
	s_and_b32 s23, s23, 0xffff
	s_lshr_b32 s1, s0, 31
	v_mad_u32_u24 v5, v0, s23, v1
	s_add_i32 s0, s0, s1
	s_mul_i32 s1, s28, s17
	s_ashr_i32 s29, s0, 1
	s_lshl_b32 s0, s1, 2
	s_mul_i32 s25, s1, 3
	s_add_i32 s30, s0, 0
	s_mov_b64 s[0:1], src_shared_base
	s_cmpk_lt_u32 s25, 0x4001
	s_mov_b32 s31, s1
	s_mul_i32 s1, s17, s17
	s_cselect_b32 s33, -1, 0
	s_ashr_i32 s43, s46, 31
	s_lshl_b32 s34, s1, 2
	s_cmp_lt_u32 s13, s29
	s_mul_i32 s0, s16, s17
	s_cselect_b32 s35, -1, 0
	s_sub_i32 s36, s18, s0
	s_cmp_lt_u32 s14, s26
	s_mov_b32 s42, s46
	s_cselect_b32 s38, -1, 0
	s_ashr_i32 s39, s47, 31
	s_add_u32 s40, s2, 4
	s_addc_u32 s41, s3, 0
	s_lshl_b64 s[2:3], s[42:43], 2
	v_lshlrev_b32_e32 v2, 2, v5
	s_add_u32 s42, s44, s2
	s_addc_u32 s43, s45, s3
	s_lshl_b32 s1, s1, 3
	v_cmp_gt_u32_e64 s0, s34, v5
	v_add3_u32 v6, 0, s1, v2
	s_mul_i32 s37, s27, s23
	s_mov_b32 s19, 0
	s_mov_b32 s44, s47
	s_lshl_b32 s45, s37, 2
	s_mul_i32 s46, s14, s17
	s_mul_i32 s47, s21, s17
	s_lshl_b32 s48, s27, 2
	s_lshl_b32 s49, s23, 2
	s_branch .LBB16_3
.LBB16_2:                               ;   in Loop: Header=BB16_3 Depth=1
	s_add_i32 s24, s24, s22
	s_delay_alu instid0(SALU_CYCLE_1)
	s_cmp_ge_u32 s24, s12
	s_cbranch_scc1 .LBB16_35
.LBB16_3:                               ; =>This Loop Header: Depth=1
                                        ;     Child Loop BB16_7 Depth 2
                                        ;       Child Loop BB16_11 Depth 3
                                        ;       Child Loop BB16_17 Depth 3
                                        ;         Child Loop BB16_23 Depth 4
                                        ;           Child Loop BB16_25 Depth 5
                                        ;         Child Loop BB16_29 Depth 4
                                        ;           Child Loop BB16_32 Depth 5
                                        ;             Child Loop BB16_34 Depth 6
	s_mov_b32 s25, s19
	s_delay_alu instid0(SALU_CYCLE_1) | instskip(NEXT) | instid1(SALU_CYCLE_1)
	s_lshl_b64 s[2:3], s[24:25], 2
	s_add_u32 s2, s40, s2
	s_addc_u32 s3, s41, s3
	s_load_b32 s1, s[2:3], 0x0
	s_waitcnt lgkmcnt(0)
	s_cmp_lg_u32 s1, 0
	s_cbranch_scc1 .LBB16_2
; %bb.4:                                ;   in Loop: Header=BB16_3 Depth=1
	s_and_not1_b32 vcc_lo, exec_lo, s35
	s_cbranch_vccnz .LBB16_2
; %bb.5:                                ;   in Loop: Header=BB16_3 Depth=1
	s_mul_i32 s1, s24, s5
	s_mul_hi_u32 s3, s24, s4
	s_mul_i32 s2, s24, s4
	s_add_i32 s3, s3, s1
	s_mul_i32 s25, s24, s29
	s_lshl_b64 s[2:3], s[2:3], 2
	s_mov_b32 s18, s13
	s_add_u32 s50, s42, s2
	s_addc_u32 s51, s43, s3
	s_branch .LBB16_7
.LBB16_6:                               ;   in Loop: Header=BB16_7 Depth=2
	s_add_i32 s18, s18, s20
	s_delay_alu instid0(SALU_CYCLE_1)
	s_cmp_lt_u32 s18, s29
	s_cbranch_scc0 .LBB16_2
.LBB16_7:                               ;   Parent Loop BB16_3 Depth=1
                                        ; =>  This Loop Header: Depth=2
                                        ;       Child Loop BB16_11 Depth 3
                                        ;       Child Loop BB16_17 Depth 3
                                        ;         Child Loop BB16_23 Depth 4
                                        ;           Child Loop BB16_25 Depth 5
                                        ;         Child Loop BB16_29 Depth 4
                                        ;           Child Loop BB16_32 Depth 5
                                        ;             Child Loop BB16_34 Depth 6
	s_lshl_b64 s[2:3], s[18:19], 2
	s_delay_alu instid0(SALU_CYCLE_1)
	s_add_u32 s52, s8, s2
	s_addc_u32 s53, s9, s3
	s_add_u32 s2, s10, s2
	s_addc_u32 s3, s11, s3
	s_clause 0x1
	global_load_b32 v2, v3, s[2:3]
	global_load_b32 v8, v3, s[52:53]
	s_waitcnt vmcnt(1)
	v_readfirstlane_b32 s1, v2
	s_waitcnt vmcnt(0)
	v_readfirstlane_b32 s2, v8
	s_delay_alu instid0(VALU_DEP_1) | instskip(NEXT) | instid1(SALU_CYCLE_1)
	s_max_i32 s52, s2, s1
	s_cmp_gt_i32 s52, s16
	s_cbranch_scc1 .LBB16_6
; %bb.8:                                ;   in Loop: Header=BB16_7 Depth=2
	s_add_i32 s3, s18, s25
	s_mov_b32 s55, s19
	s_mul_i32 s54, s34, s3
	s_delay_alu instid0(SALU_CYCLE_1) | instskip(NEXT) | instid1(SALU_CYCLE_1)
	s_lshl_b64 s[54:55], s[54:55], 2
	s_add_u32 s3, s6, s54
	s_addc_u32 s56, s7, s55
	s_and_not1_b32 vcc_lo, exec_lo, s33
	s_cbranch_vccnz .LBB16_13
; %bb.9:                                ;   in Loop: Header=BB16_7 Depth=2
	s_barrier
	buffer_gl0_inv
	s_and_saveexec_b32 s53, s0
	s_cbranch_execz .LBB16_12
; %bb.10:                               ;   in Loop: Header=BB16_7 Depth=2
	v_mov_b32_e32 v8, v6
	v_mov_b32_e32 v2, v5
	s_mov_b32 s54, 0
.LBB16_11:                              ;   Parent Loop BB16_3 Depth=1
                                        ;     Parent Loop BB16_7 Depth=2
                                        ; =>    This Inner Loop Header: Depth=3
	s_delay_alu instid0(VALU_DEP_1) | instskip(SKIP_1) | instid1(VALU_DEP_2)
	v_lshlrev_b64 v[9:10], 2, v[2:3]
	v_add_nc_u32_e32 v2, s37, v2
	v_add_co_u32 v9, vcc_lo, s3, v9
	s_delay_alu instid0(VALU_DEP_3) | instskip(NEXT) | instid1(VALU_DEP_3)
	v_add_co_ci_u32_e32 v10, vcc_lo, s56, v10, vcc_lo
	v_cmp_le_u32_e32 vcc_lo, s34, v2
	global_load_b32 v9, v[9:10], off
	s_or_b32 s54, vcc_lo, s54
	s_waitcnt vmcnt(0)
	ds_store_b32 v8, v9
	v_add_nc_u32_e32 v8, s45, v8
	s_and_not1_b32 exec_lo, exec_lo, s54
	s_cbranch_execnz .LBB16_11
.LBB16_12:                              ;   in Loop: Header=BB16_7 Depth=2
	s_or_b32 exec_lo, exec_lo, s53
	s_waitcnt lgkmcnt(0)
	s_barrier
	buffer_gl0_inv
.LBB16_13:                              ;   in Loop: Header=BB16_7 Depth=2
	s_and_not1_b32 vcc_lo, exec_lo, s38
	s_cbranch_vccnz .LBB16_6
; %bb.14:                               ;   in Loop: Header=BB16_7 Depth=2
	s_min_i32 s53, s1, s2
	s_mul_i32 s2, s52, s17
	s_cmp_eq_u32 s16, s53
	s_mul_i32 s60, s53, s17
	s_cselect_b32 s54, s36, s17
	s_cmp_eq_u32 s16, s52
	s_mov_b32 s61, s46
	s_cselect_b32 s1, s36, s17
	s_mov_b32 s62, s14
	s_add_i32 s55, s54, s1
	s_and_b32 s1, s33, exec_lo
	s_cselect_b32 s56, s31, s56
	s_cselect_b32 s57, s30, s3
	s_sub_i32 s58, s2, s54
	v_cmp_gt_u32_e64 s1, s55, v0
	s_cmp_gt_i32 s55, 0
	s_cselect_b32 s59, -1, 0
	s_branch .LBB16_17
.LBB16_15:                              ;   in Loop: Header=BB16_17 Depth=3
	s_or_b32 exec_lo, exec_lo, s64
	s_waitcnt_vscnt null, 0x0
	s_barrier
	buffer_gl0_inv
.LBB16_16:                              ;   in Loop: Header=BB16_17 Depth=3
	s_add_i32 s62, s62, s21
	s_add_i32 s61, s61, s47
	s_cmp_lt_u32 s62, s26
	s_cbranch_scc0 .LBB16_6
.LBB16_17:                              ;   Parent Loop BB16_3 Depth=1
                                        ;     Parent Loop BB16_7 Depth=2
                                        ; =>    This Loop Header: Depth=3
                                        ;         Child Loop BB16_23 Depth 4
                                        ;           Child Loop BB16_25 Depth 5
                                        ;         Child Loop BB16_29 Depth 4
                                        ;           Child Loop BB16_32 Depth 5
                                        ;             Child Loop BB16_34 Depth 6
	v_cmp_ne_u32_e32 vcc_lo, 1, v4
	s_mov_b32 s2, s15
	s_cbranch_vccz .LBB16_19
; %bb.18:                               ;   in Loop: Header=BB16_17 Depth=3
	s_and_not1_b32 vcc_lo, exec_lo, s2
	s_cbranch_vccnz .LBB16_16
	s_branch .LBB16_20
.LBB16_19:                              ;   in Loop: Header=BB16_17 Depth=3
	s_cmp_lg_u32 s62, s53
	s_cselect_b32 s2, -1, 0
	s_cmp_lg_u32 s62, s52
	s_cselect_b32 s3, -1, 0
	s_delay_alu instid0(SALU_CYCLE_1) | instskip(NEXT) | instid1(SALU_CYCLE_1)
	s_and_b32 s2, s2, s3
	s_and_not1_b32 vcc_lo, exec_lo, s2
	s_cbranch_vccnz .LBB16_16
.LBB16_20:                              ;   in Loop: Header=BB16_17 Depth=3
	s_cmp_eq_u32 s16, s62
	s_cselect_b32 s63, s36, s17
	s_barrier
	buffer_gl0_inv
	s_and_saveexec_b32 s3, s1
	s_cbranch_execz .LBB16_26
; %bb.21:                               ;   in Loop: Header=BB16_17 Depth=3
	v_mad_u64_u32 v[8:9], null, v0, s63, v[1:2]
	v_cmp_gt_u32_e32 vcc_lo, s63, v1
	v_mov_b32_e32 v9, v0
	s_mul_i32 s64, s48, s63
	s_mov_b32 s65, 0
	s_delay_alu instid0(VALU_DEP_3)
	v_lshl_add_u32 v8, v8, 2, 0
	s_branch .LBB16_23
.LBB16_22:                              ;   in Loop: Header=BB16_23 Depth=4
	s_or_b32 exec_lo, exec_lo, s66
	v_add_nc_u32_e32 v9, s27, v9
	v_add_nc_u32_e32 v8, s64, v8
	s_delay_alu instid0(VALU_DEP_2) | instskip(NEXT) | instid1(VALU_DEP_1)
	v_cmp_le_u32_e64 s2, s55, v9
	s_or_b32 s65, s2, s65
	s_delay_alu instid0(SALU_CYCLE_1)
	s_and_not1_b32 exec_lo, exec_lo, s65
	s_cbranch_execz .LBB16_26
.LBB16_23:                              ;   Parent Loop BB16_3 Depth=1
                                        ;     Parent Loop BB16_7 Depth=2
                                        ;       Parent Loop BB16_17 Depth=3
                                        ; =>      This Loop Header: Depth=4
                                        ;           Child Loop BB16_25 Depth 5
	s_and_saveexec_b32 s66, vcc_lo
	s_cbranch_execz .LBB16_22
; %bb.24:                               ;   in Loop: Header=BB16_23 Depth=4
	v_mov_b32_e32 v2, s60
	v_cmp_gt_u32_e64 s2, s54, v9
	s_mov_b32 s67, 0
	s_delay_alu instid0(VALU_DEP_1) | instskip(NEXT) | instid1(VALU_DEP_1)
	v_cndmask_b32_e64 v2, s58, v2, s2
	v_add_nc_u32_e32 v13, v9, v2
	s_delay_alu instid0(VALU_DEP_1) | instskip(NEXT) | instid1(VALU_DEP_1)
	v_mad_u64_u32 v[10:11], null, v13, s44, 0
	v_mov_b32_e32 v2, v11
	s_delay_alu instid0(VALU_DEP_1) | instskip(SKIP_1) | instid1(VALU_DEP_2)
	v_mad_u64_u32 v[11:12], null, v13, s39, v[2:3]
	v_mov_b32_e32 v13, v1
	v_lshlrev_b64 v[11:12], 2, v[10:11]
	v_mov_b32_e32 v10, v8
	s_delay_alu instid0(VALU_DEP_2) | instskip(NEXT) | instid1(VALU_DEP_1)
	v_add_co_u32 v11, s2, s50, v11
	v_add_co_ci_u32_e64 v12, s2, s51, v12, s2
	.p2align	6
.LBB16_25:                              ;   Parent Loop BB16_3 Depth=1
                                        ;     Parent Loop BB16_7 Depth=2
                                        ;       Parent Loop BB16_17 Depth=3
                                        ;         Parent Loop BB16_23 Depth=4
                                        ; =>        This Inner Loop Header: Depth=5
	v_add_nc_u32_e32 v2, s61, v13
	v_add_nc_u32_e32 v13, s23, v13
	s_delay_alu instid0(VALU_DEP_2) | instskip(NEXT) | instid1(VALU_DEP_1)
	v_lshlrev_b64 v[14:15], 2, v[2:3]
	v_add_co_u32 v14, s2, v11, v14
	s_delay_alu instid0(VALU_DEP_1) | instskip(NEXT) | instid1(VALU_DEP_4)
	v_add_co_ci_u32_e64 v15, s2, v12, v15, s2
	v_cmp_le_u32_e64 s2, s63, v13
	global_load_b32 v2, v[14:15], off
	s_or_b32 s67, s2, s67
	s_waitcnt vmcnt(0)
	ds_store_b32 v10, v2
	v_add_nc_u32_e32 v10, s49, v10
	s_and_not1_b32 exec_lo, exec_lo, s67
	s_cbranch_execnz .LBB16_25
	s_branch .LBB16_22
.LBB16_26:                              ;   in Loop: Header=BB16_17 Depth=3
	s_or_b32 exec_lo, exec_lo, s3
	s_waitcnt lgkmcnt(0)
	s_barrier
	buffer_gl0_inv
	s_and_saveexec_b32 s64, s1
	s_cbranch_execz .LBB16_15
; %bb.27:                               ;   in Loop: Header=BB16_17 Depth=3
	v_cmp_gt_u32_e64 s2, s63, v1
	v_mov_b32_e32 v8, v0
	s_mul_i32 s65, s62, s17
	s_lshl_b32 s66, s63, 2
	s_mov_b32 s67, 0
	s_branch .LBB16_29
.LBB16_28:                              ;   in Loop: Header=BB16_29 Depth=4
	s_set_inst_prefetch_distance 0x2
	s_or_b32 exec_lo, exec_lo, s68
	v_add_nc_u32_e32 v8, s27, v8
	s_delay_alu instid0(VALU_DEP_1) | instskip(SKIP_1) | instid1(SALU_CYCLE_1)
	v_cmp_le_u32_e32 vcc_lo, s55, v8
	s_or_b32 s67, vcc_lo, s67
	s_and_not1_b32 exec_lo, exec_lo, s67
	s_cbranch_execz .LBB16_15
.LBB16_29:                              ;   Parent Loop BB16_3 Depth=1
                                        ;     Parent Loop BB16_7 Depth=2
                                        ;       Parent Loop BB16_17 Depth=3
                                        ; =>      This Loop Header: Depth=4
                                        ;           Child Loop BB16_32 Depth 5
                                        ;             Child Loop BB16_34 Depth 6
	s_and_saveexec_b32 s68, s2
	s_cbranch_execz .LBB16_28
; %bb.30:                               ;   in Loop: Header=BB16_29 Depth=4
	v_mov_b32_e32 v2, s60
	v_cmp_gt_u32_e32 vcc_lo, s54, v8
	s_mov_b32 s69, 0
	s_delay_alu instid0(VALU_DEP_2) | instskip(NEXT) | instid1(VALU_DEP_1)
	v_cndmask_b32_e32 v2, s58, v2, vcc_lo
	v_add_nc_u32_e32 v12, v8, v2
	s_delay_alu instid0(VALU_DEP_1) | instskip(NEXT) | instid1(VALU_DEP_1)
	v_mad_u64_u32 v[9:10], null, v12, s44, 0
	v_mov_b32_e32 v2, v10
	s_delay_alu instid0(VALU_DEP_1) | instskip(SKIP_1) | instid1(VALU_DEP_2)
	v_mad_u64_u32 v[10:11], null, v12, s39, v[2:3]
	v_mov_b32_e32 v12, v1
	v_lshlrev_b64 v[10:11], 2, v[9:10]
	v_mov_b32_e32 v9, v7
	s_delay_alu instid0(VALU_DEP_2) | instskip(NEXT) | instid1(VALU_DEP_3)
	v_add_co_u32 v10, vcc_lo, s50, v10
	v_add_co_ci_u32_e32 v11, vcc_lo, s51, v11, vcc_lo
	s_set_inst_prefetch_distance 0x1
	s_branch .LBB16_32
	.p2align	6
.LBB16_31:                              ;   in Loop: Header=BB16_32 Depth=5
	v_add_nc_u32_e32 v2, s65, v12
	v_add_nc_u32_e32 v12, s23, v12
	;; [unrolled: 1-line block ×3, first 2 shown]
	s_delay_alu instid0(VALU_DEP_3) | instskip(NEXT) | instid1(VALU_DEP_3)
	v_lshlrev_b64 v[14:15], 2, v[2:3]
	v_cmp_le_u32_e32 vcc_lo, s63, v12
	s_or_b32 s69, vcc_lo, s69
	s_delay_alu instid0(VALU_DEP_2) | instskip(NEXT) | instid1(VALU_DEP_1)
	v_add_co_u32 v14, s3, v10, v14
	v_add_co_ci_u32_e64 v15, s3, v11, v15, s3
	global_store_b32 v[14:15], v13, off
	s_and_not1_b32 exec_lo, exec_lo, s69
	s_cbranch_execz .LBB16_28
.LBB16_32:                              ;   Parent Loop BB16_3 Depth=1
                                        ;     Parent Loop BB16_7 Depth=2
                                        ;       Parent Loop BB16_17 Depth=3
                                        ;         Parent Loop BB16_29 Depth=4
                                        ; =>        This Loop Header: Depth=5
                                        ;             Child Loop BB16_34 Depth 6
	v_mov_b32_e32 v13, 0
	s_and_not1_b32 vcc_lo, exec_lo, s59
	s_cbranch_vccnz .LBB16_31
; %bb.33:                               ;   in Loop: Header=BB16_32 Depth=5
	v_mov_b32_e32 v2, v8
	v_mov_b32_e32 v14, v9
	s_mov_b32 s3, s55
.LBB16_34:                              ;   Parent Loop BB16_3 Depth=1
                                        ;     Parent Loop BB16_7 Depth=2
                                        ;       Parent Loop BB16_17 Depth=3
                                        ;         Parent Loop BB16_29 Depth=4
                                        ;           Parent Loop BB16_32 Depth=5
                                        ; =>          This Inner Loop Header: Depth=6
	s_delay_alu instid0(VALU_DEP_2) | instskip(SKIP_2) | instid1(SALU_CYCLE_1)
	v_lshlrev_b64 v[15:16], 2, v[2:3]
	v_add_nc_u32_e32 v2, s28, v2
	s_add_i32 s3, s3, -1
	s_cmp_eq_u32 s3, 0
	s_delay_alu instid0(VALU_DEP_2) | instskip(NEXT) | instid1(VALU_DEP_3)
	v_add_co_u32 v15, vcc_lo, s57, v15
	v_add_co_ci_u32_e32 v16, vcc_lo, s56, v16, vcc_lo
	flat_load_b32 v15, v[15:16]
	ds_load_b32 v16, v14
	s_waitcnt vmcnt(0) lgkmcnt(0)
	v_dual_fmac_f32 v13, v16, v15 :: v_dual_add_nc_u32 v14, s66, v14
	s_cbranch_scc0 .LBB16_34
	s_branch .LBB16_31
.LBB16_35:
	s_endpgm
	.section	.rodata,"a",@progbits
	.p2align	6, 0x0
	.amdhsa_kernel _ZN9rocsolver6v33100L17syevj_offd_rotateILb0EffPfEEvbiiT2_iilPT0_PiS6_S6_i
		.amdhsa_group_segment_fixed_size 0
		.amdhsa_private_segment_fixed_size 0
		.amdhsa_kernarg_size 336
		.amdhsa_user_sgpr_count 13
		.amdhsa_user_sgpr_dispatch_ptr 0
		.amdhsa_user_sgpr_queue_ptr 0
		.amdhsa_user_sgpr_kernarg_segment_ptr 1
		.amdhsa_user_sgpr_dispatch_id 0
		.amdhsa_user_sgpr_private_segment_size 0
		.amdhsa_wavefront_size32 1
		.amdhsa_uses_dynamic_stack 0
		.amdhsa_enable_private_segment 0
		.amdhsa_system_sgpr_workgroup_id_x 1
		.amdhsa_system_sgpr_workgroup_id_y 1
		.amdhsa_system_sgpr_workgroup_id_z 1
		.amdhsa_system_sgpr_workgroup_info 0
		.amdhsa_system_vgpr_workitem_id 1
		.amdhsa_next_free_vgpr 17
		.amdhsa_next_free_sgpr 70
		.amdhsa_reserve_vcc 1
		.amdhsa_float_round_mode_32 0
		.amdhsa_float_round_mode_16_64 0
		.amdhsa_float_denorm_mode_32 3
		.amdhsa_float_denorm_mode_16_64 3
		.amdhsa_dx10_clamp 1
		.amdhsa_ieee_mode 1
		.amdhsa_fp16_overflow 0
		.amdhsa_workgroup_processor_mode 1
		.amdhsa_memory_ordered 1
		.amdhsa_forward_progress 0
		.amdhsa_shared_vgpr_count 0
		.amdhsa_exception_fp_ieee_invalid_op 0
		.amdhsa_exception_fp_denorm_src 0
		.amdhsa_exception_fp_ieee_div_zero 0
		.amdhsa_exception_fp_ieee_overflow 0
		.amdhsa_exception_fp_ieee_underflow 0
		.amdhsa_exception_fp_ieee_inexact 0
		.amdhsa_exception_int_div_zero 0
	.end_amdhsa_kernel
	.section	.text._ZN9rocsolver6v33100L17syevj_offd_rotateILb0EffPfEEvbiiT2_iilPT0_PiS6_S6_i,"axG",@progbits,_ZN9rocsolver6v33100L17syevj_offd_rotateILb0EffPfEEvbiiT2_iilPT0_PiS6_S6_i,comdat
.Lfunc_end16:
	.size	_ZN9rocsolver6v33100L17syevj_offd_rotateILb0EffPfEEvbiiT2_iilPT0_PiS6_S6_i, .Lfunc_end16-_ZN9rocsolver6v33100L17syevj_offd_rotateILb0EffPfEEvbiiT2_iilPT0_PiS6_S6_i
                                        ; -- End function
	.section	.AMDGPU.csdata,"",@progbits
; Kernel info:
; codeLenInByte = 1660
; NumSgprs: 72
; NumVgprs: 17
; ScratchSize: 0
; MemoryBound: 0
; FloatMode: 240
; IeeeMode: 1
; LDSByteSize: 0 bytes/workgroup (compile time only)
; SGPRBlocks: 8
; VGPRBlocks: 2
; NumSGPRsForWavesPerEU: 72
; NumVGPRsForWavesPerEU: 17
; Occupancy: 16
; WaveLimiterHint : 1
; COMPUTE_PGM_RSRC2:SCRATCH_EN: 0
; COMPUTE_PGM_RSRC2:USER_SGPR: 13
; COMPUTE_PGM_RSRC2:TRAP_HANDLER: 0
; COMPUTE_PGM_RSRC2:TGID_X_EN: 1
; COMPUTE_PGM_RSRC2:TGID_Y_EN: 1
; COMPUTE_PGM_RSRC2:TGID_Z_EN: 1
; COMPUTE_PGM_RSRC2:TIDIG_COMP_CNT: 1
	.section	.text._ZN9rocsolver6v33100L21syevj_offd_rotate_orgILb1EffPfEEvbiiT2_iilPT0_PiS6_S6_,"axG",@progbits,_ZN9rocsolver6v33100L21syevj_offd_rotate_orgILb1EffPfEEvbiiT2_iilPT0_PiS6_S6_,comdat
	.globl	_ZN9rocsolver6v33100L21syevj_offd_rotate_orgILb1EffPfEEvbiiT2_iilPT0_PiS6_S6_ ; -- Begin function _ZN9rocsolver6v33100L21syevj_offd_rotate_orgILb1EffPfEEvbiiT2_iilPT0_PiS6_S6_
	.p2align	8
	.type	_ZN9rocsolver6v33100L21syevj_offd_rotate_orgILb1EffPfEEvbiiT2_iilPT0_PiS6_S6_,@function
_ZN9rocsolver6v33100L21syevj_offd_rotate_orgILb1EffPfEEvbiiT2_iilPT0_PiS6_S6_: ; @_ZN9rocsolver6v33100L21syevj_offd_rotate_orgILb1EffPfEEvbiiT2_iilPT0_PiS6_S6_
; %bb.0:
	s_load_b64 s[2:3], s[0:1], 0x40
	s_mov_b32 s12, s15
	s_mov_b32 s16, s13
	s_ashr_i32 s13, s15, 31
	s_delay_alu instid0(SALU_CYCLE_1)
	s_lshl_b64 s[4:5], s[12:13], 2
	s_waitcnt lgkmcnt(0)
	s_add_u32 s2, s2, s4
	s_addc_u32 s3, s3, s5
	s_load_b32 s2, s[2:3], 0x4
	s_waitcnt lgkmcnt(0)
	s_cmp_lg_u32 s2, 0
	s_cbranch_scc0 .LBB17_2
.LBB17_1:
	s_endpgm
.LBB17_2:
	s_load_b256 s[4:11], s[0:1], 0x20
	s_ashr_i32 s17, s16, 31
	s_delay_alu instid0(SALU_CYCLE_1)
	s_lshl_b64 s[2:3], s[16:17], 2
	s_waitcnt lgkmcnt(0)
	s_add_u32 s8, s8, s2
	s_addc_u32 s9, s9, s3
	s_add_u32 s2, s10, s2
	s_addc_u32 s3, s11, s3
	s_load_b32 s17, s[8:9], 0x0
	s_load_b32 s18, s[2:3], 0x0
	s_load_b128 s[8:11], s[0:1], 0x0
	s_waitcnt lgkmcnt(0)
	s_max_i32 s15, s17, s18
	s_delay_alu instid0(SALU_CYCLE_1)
	s_cmp_ge_i32 s15, s9
	s_cbranch_scc1 .LBB17_1
; %bb.3:
	s_add_u32 s2, s0, 0x48
	s_addc_u32 s3, s1, 0
	s_bitcmp1_b32 s8, 0
	s_cselect_b32 s8, -1, 0
	s_min_i32 s11, s17, s18
	s_xor_b32 s8, s8, -1
	s_delay_alu instid0(SALU_CYCLE_1)
	s_and_b32 vcc_lo, exec_lo, s8
	s_cbranch_vccnz .LBB17_5
; %bb.4:
	s_lshr_b32 s8, s14, 31
	s_delay_alu instid0(SALU_CYCLE_1) | instskip(NEXT) | instid1(SALU_CYCLE_1)
	s_add_i32 s8, s14, s8
	s_ashr_i32 s8, s8, 1
	s_delay_alu instid0(SALU_CYCLE_1) | instskip(SKIP_3) | instid1(SALU_CYCLE_1)
	s_cmp_lg_u32 s8, s11
	s_cselect_b32 s9, -1, 0
	s_cmp_lg_u32 s8, s15
	s_cselect_b32 s8, -1, 0
	s_and_b32 s8, s9, s8
.LBB17_5:
	s_delay_alu instid0(SALU_CYCLE_1)
	s_and_not1_b32 vcc_lo, exec_lo, s8
	s_cbranch_vccnz .LBB17_1
; %bb.6:
	s_load_b32 s17, s[2:3], 0xc
	v_and_b32_e32 v5, 0x3ff, v0
	v_bfe_u32 v2, v0, 10, 10
	s_waitcnt lgkmcnt(0)
	s_bfe_u32 s8, s17, 0xf0001
	s_lshr_b32 s2, s17, 16
	s_mul_i32 s11, s11, s8
	v_cmp_gt_u32_e32 vcc_lo, s8, v5
	v_mov_b32_e32 v1, s11
	s_mul_i32 s9, s15, s8
	s_delay_alu instid0(SALU_CYCLE_1)
	s_sub_i32 s3, s9, s8
	s_delay_alu instid0(VALU_DEP_1) | instid1(SALU_CYCLE_1)
	v_cndmask_b32_e32 v3, s3, v1, vcc_lo
	s_delay_alu instid0(VALU_DEP_1) | instskip(SKIP_2) | instid1(VALU_DEP_1)
	v_add_nc_u32_e32 v4, v3, v5
	v_mad_u64_u32 v[0:1], null, s14, s2, v[2:3]
	s_mov_b32 s2, exec_lo
	v_max_i32_e32 v1, v4, v0
	s_delay_alu instid0(VALU_DEP_1)
	v_cmpx_gt_i32_e64 s10, v1
	s_cbranch_execz .LBB17_1
; %bb.7:
	s_clause 0x1
	s_load_b32 s18, s[0:1], 0x48
	s_load_b128 s[0:3], s[0:1], 0x10
	s_mul_i32 s5, s12, s5
	s_mul_hi_u32 s14, s12, s4
	s_mul_i32 s13, s13, s4
	s_add_i32 s5, s14, s5
	s_mul_i32 s14, s12, s4
	s_add_i32 s15, s5, s13
	s_and_b32 s17, s17, 0xffff
	s_lshl_b64 s[14:15], s[14:15], 2
	s_lshl_b32 s4, s8, 1
	s_waitcnt lgkmcnt(0)
	s_mul_i32 s5, s18, s12
	s_ashr_i32 s13, s2, 31
	s_mov_b32 s12, s2
	s_add_i32 s2, s5, s16
	s_add_u32 s5, s0, s14
	s_mul_i32 s2, s2, s8
	s_addc_u32 s14, s1, s15
	s_lshl_b64 s[0:1], s[12:13], 2
	s_mul_i32 s2, s2, s8
	s_add_u32 s0, s5, s0
	s_addc_u32 s1, s14, s1
	s_lshl_b32 s12, s2, 2
	v_mul_lo_u32 v8, v0, s3
	s_ashr_i32 s13, s12, 31
	s_delay_alu instid0(SALU_CYCLE_1) | instskip(NEXT) | instid1(SALU_CYCLE_1)
	s_lshl_b64 s[12:13], s[12:13], 2
	s_add_u32 s2, s6, s12
	s_addc_u32 s5, s7, s13
	s_cmp_gt_u32 s17, 1
	s_cbranch_scc0 .LBB17_11
; %bb.8:
	v_mul_lo_u32 v7, v0, s3
	v_dual_mov_b32 v1, 0 :: v_dual_mov_b32 v0, v5
	s_mov_b32 s3, s8
	s_delay_alu instid0(VALU_DEP_1) | instskip(NEXT) | instid1(VALU_DEP_3)
	v_mov_b32_e32 v6, v1
	v_add_nc_u32_e32 v2, s11, v7
	.p2align	6
.LBB17_9:                               ; =>This Inner Loop Header: Depth=1
	s_delay_alu instid0(VALU_DEP_1) | instskip(SKIP_3) | instid1(SALU_CYCLE_1)
	v_ashrrev_i32_e32 v3, 31, v2
	v_lshlrev_b64 v[9:10], 2, v[0:1]
	v_add_nc_u32_e32 v0, s4, v0
	s_add_i32 s3, s3, -1
	s_cmp_eq_u32 s3, 0
	v_lshlrev_b64 v[11:12], 2, v[2:3]
	s_delay_alu instid0(VALU_DEP_3) | instskip(SKIP_2) | instid1(VALU_DEP_4)
	v_add_co_u32 v9, vcc_lo, s2, v9
	v_add_co_ci_u32_e32 v10, vcc_lo, s5, v10, vcc_lo
	v_add_nc_u32_e32 v2, 1, v2
	v_add_co_u32 v11, vcc_lo, s0, v11
	v_add_co_ci_u32_e32 v12, vcc_lo, s1, v12, vcc_lo
	global_load_b32 v3, v[9:10], off
	global_load_b32 v9, v[11:12], off
	s_waitcnt vmcnt(0)
	v_fmac_f32_e32 v6, v3, v9
	s_cbranch_scc0 .LBB17_9
; %bb.10:
	s_mov_b32 s3, 0
	s_branch .LBB17_12
.LBB17_11:
	s_mov_b32 s3, -1
                                        ; implicit-def: $vgpr6
                                        ; implicit-def: $vgpr7
.LBB17_12:
	s_delay_alu instid0(SALU_CYCLE_1)
	s_and_b32 vcc_lo, exec_lo, s3
	s_cbranch_vccz .LBB17_14
; %bb.13:
	v_dual_mov_b32 v6, 0 :: v_dual_mov_b32 v7, v8
.LBB17_14:
	s_sub_i32 s3, s10, s9
	s_delay_alu instid0(SALU_CYCLE_1) | instskip(NEXT) | instid1(SALU_CYCLE_1)
	s_min_i32 s3, s3, s8
	s_cmp_lt_i32 s3, 1
	s_cbranch_scc1 .LBB17_17
; %bb.15:
	s_mul_i32 s8, s8, s8
	v_dual_mov_b32 v3, 0 :: v_dual_add_nc_u32 v0, s9, v7
	v_lshl_add_u32 v2, s8, 1, v5
	.p2align	6
.LBB17_16:                              ; =>This Inner Loop Header: Depth=1
	s_delay_alu instid0(VALU_DEP_2) | instskip(NEXT) | instid1(VALU_DEP_2)
	v_ashrrev_i32_e32 v1, 31, v0
	v_lshlrev_b64 v[8:9], 2, v[2:3]
	v_add_nc_u32_e32 v2, s4, v2
	s_add_i32 s3, s3, -1
	s_delay_alu instid0(SALU_CYCLE_1) | instskip(SKIP_1) | instid1(VALU_DEP_3)
	s_cmp_lg_u32 s3, 0
	v_lshlrev_b64 v[10:11], 2, v[0:1]
	v_add_co_u32 v8, vcc_lo, s2, v8
	v_add_co_ci_u32_e32 v9, vcc_lo, s5, v9, vcc_lo
	v_add_nc_u32_e32 v0, 1, v0
	s_delay_alu instid0(VALU_DEP_4)
	v_add_co_u32 v10, vcc_lo, s0, v10
	v_add_co_ci_u32_e32 v11, vcc_lo, s1, v11, vcc_lo
	global_load_b32 v1, v[8:9], off
	global_load_b32 v5, v[10:11], off
	s_waitcnt vmcnt(0)
	v_fmac_f32_e32 v6, v1, v5
	s_cbranch_scc1 .LBB17_16
.LBB17_17:
	v_add_nc_u32_e32 v0, v4, v7
	s_barrier
	buffer_gl0_inv
	v_ashrrev_i32_e32 v1, 31, v0
	s_delay_alu instid0(VALU_DEP_1) | instskip(NEXT) | instid1(VALU_DEP_1)
	v_lshlrev_b64 v[0:1], 2, v[0:1]
	v_add_co_u32 v0, vcc_lo, s0, v0
	s_delay_alu instid0(VALU_DEP_2)
	v_add_co_ci_u32_e32 v1, vcc_lo, s1, v1, vcc_lo
	global_store_b32 v[0:1], v6, off
	s_nop 0
	s_sendmsg sendmsg(MSG_DEALLOC_VGPRS)
	s_endpgm
	.section	.rodata,"a",@progbits
	.p2align	6, 0x0
	.amdhsa_kernel _ZN9rocsolver6v33100L21syevj_offd_rotate_orgILb1EffPfEEvbiiT2_iilPT0_PiS6_S6_
		.amdhsa_group_segment_fixed_size 0
		.amdhsa_private_segment_fixed_size 0
		.amdhsa_kernarg_size 328
		.amdhsa_user_sgpr_count 13
		.amdhsa_user_sgpr_dispatch_ptr 0
		.amdhsa_user_sgpr_queue_ptr 0
		.amdhsa_user_sgpr_kernarg_segment_ptr 1
		.amdhsa_user_sgpr_dispatch_id 0
		.amdhsa_user_sgpr_private_segment_size 0
		.amdhsa_wavefront_size32 1
		.amdhsa_uses_dynamic_stack 0
		.amdhsa_enable_private_segment 0
		.amdhsa_system_sgpr_workgroup_id_x 1
		.amdhsa_system_sgpr_workgroup_id_y 1
		.amdhsa_system_sgpr_workgroup_id_z 1
		.amdhsa_system_sgpr_workgroup_info 0
		.amdhsa_system_vgpr_workitem_id 1
		.amdhsa_next_free_vgpr 13
		.amdhsa_next_free_sgpr 19
		.amdhsa_reserve_vcc 1
		.amdhsa_float_round_mode_32 0
		.amdhsa_float_round_mode_16_64 0
		.amdhsa_float_denorm_mode_32 3
		.amdhsa_float_denorm_mode_16_64 3
		.amdhsa_dx10_clamp 1
		.amdhsa_ieee_mode 1
		.amdhsa_fp16_overflow 0
		.amdhsa_workgroup_processor_mode 1
		.amdhsa_memory_ordered 1
		.amdhsa_forward_progress 0
		.amdhsa_shared_vgpr_count 0
		.amdhsa_exception_fp_ieee_invalid_op 0
		.amdhsa_exception_fp_denorm_src 0
		.amdhsa_exception_fp_ieee_div_zero 0
		.amdhsa_exception_fp_ieee_overflow 0
		.amdhsa_exception_fp_ieee_underflow 0
		.amdhsa_exception_fp_ieee_inexact 0
		.amdhsa_exception_int_div_zero 0
	.end_amdhsa_kernel
	.section	.text._ZN9rocsolver6v33100L21syevj_offd_rotate_orgILb1EffPfEEvbiiT2_iilPT0_PiS6_S6_,"axG",@progbits,_ZN9rocsolver6v33100L21syevj_offd_rotate_orgILb1EffPfEEvbiiT2_iilPT0_PiS6_S6_,comdat
.Lfunc_end17:
	.size	_ZN9rocsolver6v33100L21syevj_offd_rotate_orgILb1EffPfEEvbiiT2_iilPT0_PiS6_S6_, .Lfunc_end17-_ZN9rocsolver6v33100L21syevj_offd_rotate_orgILb1EffPfEEvbiiT2_iilPT0_PiS6_S6_
                                        ; -- End function
	.section	.AMDGPU.csdata,"",@progbits
; Kernel info:
; codeLenInByte = 868
; NumSgprs: 21
; NumVgprs: 13
; ScratchSize: 0
; MemoryBound: 0
; FloatMode: 240
; IeeeMode: 1
; LDSByteSize: 0 bytes/workgroup (compile time only)
; SGPRBlocks: 2
; VGPRBlocks: 1
; NumSGPRsForWavesPerEU: 21
; NumVGPRsForWavesPerEU: 13
; Occupancy: 16
; WaveLimiterHint : 0
; COMPUTE_PGM_RSRC2:SCRATCH_EN: 0
; COMPUTE_PGM_RSRC2:USER_SGPR: 13
; COMPUTE_PGM_RSRC2:TRAP_HANDLER: 0
; COMPUTE_PGM_RSRC2:TGID_X_EN: 1
; COMPUTE_PGM_RSRC2:TGID_Y_EN: 1
; COMPUTE_PGM_RSRC2:TGID_Z_EN: 1
; COMPUTE_PGM_RSRC2:TIDIG_COMP_CNT: 1
	.section	.text._ZN9rocsolver6v33100L17syevj_offd_rotateILb1EffPfEEvbiiT2_iilPT0_PiS6_S6_i,"axG",@progbits,_ZN9rocsolver6v33100L17syevj_offd_rotateILb1EffPfEEvbiiT2_iilPT0_PiS6_S6_i,comdat
	.globl	_ZN9rocsolver6v33100L17syevj_offd_rotateILb1EffPfEEvbiiT2_iilPT0_PiS6_S6_i ; -- Begin function _ZN9rocsolver6v33100L17syevj_offd_rotateILb1EffPfEEvbiiT2_iilPT0_PiS6_S6_i
	.p2align	8
	.type	_ZN9rocsolver6v33100L17syevj_offd_rotateILb1EffPfEEvbiiT2_iilPT0_PiS6_S6_i,@function
_ZN9rocsolver6v33100L17syevj_offd_rotateILb1EffPfEEvbiiT2_iilPT0_PiS6_S6_i: ; @_ZN9rocsolver6v33100L17syevj_offd_rotateILb1EffPfEEvbiiT2_iilPT0_PiS6_S6_i
; %bb.0:
	s_clause 0x1
	s_load_b128 s[16:19], s[0:1], 0x0
	s_load_b32 s3, s[0:1], 0x48
	s_waitcnt lgkmcnt(0)
	s_abs_i32 s2, s17
	s_cmp_ge_u32 s15, s3
	v_cvt_f32_u32_e32 v1, s2
	s_delay_alu instid0(VALU_DEP_1) | instskip(SKIP_2) | instid1(VALU_DEP_1)
	v_rcp_iflag_f32_e32 v1, v1
	s_waitcnt_depctr 0xfff
	v_mul_f32_e32 v1, 0x4f7ffffe, v1
	v_cvt_u32_f32_e32 v1, v1
	s_delay_alu instid0(VALU_DEP_1)
	v_readfirstlane_b32 s4, v1
	s_cbranch_scc1 .LBB18_35
; %bb.1:
	s_sub_i32 s6, 0, s2
	s_add_i32 s5, s18, -1
	s_delay_alu instid0(VALU_DEP_1)
	s_mul_i32 s6, s6, s4
	s_ashr_i32 s7, s5, 31
	s_mul_hi_u32 s6, s4, s6
	s_ashr_i32 s8, s17, 31
	s_abs_i32 s5, s5
	s_add_i32 s4, s4, s6
	s_bitcmp1_b32 s16, 0
	s_mul_hi_u32 s4, s5, s4
	s_cselect_b32 s6, -1, 0
	s_xor_b32 s7, s7, s8
	v_cndmask_b32_e64 v6, 0, 1, s6
	s_xor_b32 s12, s6, -1
	s_mul_i32 s6, s4, s2
	s_mov_b32 s24, s15
	s_sub_i32 s5, s5, s6
	s_add_i32 s6, s4, 1
	s_sub_i32 s8, s5, s2
	s_cmp_ge_u32 s5, s2
	s_clause 0x1
	s_load_b128 s[20:23], s[0:1], 0x50
	s_load_b64 s[40:41], s[0:1], 0x40
	s_cselect_b32 s4, s6, s4
	s_cselect_b32 s5, s8, s5
	s_add_i32 s6, s4, 1
	s_cmp_ge_u32 s5, s2
	s_load_b128 s[44:47], s[0:1], 0x10
	s_cselect_b32 s2, s6, s4
	s_lshl_b32 s27, s17, 1
	s_xor_b32 s2, s2, s7
	v_and_b32_e32 v1, 0x3ff, v0
	s_sub_i32 s15, s2, s7
	s_load_b256 s[4:11], s[0:1], 0x20
	s_add_i32 s16, s15, 1
	v_bfe_u32 v0, v0, 10, 10
	s_lshr_b32 s2, s16, 31
	v_mov_b32_e32 v3, 0
	s_add_i32 s2, s16, s2
	s_mov_b32 s19, 0
	s_and_b32 s0, s2, -2
	s_waitcnt lgkmcnt(0)
	s_lshr_b32 s26, s23, 16
	s_sub_i32 s0, s16, s0
	s_and_b32 s23, s23, 0xffff
	s_add_i32 s0, s0, s16
	v_mad_u32_u24 v7, v0, s23, v1
	s_lshr_b32 s1, s0, 31
	s_mov_b32 s42, s46
	s_add_i32 s0, s0, s1
	s_mul_i32 s1, s27, s17
	s_ashr_i32 s28, s0, 1
	s_lshl_b32 s0, s1, 2
	s_mul_i32 s2, s1, 3
	s_add_i32 s29, s0, 0
	s_mov_b64 s[0:1], src_shared_base
	s_cmpk_lt_u32 s2, 0x4001
	s_mov_b32 s30, s1
	s_mul_i32 s1, s17, s17
	s_cselect_b32 s31, -1, 0
	s_ashr_i32 s43, s46, 31
	s_lshl_b32 s33, s1, 2
	s_cmp_lt_u32 s13, s28
	s_mul_i32 s0, s15, s17
	s_cselect_b32 s34, -1, 0
	s_sub_i32 s35, s18, s0
	s_cmp_lt_u32 s14, s16
	v_lshlrev_b32_e32 v2, 2, v7
	s_cselect_b32 s37, -1, 0
	s_ashr_i32 s38, s47, 31
	s_add_u32 s39, s40, 4
	s_addc_u32 s40, s41, 0
	s_lshl_b64 s[42:43], s[42:43], 2
	v_cmp_gt_u32_e64 s0, s33, v7
	s_add_u32 s41, s44, s42
	s_addc_u32 s42, s45, s43
	s_lshl_b32 s1, s1, 3
	v_lshlrev_b32_e32 v9, 2, v0
	v_add3_u32 v8, 0, s1, v2
	s_mul_i32 s36, s26, s23
	s_mov_b32 s43, s47
	s_lshl_b32 s44, s36, 2
	s_lshl_b32 s45, s26, 2
	;; [unrolled: 1-line block ×3, first 2 shown]
	s_branch .LBB18_3
.LBB18_2:                               ;   in Loop: Header=BB18_3 Depth=1
	s_add_i32 s24, s24, s22
	s_delay_alu instid0(SALU_CYCLE_1)
	s_cmp_ge_u32 s24, s3
	s_cbranch_scc1 .LBB18_35
.LBB18_3:                               ; =>This Loop Header: Depth=1
                                        ;     Child Loop BB18_7 Depth 2
                                        ;       Child Loop BB18_11 Depth 3
                                        ;       Child Loop BB18_17 Depth 3
                                        ;         Child Loop BB18_23 Depth 4
                                        ;           Child Loop BB18_25 Depth 5
                                        ;         Child Loop BB18_29 Depth 4
                                        ;           Child Loop BB18_32 Depth 5
                                        ;             Child Loop BB18_34 Depth 6
	s_mov_b32 s25, s19
	s_delay_alu instid0(SALU_CYCLE_1) | instskip(NEXT) | instid1(SALU_CYCLE_1)
	s_lshl_b64 s[48:49], s[24:25], 2
	s_add_u32 s48, s39, s48
	s_addc_u32 s49, s40, s49
	s_load_b32 s1, s[48:49], 0x0
	s_waitcnt lgkmcnt(0)
	s_cmp_lg_u32 s1, 0
	s_cbranch_scc1 .LBB18_2
; %bb.4:                                ;   in Loop: Header=BB18_3 Depth=1
	s_and_not1_b32 vcc_lo, exec_lo, s34
	s_cbranch_vccnz .LBB18_2
; %bb.5:                                ;   in Loop: Header=BB18_3 Depth=1
	s_mul_i32 s1, s24, s5
	s_mul_hi_u32 s2, s24, s4
	s_mul_i32 s48, s24, s4
	s_add_i32 s49, s2, s1
	s_mul_i32 s25, s24, s28
	s_lshl_b64 s[48:49], s[48:49], 2
	s_mov_b32 s18, s13
	s_add_u32 s47, s41, s48
	s_addc_u32 s48, s42, s49
	s_branch .LBB18_7
.LBB18_6:                               ;   in Loop: Header=BB18_7 Depth=2
	s_add_i32 s18, s18, s20
	s_delay_alu instid0(SALU_CYCLE_1)
	s_cmp_lt_u32 s18, s28
	s_cbranch_scc0 .LBB18_2
.LBB18_7:                               ;   Parent Loop BB18_3 Depth=1
                                        ; =>  This Loop Header: Depth=2
                                        ;       Child Loop BB18_11 Depth 3
                                        ;       Child Loop BB18_17 Depth 3
                                        ;         Child Loop BB18_23 Depth 4
                                        ;           Child Loop BB18_25 Depth 5
                                        ;         Child Loop BB18_29 Depth 4
                                        ;           Child Loop BB18_32 Depth 5
                                        ;             Child Loop BB18_34 Depth 6
	s_lshl_b64 s[50:51], s[18:19], 2
	s_delay_alu instid0(SALU_CYCLE_1)
	s_add_u32 s52, s8, s50
	s_addc_u32 s53, s9, s51
	s_add_u32 s50, s10, s50
	s_addc_u32 s51, s11, s51
	s_clause 0x1
	global_load_b32 v2, v3, s[50:51]
	global_load_b32 v4, v3, s[52:53]
	s_waitcnt vmcnt(1)
	v_readfirstlane_b32 s50, v2
	s_waitcnt vmcnt(0)
	v_readfirstlane_b32 s51, v4
	s_delay_alu instid0(VALU_DEP_1) | instskip(NEXT) | instid1(SALU_CYCLE_1)
	s_max_i32 s49, s51, s50
	s_cmp_gt_i32 s49, s15
	s_cbranch_scc1 .LBB18_6
; %bb.8:                                ;   in Loop: Header=BB18_7 Depth=2
	s_add_i32 s1, s18, s25
	s_mov_b32 s53, s19
	s_mul_i32 s52, s33, s1
	s_delay_alu instid0(SALU_CYCLE_1) | instskip(NEXT) | instid1(SALU_CYCLE_1)
	s_lshl_b64 s[52:53], s[52:53], 2
	s_add_u32 s1, s6, s52
	s_addc_u32 s2, s7, s53
	s_and_not1_b32 vcc_lo, exec_lo, s31
	s_cbranch_vccnz .LBB18_13
; %bb.9:                                ;   in Loop: Header=BB18_7 Depth=2
	s_barrier
	buffer_gl0_inv
	s_and_saveexec_b32 s52, s0
	s_cbranch_execz .LBB18_12
; %bb.10:                               ;   in Loop: Header=BB18_7 Depth=2
	v_mov_b32_e32 v4, v8
	v_mov_b32_e32 v2, v7
	s_mov_b32 s53, 0
.LBB18_11:                              ;   Parent Loop BB18_3 Depth=1
                                        ;     Parent Loop BB18_7 Depth=2
                                        ; =>    This Inner Loop Header: Depth=3
	s_delay_alu instid0(VALU_DEP_1) | instskip(SKIP_1) | instid1(VALU_DEP_2)
	v_lshlrev_b64 v[10:11], 2, v[2:3]
	v_add_nc_u32_e32 v2, s36, v2
	v_add_co_u32 v10, vcc_lo, s1, v10
	s_delay_alu instid0(VALU_DEP_3) | instskip(NEXT) | instid1(VALU_DEP_3)
	v_add_co_ci_u32_e32 v11, vcc_lo, s2, v11, vcc_lo
	v_cmp_le_u32_e32 vcc_lo, s33, v2
	global_load_b32 v5, v[10:11], off
	s_or_b32 s53, vcc_lo, s53
	s_waitcnt vmcnt(0)
	ds_store_b32 v4, v5
	v_add_nc_u32_e32 v4, s44, v4
	s_and_not1_b32 exec_lo, exec_lo, s53
	s_cbranch_execnz .LBB18_11
.LBB18_12:                              ;   in Loop: Header=BB18_7 Depth=2
	s_or_b32 exec_lo, exec_lo, s52
	s_waitcnt lgkmcnt(0)
	s_barrier
	buffer_gl0_inv
.LBB18_13:                              ;   in Loop: Header=BB18_7 Depth=2
	s_and_not1_b32 vcc_lo, exec_lo, s37
	s_cbranch_vccnz .LBB18_6
; %bb.14:                               ;   in Loop: Header=BB18_7 Depth=2
	s_min_i32 s50, s50, s51
	s_mov_b32 s56, s19
	s_cmp_eq_u32 s15, s50
	s_mul_i32 s55, s49, s17
	s_cselect_b32 s51, s35, s17
	s_cmp_eq_u32 s15, s49
	s_mov_b32 s59, s14
	s_cselect_b32 s52, s35, s17
	s_delay_alu instid0(SALU_CYCLE_1)
	s_add_i32 s52, s51, s52
	s_and_b32 s53, s31, exec_lo
	v_mad_u64_u32 v[10:11], null, v0, s52, v[1:2]
	v_mad_u64_u32 v[4:5], null, v9, s52, s[56:57]
	s_cselect_b32 s53, s30, s2
	s_cselect_b32 s54, s29, s1
	v_cmp_gt_u32_e64 s1, s52, v1
	s_sub_i32 s55, s55, s51
	s_delay_alu instid0(VALU_DEP_3)
	v_lshl_add_u32 v5, v10, 2, 0
	s_cmp_gt_i32 s52, 0
	s_mul_i32 s57, s50, s17
	s_cselect_b32 s56, -1, 0
	s_mul_i32 s58, s45, s52
	s_branch .LBB18_17
.LBB18_15:                              ;   in Loop: Header=BB18_17 Depth=3
	s_or_b32 exec_lo, exec_lo, s62
	s_waitcnt_vscnt null, 0x0
	s_barrier
	buffer_gl0_inv
.LBB18_16:                              ;   in Loop: Header=BB18_17 Depth=3
	s_add_i32 s59, s59, s21
	s_delay_alu instid0(SALU_CYCLE_1)
	s_cmp_lt_u32 s59, s16
	s_cbranch_scc0 .LBB18_6
.LBB18_17:                              ;   Parent Loop BB18_3 Depth=1
                                        ;     Parent Loop BB18_7 Depth=2
                                        ; =>    This Loop Header: Depth=3
                                        ;         Child Loop BB18_23 Depth 4
                                        ;           Child Loop BB18_25 Depth 5
                                        ;         Child Loop BB18_29 Depth 4
                                        ;           Child Loop BB18_32 Depth 5
                                        ;             Child Loop BB18_34 Depth 6
	v_cmp_ne_u32_e32 vcc_lo, 1, v6
	s_mov_b32 s2, s12
	s_cbranch_vccz .LBB18_19
; %bb.18:                               ;   in Loop: Header=BB18_17 Depth=3
	s_and_not1_b32 vcc_lo, exec_lo, s2
	s_cbranch_vccnz .LBB18_16
	s_branch .LBB18_20
.LBB18_19:                              ;   in Loop: Header=BB18_17 Depth=3
	s_cmp_lg_u32 s59, s50
	s_cselect_b32 s2, -1, 0
	s_cmp_lg_u32 s59, s49
	s_cselect_b32 s60, -1, 0
	s_delay_alu instid0(SALU_CYCLE_1) | instskip(NEXT) | instid1(SALU_CYCLE_1)
	s_and_b32 s2, s2, s60
	s_and_not1_b32 vcc_lo, exec_lo, s2
	s_cbranch_vccnz .LBB18_16
.LBB18_20:                              ;   in Loop: Header=BB18_17 Depth=3
	s_cmp_eq_u32 s15, s59
	s_mul_i32 s61, s59, s17
	s_cselect_b32 s60, s35, s17
	s_delay_alu instid0(SALU_CYCLE_1)
	v_cmp_gt_u32_e32 vcc_lo, s60, v0
	s_barrier
	buffer_gl0_inv
	s_and_saveexec_b32 s62, vcc_lo
	s_cbranch_execz .LBB18_26
; %bb.21:                               ;   in Loop: Header=BB18_17 Depth=3
	v_dual_mov_b32 v10, v5 :: v_dual_mov_b32 v11, v0
	s_mov_b32 s63, 0
	s_branch .LBB18_23
.LBB18_22:                              ;   in Loop: Header=BB18_23 Depth=4
	s_or_b32 exec_lo, exec_lo, s64
	v_add_nc_u32_e32 v11, s26, v11
	v_add_nc_u32_e32 v10, s58, v10
	s_delay_alu instid0(VALU_DEP_2) | instskip(NEXT) | instid1(VALU_DEP_1)
	v_cmp_le_u32_e64 s2, s60, v11
	s_or_b32 s63, s2, s63
	s_delay_alu instid0(SALU_CYCLE_1)
	s_and_not1_b32 exec_lo, exec_lo, s63
	s_cbranch_execz .LBB18_26
.LBB18_23:                              ;   Parent Loop BB18_3 Depth=1
                                        ;     Parent Loop BB18_7 Depth=2
                                        ;       Parent Loop BB18_17 Depth=3
                                        ; =>      This Loop Header: Depth=4
                                        ;           Child Loop BB18_25 Depth 5
	s_and_saveexec_b32 s64, s1
	s_cbranch_execz .LBB18_22
; %bb.24:                               ;   in Loop: Header=BB18_23 Depth=4
	v_add_nc_u32_e32 v15, s61, v11
	s_mov_b32 s65, 0
	s_delay_alu instid0(VALU_DEP_1) | instskip(NEXT) | instid1(VALU_DEP_1)
	v_mad_u64_u32 v[12:13], null, v15, s43, 0
	v_mov_b32_e32 v2, v13
	s_delay_alu instid0(VALU_DEP_1) | instskip(SKIP_1) | instid1(VALU_DEP_2)
	v_mad_u64_u32 v[13:14], null, v15, s38, v[2:3]
	v_mov_b32_e32 v15, v1
	v_lshlrev_b64 v[13:14], 2, v[12:13]
	v_mov_b32_e32 v12, v10
	s_delay_alu instid0(VALU_DEP_2) | instskip(NEXT) | instid1(VALU_DEP_1)
	v_add_co_u32 v13, s2, s47, v13
	v_add_co_ci_u32_e64 v14, s2, s48, v14, s2
	.p2align	6
.LBB18_25:                              ;   Parent Loop BB18_3 Depth=1
                                        ;     Parent Loop BB18_7 Depth=2
                                        ;       Parent Loop BB18_17 Depth=3
                                        ;         Parent Loop BB18_23 Depth=4
                                        ; =>        This Inner Loop Header: Depth=5
	v_mov_b32_e32 v2, s57
	v_cmp_gt_u32_e64 s2, s51, v15
	s_delay_alu instid0(VALU_DEP_1) | instskip(NEXT) | instid1(VALU_DEP_1)
	v_cndmask_b32_e64 v2, s55, v2, s2
	v_add_nc_u32_e32 v2, v2, v15
	v_add_nc_u32_e32 v15, s23, v15
	s_delay_alu instid0(VALU_DEP_2) | instskip(NEXT) | instid1(VALU_DEP_1)
	v_lshlrev_b64 v[16:17], 2, v[2:3]
	v_add_co_u32 v16, s2, v13, v16
	s_delay_alu instid0(VALU_DEP_1) | instskip(NEXT) | instid1(VALU_DEP_4)
	v_add_co_ci_u32_e64 v17, s2, v14, v17, s2
	v_cmp_le_u32_e64 s2, s52, v15
	global_load_b32 v2, v[16:17], off
	s_or_b32 s65, s2, s65
	s_waitcnt vmcnt(0)
	ds_store_b32 v12, v2
	v_add_nc_u32_e32 v12, s46, v12
	s_and_not1_b32 exec_lo, exec_lo, s65
	s_cbranch_execnz .LBB18_25
	s_branch .LBB18_22
.LBB18_26:                              ;   in Loop: Header=BB18_17 Depth=3
	s_or_b32 exec_lo, exec_lo, s62
	s_waitcnt lgkmcnt(0)
	s_barrier
	buffer_gl0_inv
	s_and_saveexec_b32 s62, vcc_lo
	s_cbranch_execz .LBB18_15
; %bb.27:                               ;   in Loop: Header=BB18_17 Depth=3
	v_mov_b32_e32 v10, v4
	v_mov_b32_e32 v11, v0
	s_mov_b32 s63, 0
	s_branch .LBB18_29
.LBB18_28:                              ;   in Loop: Header=BB18_29 Depth=4
	s_set_inst_prefetch_distance 0x2
	s_or_b32 exec_lo, exec_lo, s64
	v_add_nc_u32_e32 v11, s26, v11
	v_add_nc_u32_e32 v10, s58, v10
	s_delay_alu instid0(VALU_DEP_2) | instskip(SKIP_1) | instid1(SALU_CYCLE_1)
	v_cmp_le_u32_e32 vcc_lo, s60, v11
	s_or_b32 s63, vcc_lo, s63
	s_and_not1_b32 exec_lo, exec_lo, s63
	s_cbranch_execz .LBB18_15
.LBB18_29:                              ;   Parent Loop BB18_3 Depth=1
                                        ;     Parent Loop BB18_7 Depth=2
                                        ;       Parent Loop BB18_17 Depth=3
                                        ; =>      This Loop Header: Depth=4
                                        ;           Child Loop BB18_32 Depth 5
                                        ;             Child Loop BB18_34 Depth 6
	s_and_saveexec_b32 s64, s1
	s_cbranch_execz .LBB18_28
; %bb.30:                               ;   in Loop: Header=BB18_29 Depth=4
	v_add_nc_u32_e32 v15, s61, v11
	s_mov_b32 s65, 0
	s_delay_alu instid0(VALU_DEP_1) | instskip(NEXT) | instid1(VALU_DEP_1)
	v_mad_u64_u32 v[12:13], null, v15, s43, 0
	v_mov_b32_e32 v2, v13
	s_delay_alu instid0(VALU_DEP_1) | instskip(SKIP_1) | instid1(VALU_DEP_2)
	v_mad_u64_u32 v[13:14], null, v15, s38, v[2:3]
	v_mov_b32_e32 v14, v1
	v_lshlrev_b64 v[12:13], 2, v[12:13]
	s_delay_alu instid0(VALU_DEP_1) | instskip(NEXT) | instid1(VALU_DEP_2)
	v_add_co_u32 v12, vcc_lo, s47, v12
	v_add_co_ci_u32_e32 v13, vcc_lo, s48, v13, vcc_lo
	s_set_inst_prefetch_distance 0x1
	s_branch .LBB18_32
	.p2align	6
.LBB18_31:                              ;   in Loop: Header=BB18_32 Depth=5
	v_mov_b32_e32 v2, s57
	v_cmp_gt_u32_e32 vcc_lo, s51, v14
	s_delay_alu instid0(VALU_DEP_2) | instskip(NEXT) | instid1(VALU_DEP_1)
	v_cndmask_b32_e32 v2, s55, v2, vcc_lo
	v_add_nc_u32_e32 v2, v14, v2
	v_add_nc_u32_e32 v14, s23, v14
	s_delay_alu instid0(VALU_DEP_2) | instskip(NEXT) | instid1(VALU_DEP_2)
	v_lshlrev_b64 v[16:17], 2, v[2:3]
	v_cmp_le_u32_e32 vcc_lo, s52, v14
	s_or_b32 s65, vcc_lo, s65
	s_delay_alu instid0(VALU_DEP_2) | instskip(NEXT) | instid1(VALU_DEP_1)
	v_add_co_u32 v16, s2, v12, v16
	v_add_co_ci_u32_e64 v17, s2, v13, v17, s2
	global_store_b32 v[16:17], v15, off
	s_and_not1_b32 exec_lo, exec_lo, s65
	s_cbranch_execz .LBB18_28
.LBB18_32:                              ;   Parent Loop BB18_3 Depth=1
                                        ;     Parent Loop BB18_7 Depth=2
                                        ;       Parent Loop BB18_17 Depth=3
                                        ;         Parent Loop BB18_29 Depth=4
                                        ; =>        This Loop Header: Depth=5
                                        ;             Child Loop BB18_34 Depth 6
	v_mov_b32_e32 v15, 0
	s_and_not1_b32 vcc_lo, exec_lo, s56
	s_cbranch_vccnz .LBB18_31
; %bb.33:                               ;   in Loop: Header=BB18_32 Depth=5
	v_mov_b32_e32 v16, v10
	v_mov_b32_e32 v2, v14
	s_mov_b32 s2, s52
.LBB18_34:                              ;   Parent Loop BB18_3 Depth=1
                                        ;     Parent Loop BB18_7 Depth=2
                                        ;       Parent Loop BB18_17 Depth=3
                                        ;         Parent Loop BB18_29 Depth=4
                                        ;           Parent Loop BB18_32 Depth=5
                                        ; =>          This Inner Loop Header: Depth=6
	s_delay_alu instid0(VALU_DEP_1) | instskip(SKIP_2) | instid1(SALU_CYCLE_1)
	v_lshlrev_b64 v[17:18], 2, v[2:3]
	v_add_nc_u32_e32 v2, s27, v2
	s_add_i32 s2, s2, -1
	s_cmp_eq_u32 s2, 0
	s_delay_alu instid0(VALU_DEP_2) | instskip(NEXT) | instid1(VALU_DEP_3)
	v_add_co_u32 v17, vcc_lo, s54, v17
	v_add_co_ci_u32_e32 v18, vcc_lo, s53, v18, vcc_lo
	flat_load_b32 v17, v[17:18]
	ds_load_b32 v18, v16
	s_waitcnt vmcnt(0) lgkmcnt(0)
	v_dual_fmac_f32 v15, v17, v18 :: v_dual_add_nc_u32 v16, 4, v16
	s_cbranch_scc0 .LBB18_34
	s_branch .LBB18_31
.LBB18_35:
	s_endpgm
	.section	.rodata,"a",@progbits
	.p2align	6, 0x0
	.amdhsa_kernel _ZN9rocsolver6v33100L17syevj_offd_rotateILb1EffPfEEvbiiT2_iilPT0_PiS6_S6_i
		.amdhsa_group_segment_fixed_size 0
		.amdhsa_private_segment_fixed_size 0
		.amdhsa_kernarg_size 336
		.amdhsa_user_sgpr_count 13
		.amdhsa_user_sgpr_dispatch_ptr 0
		.amdhsa_user_sgpr_queue_ptr 0
		.amdhsa_user_sgpr_kernarg_segment_ptr 1
		.amdhsa_user_sgpr_dispatch_id 0
		.amdhsa_user_sgpr_private_segment_size 0
		.amdhsa_wavefront_size32 1
		.amdhsa_uses_dynamic_stack 0
		.amdhsa_enable_private_segment 0
		.amdhsa_system_sgpr_workgroup_id_x 1
		.amdhsa_system_sgpr_workgroup_id_y 1
		.amdhsa_system_sgpr_workgroup_id_z 1
		.amdhsa_system_sgpr_workgroup_info 0
		.amdhsa_system_vgpr_workitem_id 1
		.amdhsa_next_free_vgpr 19
		.amdhsa_next_free_sgpr 66
		.amdhsa_reserve_vcc 1
		.amdhsa_float_round_mode_32 0
		.amdhsa_float_round_mode_16_64 0
		.amdhsa_float_denorm_mode_32 3
		.amdhsa_float_denorm_mode_16_64 3
		.amdhsa_dx10_clamp 1
		.amdhsa_ieee_mode 1
		.amdhsa_fp16_overflow 0
		.amdhsa_workgroup_processor_mode 1
		.amdhsa_memory_ordered 1
		.amdhsa_forward_progress 0
		.amdhsa_shared_vgpr_count 0
		.amdhsa_exception_fp_ieee_invalid_op 0
		.amdhsa_exception_fp_denorm_src 0
		.amdhsa_exception_fp_ieee_div_zero 0
		.amdhsa_exception_fp_ieee_overflow 0
		.amdhsa_exception_fp_ieee_underflow 0
		.amdhsa_exception_fp_ieee_inexact 0
		.amdhsa_exception_int_div_zero 0
	.end_amdhsa_kernel
	.section	.text._ZN9rocsolver6v33100L17syevj_offd_rotateILb1EffPfEEvbiiT2_iilPT0_PiS6_S6_i,"axG",@progbits,_ZN9rocsolver6v33100L17syevj_offd_rotateILb1EffPfEEvbiiT2_iilPT0_PiS6_S6_i,comdat
.Lfunc_end18:
	.size	_ZN9rocsolver6v33100L17syevj_offd_rotateILb1EffPfEEvbiiT2_iilPT0_PiS6_S6_i, .Lfunc_end18-_ZN9rocsolver6v33100L17syevj_offd_rotateILb1EffPfEEvbiiT2_iilPT0_PiS6_S6_i
                                        ; -- End function
	.section	.AMDGPU.csdata,"",@progbits
; Kernel info:
; codeLenInByte = 1660
; NumSgprs: 68
; NumVgprs: 19
; ScratchSize: 0
; MemoryBound: 0
; FloatMode: 240
; IeeeMode: 1
; LDSByteSize: 0 bytes/workgroup (compile time only)
; SGPRBlocks: 8
; VGPRBlocks: 2
; NumSGPRsForWavesPerEU: 68
; NumVGPRsForWavesPerEU: 19
; Occupancy: 16
; WaveLimiterHint : 1
; COMPUTE_PGM_RSRC2:SCRATCH_EN: 0
; COMPUTE_PGM_RSRC2:USER_SGPR: 13
; COMPUTE_PGM_RSRC2:TRAP_HANDLER: 0
; COMPUTE_PGM_RSRC2:TGID_X_EN: 1
; COMPUTE_PGM_RSRC2:TGID_Y_EN: 1
; COMPUTE_PGM_RSRC2:TGID_Z_EN: 1
; COMPUTE_PGM_RSRC2:TIDIG_COMP_CNT: 1
	.section	.text._ZN9rocsolver6v33100L17syevj_cycle_pairsIfEEviPiS2_,"axG",@progbits,_ZN9rocsolver6v33100L17syevj_cycle_pairsIfEEviPiS2_,comdat
	.globl	_ZN9rocsolver6v33100L17syevj_cycle_pairsIfEEviPiS2_ ; -- Begin function _ZN9rocsolver6v33100L17syevj_cycle_pairsIfEEviPiS2_
	.p2align	8
	.type	_ZN9rocsolver6v33100L17syevj_cycle_pairsIfEEviPiS2_,@function
_ZN9rocsolver6v33100L17syevj_cycle_pairsIfEEviPiS2_: ; @_ZN9rocsolver6v33100L17syevj_cycle_pairsIfEEviPiS2_
; %bb.0:
	s_clause 0x2
	s_load_b32 s2, s[0:1], 0x0
	s_load_b128 s[4:7], s[0:1], 0x8
	s_load_b32 s0, s[0:1], 0x24
	s_mov_b32 s8, -1
	s_mov_b32 s3, exec_lo
	s_waitcnt lgkmcnt(0)
	s_add_i32 s1, s2, -1
	v_cmpx_eq_u32_e32 0, v0
	s_cbranch_execz .LBB19_6
; %bb.1:
	s_lshl_b32 s9, s1, 1
	s_bfe_i32 s11, s1, 0x1001e
	s_or_b32 s10, s9, 1
	s_delay_alu instid0(SALU_CYCLE_1) | instskip(NEXT) | instid1(SALU_CYCLE_1)
	s_add_i32 s12, s10, s11
	s_xor_b32 s11, s12, s11
	s_load_b32 s12, s[6:7], 0x0
	v_cvt_f32_u32_e32 v1, s11
	s_sub_i32 s14, 0, s11
	s_delay_alu instid0(VALU_DEP_1) | instskip(SKIP_4) | instid1(VALU_DEP_1)
	v_rcp_iflag_f32_e32 v1, v1
	s_waitcnt_depctr 0xfff
	v_mul_f32_e32 v1, 0x4f7ffffe, v1
	s_waitcnt lgkmcnt(0)
	s_add_i32 s12, s12, -1
	v_cvt_u32_f32_e32 v1, v1
	s_abs_i32 s15, s12
	s_ashr_i32 s12, s12, 31
	s_delay_alu instid0(VALU_DEP_1) | instskip(NEXT) | instid1(VALU_DEP_1)
	v_readfirstlane_b32 s13, v1
	s_mul_i32 s14, s14, s13
	s_delay_alu instid0(SALU_CYCLE_1) | instskip(NEXT) | instid1(SALU_CYCLE_1)
	s_mul_hi_u32 s14, s13, s14
	s_add_i32 s13, s13, s14
	s_delay_alu instid0(SALU_CYCLE_1) | instskip(NEXT) | instid1(SALU_CYCLE_1)
	s_mul_hi_u32 s13, s15, s13
	s_mul_i32 s13, s13, s11
	s_delay_alu instid0(SALU_CYCLE_1) | instskip(NEXT) | instid1(SALU_CYCLE_1)
	s_sub_i32 s13, s15, s13
	s_sub_i32 s14, s13, s11
	s_cmp_ge_u32 s13, s11
	s_cselect_b32 s13, s14, s13
	s_delay_alu instid0(SALU_CYCLE_1) | instskip(SKIP_2) | instid1(SALU_CYCLE_1)
	s_sub_i32 s14, s13, s11
	s_cmp_ge_u32 s13, s11
	s_cselect_b32 s11, s14, s13
	s_xor_b32 s11, s11, s12
	s_delay_alu instid0(SALU_CYCLE_1) | instskip(NEXT) | instid1(SALU_CYCLE_1)
	s_sub_i32 s11, s11, s12
                                        ; implicit-def: $sgpr12
	s_bitcmp0_b32 s11, 0
	s_cbranch_scc1 .LBB19_3
; %bb.2:
	s_add_i32 s8, s11, 3
	s_delay_alu instid0(SALU_CYCLE_1)
	s_cmp_gt_i32 s8, s9
	s_cselect_b32 s12, s10, s8
	s_mov_b32 s8, 0
.LBB19_3:
	s_delay_alu instid0(SALU_CYCLE_1)
	s_and_not1_b32 vcc_lo, exec_lo, s8
	s_cbranch_vccnz .LBB19_5
; %bb.4:
	s_add_i32 s8, s11, -1
	s_cmp_gt_i32 s11, 1
	s_cselect_b32 s12, s8, 2
.LBB19_5:
	s_delay_alu instid0(SALU_CYCLE_1)
	v_dual_mov_b32 v1, 0 :: v_dual_mov_b32 v2, s12
	global_store_b32 v1, v2, s[6:7]
.LBB19_6:
	s_or_b32 exec_lo, exec_lo, s3
	v_add_nc_u32_e32 v4, 1, v0
	s_mov_b32 s3, exec_lo
	s_delay_alu instid0(VALU_DEP_1)
	v_cmpx_gt_i32_e64 s2, v4
	s_cbranch_execz .LBB19_17
; %bb.7:
	s_lshl_b32 s1, s1, 1
	s_mov_b32 s9, 0
	s_or_b32 s3, s1, 1
	v_lshlrev_b32_e32 v0, 2, v0
	v_cvt_f32_u32_e32 v1, s3
	s_sub_i32 s8, 0, s3
	s_delay_alu instid0(VALU_DEP_1) | instskip(SKIP_2) | instid1(VALU_DEP_1)
	v_rcp_iflag_f32_e32 v1, v1
	s_waitcnt_depctr 0xfff
	v_mul_f32_e32 v1, 0x4f7ffffe, v1
	v_cvt_u32_f32_e32 v1, v1
	s_delay_alu instid0(VALU_DEP_1) | instskip(SKIP_1) | instid1(VALU_DEP_1)
	v_mul_lo_u32 v2, s8, v1
	v_add_co_u32 v6, s8, v0, 4
	v_add_co_ci_u32_e64 v7, null, 0, 0, s8
	s_and_b32 s8, 0xffff, s0
	s_delay_alu instid0(SALU_CYCLE_1) | instskip(NEXT) | instid1(VALU_DEP_3)
	s_lshl_b32 s10, s8, 2
	v_mul_hi_u32 v2, v1, v2
	s_delay_alu instid0(VALU_DEP_1)
	v_add_nc_u32_e32 v5, v1, v2
	s_branch .LBB19_9
.LBB19_8:                               ;   in Loop: Header=BB19_9 Depth=1
	s_or_b32 exec_lo, exec_lo, s0
	v_add_nc_u32_e32 v4, s8, v4
	v_add_co_u32 v6, s0, v6, s10
	s_delay_alu instid0(VALU_DEP_1) | instskip(NEXT) | instid1(VALU_DEP_3)
	v_add_co_ci_u32_e64 v7, s0, 0, v7, s0
	v_cmp_le_i32_e32 vcc_lo, s2, v4
	global_store_b32 v[0:1], v2, off
	s_or_b32 s9, vcc_lo, s9
	s_delay_alu instid0(SALU_CYCLE_1)
	s_and_not1_b32 exec_lo, exec_lo, s9
	s_cbranch_execz .LBB19_17
.LBB19_9:                               ; =>This Inner Loop Header: Depth=1
	v_add_co_u32 v2, vcc_lo, s4, v6
	v_add_co_ci_u32_e32 v3, vcc_lo, s5, v7, vcc_lo
	s_mov_b32 s0, exec_lo
	global_load_b32 v0, v[2:3], off
	s_waitcnt vmcnt(0)
	v_add_nc_u32_e32 v0, -1, v0
	s_delay_alu instid0(VALU_DEP_1) | instskip(NEXT) | instid1(VALU_DEP_1)
	v_sub_nc_u32_e32 v1, 0, v0
	v_max_i32_e32 v1, v0, v1
	v_ashrrev_i32_e32 v0, 31, v0
	s_delay_alu instid0(VALU_DEP_2) | instskip(NEXT) | instid1(VALU_DEP_1)
	v_mul_hi_u32 v8, v1, v5
	v_mul_lo_u32 v8, v8, s3
	s_delay_alu instid0(VALU_DEP_1) | instskip(NEXT) | instid1(VALU_DEP_1)
	v_sub_nc_u32_e32 v1, v1, v8
	v_subrev_nc_u32_e32 v8, s3, v1
	v_cmp_le_u32_e32 vcc_lo, s3, v1
	s_delay_alu instid0(VALU_DEP_2) | instskip(NEXT) | instid1(VALU_DEP_1)
	v_cndmask_b32_e32 v1, v1, v8, vcc_lo
	v_subrev_nc_u32_e32 v8, s3, v1
	v_cmp_le_u32_e32 vcc_lo, s3, v1
	s_delay_alu instid0(VALU_DEP_2) | instskip(NEXT) | instid1(VALU_DEP_1)
	v_cndmask_b32_e32 v1, v1, v8, vcc_lo
                                        ; implicit-def: $vgpr8
	v_xor_b32_e32 v1, v1, v0
	s_delay_alu instid0(VALU_DEP_1) | instskip(NEXT) | instid1(VALU_DEP_1)
	v_sub_nc_u32_e32 v0, v1, v0
	v_and_b32_e32 v1, 1, v0
	s_delay_alu instid0(VALU_DEP_1)
	v_cmpx_eq_u32_e32 1, v1
	s_xor_b32 s0, exec_lo, s0
; %bb.10:                               ;   in Loop: Header=BB19_9 Depth=1
	v_add_nc_u32_e32 v0, 3, v0
	s_delay_alu instid0(VALU_DEP_1)
	v_cmp_lt_i32_e32 vcc_lo, s1, v0
	v_cndmask_b32_e64 v8, v0, s3, vcc_lo
                                        ; implicit-def: $vgpr0
; %bb.11:                               ;   in Loop: Header=BB19_9 Depth=1
	s_and_not1_saveexec_b32 s0, s0
; %bb.12:                               ;   in Loop: Header=BB19_9 Depth=1
	v_add_nc_u32_e32 v1, -1, v0
	v_cmp_lt_i32_e32 vcc_lo, 1, v0
	s_delay_alu instid0(VALU_DEP_2)
	v_cndmask_b32_e32 v8, 2, v1, vcc_lo
; %bb.13:                               ;   in Loop: Header=BB19_9 Depth=1
	s_or_b32 exec_lo, exec_lo, s0
	v_add_co_u32 v0, vcc_lo, s6, v6
	v_add_co_ci_u32_e32 v1, vcc_lo, s7, v7, vcc_lo
	global_store_b32 v[2:3], v8, off
	global_load_b32 v2, v[0:1], off
	s_waitcnt vmcnt(0)
	v_add_nc_u32_e32 v2, -1, v2
	s_delay_alu instid0(VALU_DEP_1) | instskip(NEXT) | instid1(VALU_DEP_1)
	v_sub_nc_u32_e32 v3, 0, v2
	v_max_i32_e32 v3, v2, v3
	s_delay_alu instid0(VALU_DEP_1) | instskip(NEXT) | instid1(VALU_DEP_1)
	v_mul_hi_u32 v8, v3, v5
	v_mul_lo_u32 v8, v8, s3
	s_delay_alu instid0(VALU_DEP_1) | instskip(NEXT) | instid1(VALU_DEP_1)
	v_sub_nc_u32_e32 v3, v3, v8
	v_subrev_nc_u32_e32 v8, s3, v3
	v_cmp_le_u32_e32 vcc_lo, s3, v3
	s_delay_alu instid0(VALU_DEP_2) | instskip(SKIP_1) | instid1(VALU_DEP_2)
	v_cndmask_b32_e32 v3, v3, v8, vcc_lo
	v_ashrrev_i32_e32 v2, 31, v2
	v_subrev_nc_u32_e32 v8, s3, v3
	v_cmp_le_u32_e32 vcc_lo, s3, v3
	s_delay_alu instid0(VALU_DEP_2) | instskip(NEXT) | instid1(VALU_DEP_1)
	v_cndmask_b32_e32 v3, v3, v8, vcc_lo
	v_xor_b32_e32 v3, v3, v2
	s_delay_alu instid0(VALU_DEP_1) | instskip(NEXT) | instid1(VALU_DEP_1)
	v_sub_nc_u32_e32 v3, v3, v2
	v_and_b32_e32 v2, 1, v3
	s_delay_alu instid0(VALU_DEP_1) | instskip(SKIP_1) | instid1(SALU_CYCLE_1)
	v_cmp_eq_u32_e32 vcc_lo, 1, v2
                                        ; implicit-def: $vgpr2
	s_and_saveexec_b32 s0, vcc_lo
	s_xor_b32 s0, exec_lo, s0
; %bb.14:                               ;   in Loop: Header=BB19_9 Depth=1
	v_add_nc_u32_e32 v2, 3, v3
                                        ; implicit-def: $vgpr3
	s_delay_alu instid0(VALU_DEP_1)
	v_cmp_lt_i32_e32 vcc_lo, s1, v2
	v_cndmask_b32_e64 v2, v2, s3, vcc_lo
; %bb.15:                               ;   in Loop: Header=BB19_9 Depth=1
	s_and_not1_saveexec_b32 s0, s0
	s_cbranch_execz .LBB19_8
; %bb.16:                               ;   in Loop: Header=BB19_9 Depth=1
	v_add_nc_u32_e32 v2, -1, v3
	v_cmp_lt_i32_e32 vcc_lo, 1, v3
	s_delay_alu instid0(VALU_DEP_2)
	v_cndmask_b32_e32 v2, 2, v2, vcc_lo
	s_branch .LBB19_8
.LBB19_17:
	s_nop 0
	s_sendmsg sendmsg(MSG_DEALLOC_VGPRS)
	s_endpgm
	.section	.rodata,"a",@progbits
	.p2align	6, 0x0
	.amdhsa_kernel _ZN9rocsolver6v33100L17syevj_cycle_pairsIfEEviPiS2_
		.amdhsa_group_segment_fixed_size 0
		.amdhsa_private_segment_fixed_size 0
		.amdhsa_kernarg_size 280
		.amdhsa_user_sgpr_count 15
		.amdhsa_user_sgpr_dispatch_ptr 0
		.amdhsa_user_sgpr_queue_ptr 0
		.amdhsa_user_sgpr_kernarg_segment_ptr 1
		.amdhsa_user_sgpr_dispatch_id 0
		.amdhsa_user_sgpr_private_segment_size 0
		.amdhsa_wavefront_size32 1
		.amdhsa_uses_dynamic_stack 0
		.amdhsa_enable_private_segment 0
		.amdhsa_system_sgpr_workgroup_id_x 1
		.amdhsa_system_sgpr_workgroup_id_y 0
		.amdhsa_system_sgpr_workgroup_id_z 0
		.amdhsa_system_sgpr_workgroup_info 0
		.amdhsa_system_vgpr_workitem_id 0
		.amdhsa_next_free_vgpr 9
		.amdhsa_next_free_sgpr 16
		.amdhsa_reserve_vcc 1
		.amdhsa_float_round_mode_32 0
		.amdhsa_float_round_mode_16_64 0
		.amdhsa_float_denorm_mode_32 3
		.amdhsa_float_denorm_mode_16_64 3
		.amdhsa_dx10_clamp 1
		.amdhsa_ieee_mode 1
		.amdhsa_fp16_overflow 0
		.amdhsa_workgroup_processor_mode 1
		.amdhsa_memory_ordered 1
		.amdhsa_forward_progress 0
		.amdhsa_shared_vgpr_count 0
		.amdhsa_exception_fp_ieee_invalid_op 0
		.amdhsa_exception_fp_denorm_src 0
		.amdhsa_exception_fp_ieee_div_zero 0
		.amdhsa_exception_fp_ieee_overflow 0
		.amdhsa_exception_fp_ieee_underflow 0
		.amdhsa_exception_fp_ieee_inexact 0
		.amdhsa_exception_int_div_zero 0
	.end_amdhsa_kernel
	.section	.text._ZN9rocsolver6v33100L17syevj_cycle_pairsIfEEviPiS2_,"axG",@progbits,_ZN9rocsolver6v33100L17syevj_cycle_pairsIfEEviPiS2_,comdat
.Lfunc_end19:
	.size	_ZN9rocsolver6v33100L17syevj_cycle_pairsIfEEviPiS2_, .Lfunc_end19-_ZN9rocsolver6v33100L17syevj_cycle_pairsIfEEviPiS2_
                                        ; -- End function
	.section	.AMDGPU.csdata,"",@progbits
; Kernel info:
; codeLenInByte = 872
; NumSgprs: 18
; NumVgprs: 9
; ScratchSize: 0
; MemoryBound: 0
; FloatMode: 240
; IeeeMode: 1
; LDSByteSize: 0 bytes/workgroup (compile time only)
; SGPRBlocks: 2
; VGPRBlocks: 1
; NumSGPRsForWavesPerEU: 18
; NumVGPRsForWavesPerEU: 9
; Occupancy: 16
; WaveLimiterHint : 0
; COMPUTE_PGM_RSRC2:SCRATCH_EN: 0
; COMPUTE_PGM_RSRC2:USER_SGPR: 15
; COMPUTE_PGM_RSRC2:TRAP_HANDLER: 0
; COMPUTE_PGM_RSRC2:TGID_X_EN: 1
; COMPUTE_PGM_RSRC2:TGID_Y_EN: 0
; COMPUTE_PGM_RSRC2:TGID_Z_EN: 0
; COMPUTE_PGM_RSRC2:TIDIG_COMP_CNT: 0
	.section	.text._ZN9rocsolver6v33100L15syevj_calc_normIffEEviiPT0_PT_S3_Pi,"axG",@progbits,_ZN9rocsolver6v33100L15syevj_calc_normIffEEviiPT0_PT_S3_Pi,comdat
	.globl	_ZN9rocsolver6v33100L15syevj_calc_normIffEEviiPT0_PT_S3_Pi ; -- Begin function _ZN9rocsolver6v33100L15syevj_calc_normIffEEviiPT0_PT_S3_Pi
	.p2align	8
	.type	_ZN9rocsolver6v33100L15syevj_calc_normIffEEviiPT0_PT_S3_Pi,@function
_ZN9rocsolver6v33100L15syevj_calc_normIffEEviiPT0_PT_S3_Pi: ; @_ZN9rocsolver6v33100L15syevj_calc_normIffEEviiPT0_PT_S3_Pi
; %bb.0:
	s_load_b256 s[4:11], s[0:1], 0x8
	s_mov_b32 s16, s15
	s_ashr_i32 s17, s15, 31
	s_delay_alu instid0(SALU_CYCLE_1)
	s_lshl_b64 s[14:15], s[16:17], 2
	s_waitcnt lgkmcnt(0)
	s_add_u32 s2, s10, s14
	s_addc_u32 s3, s11, s15
	s_load_b32 s12, s[2:3], 0x4
	s_waitcnt lgkmcnt(0)
	s_cmp_lg_u32 s12, 0
	s_cbranch_scc0 .LBB20_2
.LBB20_1:
	s_nop 0
	s_sendmsg sendmsg(MSG_DEALLOC_VGPRS)
	s_endpgm
.LBB20_2:
	s_clause 0x1
	s_load_b64 s[12:13], s[0:1], 0x0
	s_load_b32 s0, s[0:1], 0x34
	v_mov_b32_e32 v5, 0
	s_mov_b32 s17, exec_lo
	s_waitcnt lgkmcnt(0)
	s_and_b32 s1, s0, 0xffff
	v_cmpx_gt_i32_e64 s12, v0
	s_cbranch_execz .LBB20_10
; %bb.3:
	s_mul_i32 s0, s16, s12
	v_dual_mov_b32 v6, v0 :: v_dual_lshlrev_b32 v1, 2, v0
	s_mul_i32 s18, s0, s12
	v_mov_b32_e32 v5, 0
	s_ashr_i32 s19, s18, 31
	s_mov_b32 s16, 0
	s_lshl_b64 s[18:19], s[18:19], 2
	s_delay_alu instid0(SALU_CYCLE_1) | instskip(SKIP_2) | instid1(VALU_DEP_1)
	s_add_u32 s0, s6, s18
	s_addc_u32 s6, s7, s19
	v_add_co_u32 v1, s0, s0, v1
	v_add_co_ci_u32_e64 v2, null, s6, 0, s0
	s_ashr_i32 s7, s12, 31
	s_mov_b32 s6, s12
	s_lshl_b32 s18, s1, 2
	s_lshl_b64 s[6:7], s[6:7], 2
	s_set_inst_prefetch_distance 0x1
	s_branch .LBB20_6
	.p2align	6
.LBB20_4:                               ;   in Loop: Header=BB20_6 Depth=1
	s_or_b32 exec_lo, exec_lo, s20
.LBB20_5:                               ;   in Loop: Header=BB20_6 Depth=1
	s_delay_alu instid0(SALU_CYCLE_1) | instskip(SKIP_2) | instid1(VALU_DEP_1)
	s_or_b32 exec_lo, exec_lo, s19
	v_add_nc_u32_e32 v6, s1, v6
	v_add_co_u32 v1, s0, v1, s18
	v_add_co_ci_u32_e64 v2, s0, 0, v2, s0
	s_delay_alu instid0(VALU_DEP_3) | instskip(SKIP_1) | instid1(SALU_CYCLE_1)
	v_cmp_le_i32_e32 vcc_lo, s12, v6
	s_or_b32 s16, vcc_lo, s16
	s_and_not1_b32 exec_lo, exec_lo, s16
	s_cbranch_execz .LBB20_9
.LBB20_6:                               ; =>This Loop Header: Depth=1
                                        ;     Child Loop BB20_8 Depth 2
	s_mov_b32 s19, exec_lo
	v_cmpx_ne_u32_e32 0, v6
	s_cbranch_execz .LBB20_5
; %bb.7:                                ;   in Loop: Header=BB20_6 Depth=1
	v_dual_mov_b32 v4, v2 :: v_dual_mov_b32 v3, v1
	s_mov_b32 s20, 0
	s_mov_b32 s21, 0
.LBB20_8:                               ;   Parent Loop BB20_6 Depth=1
                                        ; =>  This Inner Loop Header: Depth=2
	global_load_b32 v7, v[3:4], off
	s_add_i32 s21, s21, 1
	v_add_co_u32 v3, vcc_lo, v3, s6
	v_cmp_ge_u32_e64 s0, s21, v6
	v_add_co_ci_u32_e32 v4, vcc_lo, s7, v4, vcc_lo
	s_delay_alu instid0(VALU_DEP_2) | instskip(SKIP_2) | instid1(VALU_DEP_1)
	s_or_b32 s20, s0, s20
	s_waitcnt vmcnt(0)
	v_mul_f32_e32 v7, v7, v7
	v_fmac_f32_e32 v5, 2.0, v7
	s_and_not1_b32 exec_lo, exec_lo, s20
	s_cbranch_execnz .LBB20_8
	s_branch .LBB20_4
.LBB20_9:
	s_set_inst_prefetch_distance 0x2
	s_or_b32 exec_lo, exec_lo, s16
.LBB20_10:
	s_delay_alu instid0(SALU_CYCLE_1)
	s_or_b32 exec_lo, exec_lo, s17
	v_lshl_add_u32 v1, v0, 2, 0
	s_mov_b32 s0, exec_lo
	ds_store_b32 v1, v5
	s_waitcnt lgkmcnt(0)
	s_barrier
	buffer_gl0_inv
	v_cmpx_eq_u32_e32 0, v0
	s_cbranch_execz .LBB20_1
; %bb.11:
	s_min_i32 s0, s1, s12
	s_delay_alu instid0(SALU_CYCLE_1)
	s_cmp_lt_i32 s0, 2
	s_cbranch_scc1 .LBB20_20
; %bb.12:
	s_add_i32 s1, s0, -2
	s_add_i32 s0, s0, -1
	s_cmp_lt_u32 s1, 7
	s_cbranch_scc1 .LBB20_16
; %bb.13:
	s_mov_b32 s6, 0
	s_add_i32 s1, 0, 4
	s_and_b32 s7, s0, -8
	.p2align	6
.LBB20_14:                              ; =>This Inner Loop Header: Depth=1
	v_mov_b32_e32 v4, s1
	s_mov_b32 s12, s6
	s_add_i32 s6, s6, 8
	s_add_i32 s1, s1, 32
	s_cmp_lg_u32 s7, s6
	ds_load_2addr_b32 v[0:1], v4 offset1:1
	ds_load_2addr_b32 v[2:3], v4 offset0:2 offset1:3
	ds_load_2addr_b32 v[6:7], v4 offset0:4 offset1:5
	;; [unrolled: 1-line block ×3, first 2 shown]
	s_waitcnt lgkmcnt(3)
	v_add_f32_e32 v0, v5, v0
	s_delay_alu instid0(VALU_DEP_1) | instskip(SKIP_1) | instid1(VALU_DEP_1)
	v_add_f32_e32 v0, v0, v1
	s_waitcnt lgkmcnt(2)
	v_add_f32_e32 v0, v0, v2
	s_delay_alu instid0(VALU_DEP_1) | instskip(SKIP_1) | instid1(VALU_DEP_1)
	v_add_f32_e32 v0, v0, v3
	;; [unrolled: 4-line block ×3, first 2 shown]
	s_waitcnt lgkmcnt(0)
	v_add_f32_e32 v0, v0, v8
	s_delay_alu instid0(VALU_DEP_1)
	v_add_f32_e32 v5, v0, v9
	s_cbranch_scc1 .LBB20_14
; %bb.15:
	s_add_i32 s1, s12, 9
	s_branch .LBB20_17
.LBB20_16:
	s_mov_b32 s1, 1
.LBB20_17:
	s_and_b32 s0, s0, 7
	s_delay_alu instid0(SALU_CYCLE_1)
	s_cmp_eq_u32 s0, 0
	s_cbranch_scc1 .LBB20_20
; %bb.18:
	s_lshl_b32 s1, s1, 2
	s_delay_alu instid0(SALU_CYCLE_1)
	s_add_i32 s1, s1, 0
.LBB20_19:                              ; =>This Inner Loop Header: Depth=1
	s_delay_alu instid0(SALU_CYCLE_1)
	v_mov_b32_e32 v0, s1
	s_add_i32 s0, s0, -1
	s_add_i32 s1, s1, 4
	s_cmp_lg_u32 s0, 0
	ds_load_b32 v0, v0
	s_waitcnt lgkmcnt(0)
	v_add_f32_e32 v5, v5, v0
	s_cbranch_scc1 .LBB20_19
.LBB20_20:
	v_mov_b32_e32 v0, 0
	s_add_u32 s0, s4, s14
	s_addc_u32 s1, s5, s15
	s_add_u32 s4, s8, s14
	s_addc_u32 s5, s9, s15
	global_store_b32 v0, v5, s[0:1]
	global_load_b32 v1, v0, s[4:5]
	s_waitcnt vmcnt(0)
	v_cmp_lt_f32_e32 vcc_lo, v5, v1
	s_and_b32 exec_lo, exec_lo, vcc_lo
	s_cbranch_execz .LBB20_1
; %bb.21:
	s_mov_b32 s0, exec_lo
	s_add_i32 s1, s13, 1
	v_mbcnt_lo_u32_b32 v1, s0, 0
	v_mov_b32_e32 v2, s1
	s_delay_alu instid0(VALU_DEP_2) | instskip(SKIP_2) | instid1(SALU_CYCLE_1)
	v_cmp_eq_u32_e32 vcc_lo, 0, v1
	global_store_b32 v0, v2, s[2:3] offset:4
	s_and_b32 s1, exec_lo, vcc_lo
	s_mov_b32 exec_lo, s1
	s_cbranch_execz .LBB20_1
; %bb.22:
	s_bcnt1_i32_b32 s0, s0
	s_delay_alu instid0(SALU_CYCLE_1)
	v_dual_mov_b32 v0, 0 :: v_dual_mov_b32 v1, s0
	global_atomic_add_u32 v0, v1, s[10:11]
	s_nop 0
	s_sendmsg sendmsg(MSG_DEALLOC_VGPRS)
	s_endpgm
	.section	.rodata,"a",@progbits
	.p2align	6, 0x0
	.amdhsa_kernel _ZN9rocsolver6v33100L15syevj_calc_normIffEEviiPT0_PT_S3_Pi
		.amdhsa_group_segment_fixed_size 0
		.amdhsa_private_segment_fixed_size 0
		.amdhsa_kernarg_size 296
		.amdhsa_user_sgpr_count 14
		.amdhsa_user_sgpr_dispatch_ptr 0
		.amdhsa_user_sgpr_queue_ptr 0
		.amdhsa_user_sgpr_kernarg_segment_ptr 1
		.amdhsa_user_sgpr_dispatch_id 0
		.amdhsa_user_sgpr_private_segment_size 0
		.amdhsa_wavefront_size32 1
		.amdhsa_uses_dynamic_stack 0
		.amdhsa_enable_private_segment 0
		.amdhsa_system_sgpr_workgroup_id_x 1
		.amdhsa_system_sgpr_workgroup_id_y 1
		.amdhsa_system_sgpr_workgroup_id_z 0
		.amdhsa_system_sgpr_workgroup_info 0
		.amdhsa_system_vgpr_workitem_id 0
		.amdhsa_next_free_vgpr 10
		.amdhsa_next_free_sgpr 22
		.amdhsa_reserve_vcc 1
		.amdhsa_float_round_mode_32 0
		.amdhsa_float_round_mode_16_64 0
		.amdhsa_float_denorm_mode_32 3
		.amdhsa_float_denorm_mode_16_64 3
		.amdhsa_dx10_clamp 1
		.amdhsa_ieee_mode 1
		.amdhsa_fp16_overflow 0
		.amdhsa_workgroup_processor_mode 1
		.amdhsa_memory_ordered 1
		.amdhsa_forward_progress 0
		.amdhsa_shared_vgpr_count 0
		.amdhsa_exception_fp_ieee_invalid_op 0
		.amdhsa_exception_fp_denorm_src 0
		.amdhsa_exception_fp_ieee_div_zero 0
		.amdhsa_exception_fp_ieee_overflow 0
		.amdhsa_exception_fp_ieee_underflow 0
		.amdhsa_exception_fp_ieee_inexact 0
		.amdhsa_exception_int_div_zero 0
	.end_amdhsa_kernel
	.section	.text._ZN9rocsolver6v33100L15syevj_calc_normIffEEviiPT0_PT_S3_Pi,"axG",@progbits,_ZN9rocsolver6v33100L15syevj_calc_normIffEEviiPT0_PT_S3_Pi,comdat
.Lfunc_end20:
	.size	_ZN9rocsolver6v33100L15syevj_calc_normIffEEviiPT0_PT_S3_Pi, .Lfunc_end20-_ZN9rocsolver6v33100L15syevj_calc_normIffEEviiPT0_PT_S3_Pi
                                        ; -- End function
	.section	.AMDGPU.csdata,"",@progbits
; Kernel info:
; codeLenInByte = 788
; NumSgprs: 24
; NumVgprs: 10
; ScratchSize: 0
; MemoryBound: 0
; FloatMode: 240
; IeeeMode: 1
; LDSByteSize: 0 bytes/workgroup (compile time only)
; SGPRBlocks: 2
; VGPRBlocks: 1
; NumSGPRsForWavesPerEU: 24
; NumVGPRsForWavesPerEU: 10
; Occupancy: 16
; WaveLimiterHint : 0
; COMPUTE_PGM_RSRC2:SCRATCH_EN: 0
; COMPUTE_PGM_RSRC2:USER_SGPR: 14
; COMPUTE_PGM_RSRC2:TRAP_HANDLER: 0
; COMPUTE_PGM_RSRC2:TGID_X_EN: 1
; COMPUTE_PGM_RSRC2:TGID_Y_EN: 1
; COMPUTE_PGM_RSRC2:TGID_Z_EN: 0
; COMPUTE_PGM_RSRC2:TIDIG_COMP_CNT: 0
	.section	.text._ZN9rocsolver6v33100L14syevj_finalizeIffPfEEv14rocblas_esort_14rocblas_evect_iT1_iilPT0_iPiS7_lS8_PT_S8_,"axG",@progbits,_ZN9rocsolver6v33100L14syevj_finalizeIffPfEEv14rocblas_esort_14rocblas_evect_iT1_iilPT0_iPiS7_lS8_PT_S8_,comdat
	.globl	_ZN9rocsolver6v33100L14syevj_finalizeIffPfEEv14rocblas_esort_14rocblas_evect_iT1_iilPT0_iPiS7_lS8_PT_S8_ ; -- Begin function _ZN9rocsolver6v33100L14syevj_finalizeIffPfEEv14rocblas_esort_14rocblas_evect_iT1_iilPT0_iPiS7_lS8_PT_S8_
	.p2align	8
	.type	_ZN9rocsolver6v33100L14syevj_finalizeIffPfEEv14rocblas_esort_14rocblas_evect_iT1_iilPT0_iPiS7_lS8_PT_S8_,@function
_ZN9rocsolver6v33100L14syevj_finalizeIffPfEEv14rocblas_esort_14rocblas_evect_iT1_iilPT0_iPiS7_lS8_PT_S8_: ; @_ZN9rocsolver6v33100L14syevj_finalizeIffPfEEv14rocblas_esort_14rocblas_evect_iT1_iilPT0_iPiS7_lS8_PT_S8_
; %bb.0:
	s_clause 0x2
	s_load_b128 s[16:19], s[0:1], 0x20
	s_load_b256 s[4:11], s[0:1], 0x38
	s_load_b128 s[20:23], s[0:1], 0x58
	v_cmp_eq_u32_e64 s2, 0, v0
	s_mov_b32 s24, s15
	s_ashr_i32 s25, s15, 31
	s_delay_alu instid0(VALU_DEP_1)
	s_and_saveexec_b32 s12, s2
	s_cbranch_execz .LBB21_2
; %bb.1:
	s_lshl_b64 s[14:15], s[24:25], 2
	s_waitcnt lgkmcnt(0)
	s_add_u32 s22, s22, s14
	s_addc_u32 s23, s23, s15
	s_add_u32 s18, s18, s14
	s_addc_u32 s19, s19, s15
	s_load_b32 s13, s[22:23], 0x4
	s_load_b32 s3, s[18:19], 0x0
	;; [unrolled: 1-line block ×3, first 2 shown]
	s_waitcnt lgkmcnt(0)
	v_mul_f32_e64 v1, 0x4f800000, s3
	v_cmp_gt_f32_e64 vcc_lo, 0xf800000, s3
	s_delay_alu instid0(VALU_DEP_2) | instskip(NEXT) | instid1(VALU_DEP_1)
	v_cndmask_b32_e32 v1, s3, v1, vcc_lo
	v_sqrt_f32_e32 v2, v1
	s_waitcnt_depctr 0xfff
	v_add_nc_u32_e32 v4, 1, v2
	v_add_nc_u32_e32 v3, -1, v2
	s_delay_alu instid0(VALU_DEP_2) | instskip(NEXT) | instid1(VALU_DEP_2)
	v_fma_f32 v6, -v4, v2, v1
	v_fma_f32 v5, -v3, v2, v1
	s_delay_alu instid0(VALU_DEP_1) | instskip(NEXT) | instid1(VALU_DEP_1)
	v_cmp_ge_f32_e64 s3, 0, v5
	v_cndmask_b32_e64 v2, v2, v3, s3
	s_delay_alu instid0(VALU_DEP_4) | instskip(NEXT) | instid1(VALU_DEP_1)
	v_cmp_lt_f32_e64 s3, 0, v6
	v_cndmask_b32_e64 v2, v2, v4, s3
	v_mov_b32_e32 v4, 0
	s_add_i32 s3, s13, -1
	s_cmp_lt_i32 s13, 1
	s_cselect_b32 s13, -1, 0
	s_delay_alu instid0(SALU_CYCLE_1)
	v_cndmask_b32_e64 v5, 0, 1, s13
	s_and_b32 s13, s13, exec_lo
	s_cselect_b32 s3, s22, s3
	v_mul_f32_e32 v3, 0x37800000, v2
	s_add_u32 s4, s4, s14
	s_addc_u32 s5, s5, s15
	s_add_u32 s10, s10, s14
	s_addc_u32 s11, s11, s15
	v_cndmask_b32_e32 v2, v2, v3, vcc_lo
	v_cmp_class_f32_e64 vcc_lo, v1, 0x260
	s_delay_alu instid0(VALU_DEP_2)
	v_dual_cndmask_b32 v1, v2, v1 :: v_dual_mov_b32 v2, s3
	s_clause 0x2
	global_store_b32 v4, v1, s[18:19]
	global_store_b32 v4, v2, s[4:5]
	global_store_b32 v4, v5, s[10:11]
.LBB21_2:
	s_or_b32 exec_lo, exec_lo, s12
	s_load_b128 s[12:15], s[0:1], 0x0
	s_waitcnt lgkmcnt(0)
	s_mul_i32 s3, s24, s9
	s_mul_hi_u32 s4, s24, s8
	s_delay_alu instid0(SALU_CYCLE_1) | instskip(SKIP_1) | instid1(SALU_CYCLE_1)
	s_add_i32 s3, s4, s3
	s_mul_i32 s4, s25, s8
	s_add_i32 s5, s3, s4
	s_mul_i32 s4, s24, s8
	s_delay_alu instid0(SALU_CYCLE_1) | instskip(NEXT) | instid1(SALU_CYCLE_1)
	s_lshl_b64 s[18:19], s[4:5], 2
	s_add_u32 s15, s6, s18
	s_addc_u32 s22, s7, s19
	v_cmp_gt_i32_e64 s3, s14, v0
	s_delay_alu instid0(VALU_DEP_1)
	s_and_saveexec_b32 s5, s3
	s_cbranch_execz .LBB21_5
; %bb.3:
	s_load_b32 s4, s[0:1], 0x74
	s_mul_i32 s8, s24, s14
	v_mad_u64_u32 v[1:2], null, v0, s14, v[0:1]
	s_mul_i32 s8, s8, s14
	v_mov_b32_e32 v3, v0
	s_ashr_i32 s9, s8, 31
	s_delay_alu instid0(SALU_CYCLE_1) | instskip(NEXT) | instid1(SALU_CYCLE_1)
	s_lshl_b64 s[8:9], s[8:9], 2
	s_add_u32 s8, s20, s8
	s_addc_u32 s9, s21, s9
	s_add_i32 s11, s14, 1
	s_mov_b32 s20, 0
	s_waitcnt lgkmcnt(0)
	s_and_b32 s10, s4, 0xffff
	s_delay_alu instid0(SALU_CYCLE_1)
	s_mul_i32 s11, s11, s10
	.p2align	6
.LBB21_4:                               ; =>This Inner Loop Header: Depth=1
	v_ashrrev_i32_e32 v2, 31, v1
	s_delay_alu instid0(VALU_DEP_1) | instskip(SKIP_1) | instid1(VALU_DEP_2)
	v_lshlrev_b64 v[4:5], 2, v[1:2]
	v_add_nc_u32_e32 v1, s11, v1
	v_add_co_u32 v4, vcc_lo, s8, v4
	s_delay_alu instid0(VALU_DEP_3) | instskip(SKIP_2) | instid1(VALU_DEP_1)
	v_add_co_ci_u32_e32 v5, vcc_lo, s9, v5, vcc_lo
	global_load_b32 v2, v[4:5], off
	v_ashrrev_i32_e32 v4, 31, v3
	v_lshlrev_b64 v[4:5], 2, v[3:4]
	v_add_nc_u32_e32 v3, s10, v3
	s_delay_alu instid0(VALU_DEP_1) | instskip(NEXT) | instid1(VALU_DEP_3)
	v_cmp_le_i32_e32 vcc_lo, s14, v3
	v_add_co_u32 v4, s4, s15, v4
	s_delay_alu instid0(VALU_DEP_1)
	v_add_co_ci_u32_e64 v5, s4, s22, v5, s4
	s_or_b32 s20, vcc_lo, s20
	s_waitcnt vmcnt(0)
	global_store_b32 v[4:5], v2, off
	s_and_not1_b32 exec_lo, exec_lo, s20
	s_cbranch_execnz .LBB21_4
.LBB21_5:
	s_or_b32 exec_lo, exec_lo, s5
	v_cmp_eq_u32_e32 vcc_lo, 0, v0
	s_cmpk_lg_i32 s13, 0xd5
	s_waitcnt_vscnt null, 0x0
	s_cselect_b32 s20, -1, 0
	s_barrier
	s_or_b32 s4, vcc_lo, s20
	s_cmpk_lg_i32 s12, 0xfb
	buffer_gl0_inv
	s_cselect_b32 s5, -1, 0
	s_delay_alu instid0(SALU_CYCLE_1) | instskip(SKIP_3) | instid1(SALU_CYCLE_1)
	s_and_b32 s4, s5, s4
	s_cmp_gt_i32 s14, 1
	s_mov_b32 s5, 0
	s_cselect_b32 s8, -1, 0
	s_and_b32 s4, s8, s4
	s_delay_alu instid0(SALU_CYCLE_1)
	s_and_saveexec_b32 s8, s4
	s_cbranch_execz .LBB21_18
; %bb.6:
	s_load_b128 s[8:11], s[0:1], 0x10
	s_mul_i32 s4, s24, s17
	s_mul_hi_u32 s13, s24, s16
	s_mul_i32 s17, s25, s16
	s_add_i32 s4, s13, s4
	s_mul_i32 s12, s24, s16
	s_add_i32 s13, s4, s17
	v_mov_b32_e32 v1, 0
	s_lshl_b64 s[12:13], s[12:13], 2
	s_waitcnt lgkmcnt(0)
	s_ashr_i32 s17, s10, 31
	s_mov_b32 s16, s10
	s_add_u32 s4, s8, s12
	s_addc_u32 s12, s9, s13
	s_lshl_b64 s[8:9], s[16:17], 2
	s_mov_b32 s10, 0
	s_add_u32 s21, s4, s8
	s_addc_u32 s23, s12, s9
	s_add_u32 s0, s0, 0x68
	s_addc_u32 s1, s1, 0
	s_add_i32 s24, s14, -2
	s_add_u32 s4, s18, s6
	s_addc_u32 s7, s19, s7
	s_add_u32 s6, s4, 4
	s_addc_u32 s7, s7, 0
	s_mov_b32 s18, 0
	s_branch .LBB21_9
.LBB21_7:                               ;   in Loop: Header=BB21_9 Depth=1
	s_or_b32 exec_lo, exec_lo, s9
	s_waitcnt_vscnt null, 0x0
	s_barrier
	buffer_gl0_inv
.LBB21_8:                               ;   in Loop: Header=BB21_9 Depth=1
	s_add_u32 s6, s6, 4
	s_addc_u32 s7, s7, 0
	s_add_i32 s10, s10, s11
	s_cmp_lg_u32 s4, s24
	s_cbranch_scc0 .LBB21_18
.LBB21_9:                               ; =>This Loop Header: Depth=1
                                        ;     Child Loop BB21_10 Depth 2
                                        ;     Child Loop BB21_17 Depth 2
	s_mov_b32 s4, s18
	s_mov_b64 s[16:17], s[6:7]
	s_lshl_b64 s[8:9], s[4:5], 2
	s_delay_alu instid0(SALU_CYCLE_1)
	s_add_u32 s12, s15, s8
	s_addc_u32 s13, s22, s9
	s_add_i32 s18, s18, 1
	global_load_b32 v2, v1, s[12:13]
	s_mov_b32 s9, s18
	s_mov_b32 s8, s4
.LBB21_10:                              ;   Parent Loop BB21_9 Depth=1
                                        ; =>  This Inner Loop Header: Depth=2
	global_load_b32 v3, v1, s[16:17]
	s_waitcnt vmcnt(0)
	v_cmp_lt_f32_e32 vcc_lo, v3, v2
	s_and_b32 s19, vcc_lo, exec_lo
	v_cndmask_b32_e32 v2, v2, v3, vcc_lo
	s_cselect_b32 s8, s9, s8
	s_add_i32 s9, s9, 1
	s_add_u32 s16, s16, 4
	s_addc_u32 s17, s17, 0
	s_cmp_lt_i32 s9, s14
	s_cbranch_scc1 .LBB21_10
; %bb.11:                               ;   in Loop: Header=BB21_9 Depth=1
	s_cmp_eq_u32 s8, s4
	s_waitcnt_vscnt null, 0x0
	s_barrier
	buffer_gl0_inv
	s_cbranch_scc1 .LBB21_8
; %bb.12:                               ;   in Loop: Header=BB21_9 Depth=1
	s_and_saveexec_b32 s16, s2
	s_cbranch_execz .LBB21_14
; %bb.13:                               ;   in Loop: Header=BB21_9 Depth=1
	global_load_b32 v3, v1, s[12:13]
	s_ashr_i32 s9, s8, 31
	s_delay_alu instid0(SALU_CYCLE_1) | instskip(NEXT) | instid1(SALU_CYCLE_1)
	s_lshl_b64 s[26:27], s[8:9], 2
	s_add_u32 s26, s15, s26
	s_addc_u32 s27, s22, s27
	s_waitcnt vmcnt(0)
	s_clause 0x1
	global_store_b32 v1, v3, s[26:27]
	global_store_b32 v1, v2, s[12:13]
.LBB21_14:                              ;   in Loop: Header=BB21_9 Depth=1
	s_or_b32 exec_lo, exec_lo, s16
	s_delay_alu instid0(SALU_CYCLE_1)
	s_and_not1_b32 vcc_lo, exec_lo, s20
	s_cbranch_vccnz .LBB21_8
; %bb.15:                               ;   in Loop: Header=BB21_9 Depth=1
	s_and_saveexec_b32 s9, s3
	s_cbranch_execz .LBB21_7
; %bb.16:                               ;   in Loop: Header=BB21_9 Depth=1
	s_load_b32 s12, s[0:1], 0xc
	v_mov_b32_e32 v2, v0
	s_mul_i32 s8, s8, s11
	s_mov_b32 s13, 0
	s_waitcnt lgkmcnt(0)
	s_and_b32 s12, s12, 0xffff
	.p2align	6
.LBB21_17:                              ;   Parent Loop BB21_9 Depth=1
                                        ; =>  This Inner Loop Header: Depth=2
	v_add_nc_u32_e32 v3, s10, v2
	v_add_nc_u32_e32 v5, s8, v2
	;; [unrolled: 1-line block ×3, first 2 shown]
	s_delay_alu instid0(VALU_DEP_3) | instskip(NEXT) | instid1(VALU_DEP_3)
	v_ashrrev_i32_e32 v4, 31, v3
	v_ashrrev_i32_e32 v6, 31, v5
	s_delay_alu instid0(VALU_DEP_2) | instskip(NEXT) | instid1(VALU_DEP_2)
	v_lshlrev_b64 v[3:4], 2, v[3:4]
	v_lshlrev_b64 v[5:6], 2, v[5:6]
	s_delay_alu instid0(VALU_DEP_2) | instskip(NEXT) | instid1(VALU_DEP_3)
	v_add_co_u32 v3, vcc_lo, s21, v3
	v_add_co_ci_u32_e32 v4, vcc_lo, s23, v4, vcc_lo
	s_delay_alu instid0(VALU_DEP_3) | instskip(NEXT) | instid1(VALU_DEP_4)
	v_add_co_u32 v5, vcc_lo, s21, v5
	v_add_co_ci_u32_e32 v6, vcc_lo, s23, v6, vcc_lo
	v_cmp_le_i32_e32 vcc_lo, s14, v2
	s_clause 0x1
	global_load_b32 v7, v[3:4], off
	global_load_b32 v8, v[5:6], off
	s_waitcnt vmcnt(1)
	global_store_b32 v[5:6], v7, off
	s_waitcnt vmcnt(0)
	global_store_b32 v[3:4], v8, off
	s_or_b32 s13, vcc_lo, s13
	s_delay_alu instid0(SALU_CYCLE_1)
	s_and_not1_b32 exec_lo, exec_lo, s13
	s_cbranch_execnz .LBB21_17
	s_branch .LBB21_7
.LBB21_18:
	s_nop 0
	s_sendmsg sendmsg(MSG_DEALLOC_VGPRS)
	s_endpgm
	.section	.rodata,"a",@progbits
	.p2align	6, 0x0
	.amdhsa_kernel _ZN9rocsolver6v33100L14syevj_finalizeIffPfEEv14rocblas_esort_14rocblas_evect_iT1_iilPT0_iPiS7_lS8_PT_S8_
		.amdhsa_group_segment_fixed_size 0
		.amdhsa_private_segment_fixed_size 0
		.amdhsa_kernarg_size 360
		.amdhsa_user_sgpr_count 14
		.amdhsa_user_sgpr_dispatch_ptr 0
		.amdhsa_user_sgpr_queue_ptr 0
		.amdhsa_user_sgpr_kernarg_segment_ptr 1
		.amdhsa_user_sgpr_dispatch_id 0
		.amdhsa_user_sgpr_private_segment_size 0
		.amdhsa_wavefront_size32 1
		.amdhsa_uses_dynamic_stack 0
		.amdhsa_enable_private_segment 0
		.amdhsa_system_sgpr_workgroup_id_x 1
		.amdhsa_system_sgpr_workgroup_id_y 1
		.amdhsa_system_sgpr_workgroup_id_z 0
		.amdhsa_system_sgpr_workgroup_info 0
		.amdhsa_system_vgpr_workitem_id 0
		.amdhsa_next_free_vgpr 9
		.amdhsa_next_free_sgpr 28
		.amdhsa_reserve_vcc 1
		.amdhsa_float_round_mode_32 0
		.amdhsa_float_round_mode_16_64 0
		.amdhsa_float_denorm_mode_32 3
		.amdhsa_float_denorm_mode_16_64 3
		.amdhsa_dx10_clamp 1
		.amdhsa_ieee_mode 1
		.amdhsa_fp16_overflow 0
		.amdhsa_workgroup_processor_mode 1
		.amdhsa_memory_ordered 1
		.amdhsa_forward_progress 0
		.amdhsa_shared_vgpr_count 0
		.amdhsa_exception_fp_ieee_invalid_op 0
		.amdhsa_exception_fp_denorm_src 0
		.amdhsa_exception_fp_ieee_div_zero 0
		.amdhsa_exception_fp_ieee_overflow 0
		.amdhsa_exception_fp_ieee_underflow 0
		.amdhsa_exception_fp_ieee_inexact 0
		.amdhsa_exception_int_div_zero 0
	.end_amdhsa_kernel
	.section	.text._ZN9rocsolver6v33100L14syevj_finalizeIffPfEEv14rocblas_esort_14rocblas_evect_iT1_iilPT0_iPiS7_lS8_PT_S8_,"axG",@progbits,_ZN9rocsolver6v33100L14syevj_finalizeIffPfEEv14rocblas_esort_14rocblas_evect_iT1_iilPT0_iPiS7_lS8_PT_S8_,comdat
.Lfunc_end21:
	.size	_ZN9rocsolver6v33100L14syevj_finalizeIffPfEEv14rocblas_esort_14rocblas_evect_iT1_iilPT0_iPiS7_lS8_PT_S8_, .Lfunc_end21-_ZN9rocsolver6v33100L14syevj_finalizeIffPfEEv14rocblas_esort_14rocblas_evect_iT1_iilPT0_iPiS7_lS8_PT_S8_
                                        ; -- End function
	.section	.AMDGPU.csdata,"",@progbits
; Kernel info:
; codeLenInByte = 1224
; NumSgprs: 30
; NumVgprs: 9
; ScratchSize: 0
; MemoryBound: 0
; FloatMode: 240
; IeeeMode: 1
; LDSByteSize: 0 bytes/workgroup (compile time only)
; SGPRBlocks: 3
; VGPRBlocks: 1
; NumSGPRsForWavesPerEU: 30
; NumVGPRsForWavesPerEU: 9
; Occupancy: 16
; WaveLimiterHint : 0
; COMPUTE_PGM_RSRC2:SCRATCH_EN: 0
; COMPUTE_PGM_RSRC2:USER_SGPR: 14
; COMPUTE_PGM_RSRC2:TRAP_HANDLER: 0
; COMPUTE_PGM_RSRC2:TGID_X_EN: 1
; COMPUTE_PGM_RSRC2:TGID_Y_EN: 1
; COMPUTE_PGM_RSRC2:TGID_Z_EN: 0
; COMPUTE_PGM_RSRC2:TIDIG_COMP_CNT: 0
	.section	.text._ZN9rocsolver6v33100L18geqr2_kernel_smallILi256EfifPfEEvT1_S3_T3_lS3_lPT2_lPT0_l,"axG",@progbits,_ZN9rocsolver6v33100L18geqr2_kernel_smallILi256EfifPfEEvT1_S3_T3_lS3_lPT2_lPT0_l,comdat
	.globl	_ZN9rocsolver6v33100L18geqr2_kernel_smallILi256EfifPfEEvT1_S3_T3_lS3_lPT2_lPT0_l ; -- Begin function _ZN9rocsolver6v33100L18geqr2_kernel_smallILi256EfifPfEEvT1_S3_T3_lS3_lPT2_lPT0_l
	.p2align	8
	.type	_ZN9rocsolver6v33100L18geqr2_kernel_smallILi256EfifPfEEvT1_S3_T3_lS3_lPT2_lPT0_l,@function
_ZN9rocsolver6v33100L18geqr2_kernel_smallILi256EfifPfEEvT1_S3_T3_lS3_lPT2_lPT0_l: ; @_ZN9rocsolver6v33100L18geqr2_kernel_smallILi256EfifPfEEvT1_S3_T3_lS3_lPT2_lPT0_l
; %bb.0:
	s_clause 0x4
	s_load_b256 s[4:11], s[0:1], 0x20
	s_load_b64 s[12:13], s[0:1], 0x0
	s_load_b128 s[24:27], s[0:1], 0x8
	s_load_b32 s16, s[0:1], 0x18
	s_load_b64 s[2:3], s[0:1], 0x40
	s_ashr_i32 s20, s15, 31
	v_and_b32_e32 v1, 0x7f, v0
	v_lshrrev_b32_e32 v5, 7, v0
	s_delay_alu instid0(VALU_DEP_2)
	v_lshlrev_b32_e32 v6, 2, v1
	s_waitcnt lgkmcnt(0)
	s_mul_i32 s0, s15, s5
	s_mul_hi_u32 s1, s15, s4
	s_mul_i32 s5, s20, s4
	s_add_i32 s1, s1, s0
	s_mul_i32 s0, s15, s4
	s_add_i32 s1, s1, s5
	s_delay_alu instid0(SALU_CYCLE_1) | instskip(SKIP_4) | instid1(SALU_CYCLE_1)
	s_lshl_b64 s[4:5], s[0:1], 2
	v_cmp_gt_i32_e64 s0, s12, v1
	s_add_u32 s1, s24, s4
	s_addc_u32 s4, s25, s5
	s_lshl_b64 s[18:19], s[26:27], 2
	s_add_u32 s5, s1, s18
	s_addc_u32 s14, s4, s19
	s_and_saveexec_b32 s4, s0
	s_cbranch_execz .LBB22_6
; %bb.1:
	v_lshrrev_b32_e32 v7, 7, v0
	s_mov_b32 s17, 0
	s_lshl_b32 s18, s12, 3
	s_lshl_b32 s19, s16, 1
	v_mov_b32_e32 v9, v1
	v_mul_lo_u32 v2, s12, v7
	v_cmp_gt_i32_e32 vcc_lo, s13, v7
	s_delay_alu instid0(VALU_DEP_2) | instskip(SKIP_1) | instid1(VALU_DEP_2)
	v_lshlrev_b32_e32 v4, 2, v2
	v_mad_u64_u32 v[2:3], null, s16, v7, v[1:2]
	v_add3_u32 v8, v4, v6, 0
	s_set_inst_prefetch_distance 0x1
	s_branch .LBB22_3
	.p2align	6
.LBB22_2:                               ;   in Loop: Header=BB22_3 Depth=1
	s_or_b32 exec_lo, exec_lo, s21
	v_add_nc_u32_e32 v9, 0x80, v9
	v_add_nc_u32_e32 v8, 0x200, v8
	;; [unrolled: 1-line block ×3, first 2 shown]
	s_delay_alu instid0(VALU_DEP_3) | instskip(NEXT) | instid1(VALU_DEP_1)
	v_cmp_le_i32_e64 s1, s12, v9
	s_or_b32 s17, s1, s17
	s_delay_alu instid0(SALU_CYCLE_1)
	s_and_not1_b32 exec_lo, exec_lo, s17
	s_cbranch_execz .LBB22_6
.LBB22_3:                               ; =>This Loop Header: Depth=1
                                        ;     Child Loop BB22_5 Depth 2
	s_and_saveexec_b32 s21, vcc_lo
	s_cbranch_execz .LBB22_2
; %bb.4:                                ;   in Loop: Header=BB22_3 Depth=1
	s_delay_alu instid0(VALU_DEP_2)
	v_dual_mov_b32 v3, v2 :: v_dual_mov_b32 v10, v8
	v_mov_b32_e32 v11, v7
	s_mov_b32 s22, 0
	.p2align	6
.LBB22_5:                               ;   Parent Loop BB22_3 Depth=1
                                        ; =>  This Inner Loop Header: Depth=2
	s_delay_alu instid0(VALU_DEP_2) | instskip(NEXT) | instid1(VALU_DEP_2)
	v_ashrrev_i32_e32 v4, 31, v3
	v_add_nc_u32_e32 v11, 2, v11
	s_delay_alu instid0(VALU_DEP_2) | instskip(SKIP_1) | instid1(VALU_DEP_2)
	v_lshlrev_b64 v[12:13], 2, v[3:4]
	v_add_nc_u32_e32 v3, s19, v3
	v_add_co_u32 v12, s1, s5, v12
	s_delay_alu instid0(VALU_DEP_1)
	v_add_co_ci_u32_e64 v13, s1, s14, v13, s1
	v_cmp_le_i32_e64 s1, s13, v11
	global_load_b32 v4, v[12:13], off
	s_or_b32 s22, s1, s22
	s_waitcnt vmcnt(0)
	ds_store_b32 v10, v4
	v_add_nc_u32_e32 v10, s18, v10
	s_and_not1_b32 exec_lo, exec_lo, s22
	s_cbranch_execnz .LBB22_5
	s_branch .LBB22_2
.LBB22_6:
	s_set_inst_prefetch_distance 0x2
	s_or_b32 exec_lo, exec_lo, s4
	s_min_i32 s17, s13, s12
	s_waitcnt lgkmcnt(0)
	s_cmp_lt_i32 s17, 1
	s_barrier
	buffer_gl0_inv
	s_cbranch_scc1 .LBB22_42
; %bb.7:
	v_mbcnt_lo_u32_b32 v8, -1, 0
	s_mul_i32 s1, s15, s9
	s_mul_hi_u32 s4, s15, s8
	v_and_b32_e32 v10, 31, v0
	s_add_i32 s1, s4, s1
	v_cmp_ne_u32_e32 vcc_lo, 31, v8
	s_mul_i32 s4, s20, s8
	s_mul_i32 s8, s15, s8
	s_add_i32 s9, s1, s4
	s_mul_i32 s1, s15, s3
	v_add_co_ci_u32_e32 v2, vcc_lo, 0, v8, vcc_lo
	v_cmp_gt_u32_e32 vcc_lo, 30, v8
	s_lshl_b64 s[8:9], s[8:9], 2
	s_mul_hi_u32 s3, s15, s2
	s_add_u32 s18, s6, s8
	s_addc_u32 s19, s7, s9
	v_cndmask_b32_e64 v3, 0, 1, vcc_lo
	v_cmp_gt_u32_e32 vcc_lo, 28, v8
	s_add_i32 s1, s3, s1
	s_mul_i32 s3, s20, s2
	s_mul_i32 s2, s15, s2
	s_add_i32 s3, s1, s3
	v_cndmask_b32_e64 v4, 0, 1, vcc_lo
	v_cmp_gt_u32_e32 vcc_lo, 24, v8
	s_lshl_b64 s[2:3], s[2:3], 2
	s_mul_i32 s1, s13, s12
	s_add_u32 s10, s10, s2
	s_addc_u32 s11, s11, s3
	v_cndmask_b32_e64 v7, 0, 1, vcc_lo
	v_cmp_gt_u32_e32 vcc_lo, 16, v8
	s_lshl_b32 s1, s1, 2
	v_lshlrev_b32_e32 v3, 1, v3
	s_add_i32 s15, s1, 0
	s_lshl_b32 s1, s13, 2
	v_cndmask_b32_e64 v9, 0, 1, vcc_lo
	s_add_i32 s20, s15, s1
	v_cmp_eq_u32_e64 s1, 0, v10
	v_mad_u64_u32 v[10:11], null, s12, v0, s[12:13]
	s_cmp_eq_u64 s[6:7], 0
	v_lshlrev_b32_e32 v4, 2, v4
	v_lshlrev_b32_e32 v7, 3, v7
	;; [unrolled: 1-line block ×3, first 2 shown]
	v_lshrrev_b32_e32 v12, 3, v0
	v_lshlrev_b32_e32 v11, 2, v0
	s_cselect_b32 s21, -1, 0
	s_cmp_lg_u64 s[6:7], 0
	v_dual_mov_b32 v13, 0 :: v_dual_lshlrev_b32 v2, 2, v2
	s_cselect_b32 s6, -1, 0
	s_lshl_b32 s7, s12, 2
	v_add_lshl_u32 v3, v3, v8, 2
	v_add_lshl_u32 v4, v4, v8, 2
	;; [unrolled: 1-line block ×4, first 2 shown]
	v_cmp_eq_u32_e64 s2, 0, v0
	v_add3_u32 v9, v11, 0, 4
	v_lshl_add_u32 v10, v10, 2, 0
	v_add3_u32 v11, 0, s7, v11
	v_add_nc_u32_e32 v12, s20, v12
	s_mov_b32 s9, 0
	s_add_i32 s22, s7, 4
	s_lshl_b32 s23, s12, 10
	s_mov_b32 s24, 0
	s_mov_b32 s8, s9
	s_branch .LBB22_9
.LBB22_8:                               ;   in Loop: Header=BB22_9 Depth=1
	s_set_inst_prefetch_distance 0x2
	s_or_b32 exec_lo, exec_lo, s4
	v_add_nc_u32_e32 v9, s22, v9
	v_add_nc_u32_e32 v10, s22, v10
	;; [unrolled: 1-line block ×3, first 2 shown]
	s_add_i32 s8, s8, 1
	s_add_i32 s24, s24, s22
	s_cmp_eq_u32 s8, s17
	s_waitcnt lgkmcnt(0)
	s_barrier
	buffer_gl0_inv
	s_cbranch_scc1 .LBB22_42
.LBB22_9:                               ; =>This Loop Header: Depth=1
                                        ;     Child Loop BB22_11 Depth 2
                                        ;     Child Loop BB22_25 Depth 2
	;; [unrolled: 1-line block ×3, first 2 shown]
                                        ;       Child Loop BB22_31 Depth 3
                                        ;     Child Loop BB22_35 Depth 2
                                        ;       Child Loop BB22_37 Depth 3
	s_sub_i32 s25, s12, s8
	v_mov_b32_e32 v14, 0
	s_add_i32 s27, s25, -1
	s_delay_alu instid0(SALU_CYCLE_1) | instskip(NEXT) | instid1(VALU_DEP_1)
	v_cmp_gt_i32_e64 s3, s27, v0
	s_and_saveexec_b32 s4, s3
	s_cbranch_execz .LBB22_13
; %bb.10:                               ;   in Loop: Header=BB22_9 Depth=1
	v_dual_mov_b32 v14, 0 :: v_dual_mov_b32 v15, v9
	v_mov_b32_e32 v16, v0
	s_mov_b32 s26, 0
.LBB22_11:                              ;   Parent Loop BB22_9 Depth=1
                                        ; =>  This Inner Loop Header: Depth=2
	ds_load_b32 v17, v15
	s_waitcnt lgkmcnt(0)
	v_dual_mul_f32 v17, v17, v17 :: v_dual_add_nc_u32 v16, 0x100, v16
	s_delay_alu instid0(VALU_DEP_1) | instskip(NEXT) | instid1(VALU_DEP_2)
	v_cmp_le_i32_e32 vcc_lo, s27, v16
	v_dual_add_f32 v14, v14, v17 :: v_dual_add_nc_u32 v15, 0x400, v15
	s_or_b32 s26, vcc_lo, s26
	s_delay_alu instid0(SALU_CYCLE_1)
	s_and_not1_b32 exec_lo, exec_lo, s26
	s_cbranch_execnz .LBB22_11
; %bb.12:                               ;   in Loop: Header=BB22_9 Depth=1
	s_or_b32 exec_lo, exec_lo, s26
.LBB22_13:                              ;   in Loop: Header=BB22_9 Depth=1
	s_delay_alu instid0(SALU_CYCLE_1)
	s_or_b32 exec_lo, exec_lo, s4
	ds_bpermute_b32 v15, v2, v14
	s_waitcnt lgkmcnt(0)
	v_add_f32_e32 v14, v14, v15
	ds_bpermute_b32 v15, v3, v14
	s_waitcnt lgkmcnt(0)
	v_add_f32_e32 v14, v14, v15
	ds_bpermute_b32 v15, v4, v14
	s_waitcnt lgkmcnt(0)
	v_add_f32_e32 v14, v14, v15
	ds_bpermute_b32 v15, v7, v14
	s_waitcnt lgkmcnt(0)
	v_add_f32_e32 v14, v14, v15
	ds_bpermute_b32 v15, v8, v14
	s_waitcnt lgkmcnt(0)
	v_add_f32_e32 v14, v14, v15
	s_and_saveexec_b32 s4, s1
	s_cbranch_execz .LBB22_15
; %bb.14:                               ;   in Loop: Header=BB22_9 Depth=1
	ds_store_b32 v12, v14 offset:4
.LBB22_15:                              ;   in Loop: Header=BB22_9 Depth=1
	s_or_b32 exec_lo, exec_lo, s4
	s_lshl_b32 s4, s8, 2
	s_mul_i32 s26, s8, s12
	s_add_i32 s4, s4, 0
	s_lshl_b32 s26, s26, 2
	s_waitcnt lgkmcnt(0)
	s_add_i32 s26, s4, s26
	s_barrier
	buffer_gl0_inv
	s_and_saveexec_b32 s28, s2
	s_cbranch_execz .LBB22_23
; %bb.16:                               ;   in Loop: Header=BB22_9 Depth=1
	v_mov_b32_e32 v21, s20
	s_mov_b32 s4, 0
	s_mov_b32 s31, 0
	s_mov_b32 s33, exec_lo
                                        ; implicit-def: $sgpr30
                                        ; implicit-def: $sgpr29
                                        ; implicit-def: $sgpr34
	ds_load_2addr_b32 v[15:16], v21 offset0:2 offset1:3
	ds_load_2addr_b32 v[17:18], v21 offset0:4 offset1:5
	;; [unrolled: 1-line block ×3, first 2 shown]
	ds_load_b32 v21, v21 offset:32
	s_waitcnt lgkmcnt(3)
	v_add_f32_e32 v14, v14, v15
	s_delay_alu instid0(VALU_DEP_1) | instskip(SKIP_1) | instid1(VALU_DEP_1)
	v_add_f32_e32 v14, v14, v16
	s_waitcnt lgkmcnt(2)
	v_add_f32_e32 v14, v14, v17
	s_delay_alu instid0(VALU_DEP_1) | instskip(SKIP_1) | instid1(VALU_DEP_1)
	v_add_f32_e32 v14, v14, v18
	;; [unrolled: 4-line block ×3, first 2 shown]
	s_waitcnt lgkmcnt(0)
	v_add_f32_e32 v16, v14, v21
                                        ; implicit-def: $vgpr14
	s_delay_alu instid0(VALU_DEP_1)
	v_cmpx_nlt_f32_e32 0, v16
	s_xor_b32 s33, exec_lo, s33
	s_cbranch_execnz .LBB22_38
; %bb.17:                               ;   in Loop: Header=BB22_9 Depth=1
	s_or_saveexec_b32 s33, s33
	v_mov_b32_e32 v15, s34
	s_xor_b32 exec_lo, exec_lo, s33
	s_cbranch_execnz .LBB22_41
.LBB22_18:                              ;   in Loop: Header=BB22_9 Depth=1
	s_or_b32 exec_lo, exec_lo, s33
	s_and_saveexec_b32 s33, s31
	s_cbranch_execz .LBB22_20
.LBB22_19:                              ;   in Loop: Header=BB22_9 Depth=1
	s_lshl_b64 s[34:35], s[8:9], 2
	s_delay_alu instid0(SALU_CYCLE_1)
	s_add_u32 s34, s18, s34
	s_addc_u32 s35, s19, s35
	s_or_b32 s4, s4, exec_lo
	s_waitcnt lgkmcnt(0)
	global_store_b32 v13, v14, s[34:35]
	v_mov_b32_e32 v14, 1.0
.LBB22_20:                              ;   in Loop: Header=BB22_9 Depth=1
	s_or_b32 exec_lo, exec_lo, s33
	v_dual_mov_b32 v16, s29 :: v_dual_mov_b32 v17, s30
	s_and_saveexec_b32 s29, s4
	s_cbranch_execz .LBB22_22
; %bb.21:                               ;   in Loop: Header=BB22_9 Depth=1
	v_dual_mov_b32 v16, s26 :: v_dual_mov_b32 v17, s20
	s_waitcnt lgkmcnt(0)
	ds_store_b32 v16, v14
	ds_load_b32 v16, v17
	v_mov_b32_e32 v17, v15
.LBB22_22:                              ;   in Loop: Header=BB22_9 Depth=1
	s_or_b32 exec_lo, exec_lo, s29
	s_lshl_b64 s[30:31], s[8:9], 2
	s_waitcnt lgkmcnt(0)
	v_mov_b32_e32 v14, s20
	s_add_u32 s30, s10, s30
	s_addc_u32 s31, s11, s31
	global_store_b32 v13, v16, s[30:31]
	ds_store_b32 v14, v17 offset:4
.LBB22_23:                              ;   in Loop: Header=BB22_9 Depth=1
	s_or_b32 exec_lo, exec_lo, s28
	s_waitcnt lgkmcnt(0)
	s_waitcnt_vscnt null, 0x0
	s_barrier
	buffer_gl0_inv
	s_and_saveexec_b32 s4, s3
	s_cbranch_execz .LBB22_26
; %bb.24:                               ;   in Loop: Header=BB22_9 Depth=1
	v_mov_b32_e32 v14, v0
	s_mov_b32 s3, 0
	s_mov_b32 s28, 0
.LBB22_25:                              ;   Parent Loop BB22_9 Depth=1
                                        ; =>  This Inner Loop Header: Depth=2
	s_delay_alu instid0(SALU_CYCLE_1)
	v_dual_mov_b32 v15, s20 :: v_dual_add_nc_u32 v16, s28, v9
	s_addk_i32 s28, 0x400
	ds_load_b32 v15, v15 offset:4
	ds_load_b32 v17, v16
	s_waitcnt lgkmcnt(0)
	v_dual_mul_f32 v15, v15, v17 :: v_dual_add_nc_u32 v14, 0x100, v14
	s_delay_alu instid0(VALU_DEP_1) | instskip(SKIP_2) | instid1(SALU_CYCLE_1)
	v_cmp_le_i32_e32 vcc_lo, s27, v14
	ds_store_b32 v16, v15
	s_or_b32 s3, vcc_lo, s3
	s_and_not1_b32 exec_lo, exec_lo, s3
	s_cbranch_execnz .LBB22_25
.LBB22_26:                              ;   in Loop: Header=BB22_9 Depth=1
	s_or_b32 exec_lo, exec_lo, s4
	s_not_b32 s3, s8
	s_mov_b32 s4, exec_lo
	s_add_i32 s3, s3, s13
	s_waitcnt lgkmcnt(0)
	s_barrier
	buffer_gl0_inv
	v_cmpx_gt_i32_e64 s3, v0
	s_cbranch_execz .LBB22_32
; %bb.27:                               ;   in Loop: Header=BB22_9 Depth=1
	v_dual_mov_b32 v14, v10 :: v_dual_mov_b32 v15, v0
	s_cmp_gt_i32 s25, 0
	s_mov_b32 s28, 0
	s_cselect_b32 s27, -1, 0
	s_set_inst_prefetch_distance 0x1
	s_branch .LBB22_29
	.p2align	6
.LBB22_28:                              ;   in Loop: Header=BB22_29 Depth=2
	v_dual_mov_b32 v17, s20 :: v_dual_add_nc_u32 v14, s23, v14
	v_lshl_add_u32 v18, v15, 2, s15
	ds_load_b32 v17, v17
	s_waitcnt lgkmcnt(0)
	v_dual_mul_f32 v16, v16, v17 :: v_dual_add_nc_u32 v15, 0x100, v15
	s_delay_alu instid0(VALU_DEP_1) | instskip(SKIP_2) | instid1(SALU_CYCLE_1)
	v_cmp_le_i32_e32 vcc_lo, s3, v15
	ds_store_b32 v18, v16
	s_or_b32 s28, vcc_lo, s28
	s_and_not1_b32 exec_lo, exec_lo, s28
	s_cbranch_execz .LBB22_32
.LBB22_29:                              ;   Parent Loop BB22_9 Depth=1
                                        ; =>  This Loop Header: Depth=2
                                        ;       Child Loop BB22_31 Depth 3
	v_mov_b32_e32 v16, 0
	s_and_not1_b32 vcc_lo, exec_lo, s27
	s_cbranch_vccnz .LBB22_28
; %bb.30:                               ;   in Loop: Header=BB22_29 Depth=2
	v_mov_b32_e32 v17, v14
	s_mov_b32 s29, 0
	s_mov_b32 s30, s24
.LBB22_31:                              ;   Parent Loop BB22_9 Depth=1
                                        ;     Parent Loop BB22_29 Depth=2
                                        ; =>    This Inner Loop Header: Depth=3
	s_delay_alu instid0(SALU_CYCLE_1)
	v_mov_b32_e32 v18, s30
	s_add_i32 s29, s29, 1
	s_add_i32 s30, s30, 4
	s_cmp_ge_i32 s29, s25
	ds_load_b32 v19, v17
	ds_load_b32 v18, v18
	s_waitcnt lgkmcnt(0)
	v_dual_fmac_f32 v16, v19, v18 :: v_dual_add_nc_u32 v17, 4, v17
	s_cbranch_scc0 .LBB22_31
	s_branch .LBB22_28
.LBB22_32:                              ;   in Loop: Header=BB22_9 Depth=1
	s_set_inst_prefetch_distance 0x2
	s_or_b32 exec_lo, exec_lo, s4
	s_delay_alu instid0(SALU_CYCLE_1)
	s_mov_b32 s4, exec_lo
	s_waitcnt lgkmcnt(0)
	s_barrier
	buffer_gl0_inv
	v_cmpx_gt_i32_e64 s25, v0
	s_cbranch_execz .LBB22_8
; %bb.33:                               ;   in Loop: Header=BB22_9 Depth=1
	v_dual_mov_b32 v14, v11 :: v_dual_mov_b32 v15, v0
	s_cmp_gt_i32 s3, 0
	s_mov_b32 s28, 0
	s_cselect_b32 s27, -1, 0
	s_set_inst_prefetch_distance 0x1
	s_branch .LBB22_35
	.p2align	6
.LBB22_34:                              ;   in Loop: Header=BB22_35 Depth=2
	v_add_nc_u32_e32 v15, 0x100, v15
	v_add_nc_u32_e32 v14, 0x400, v14
	s_delay_alu instid0(VALU_DEP_2) | instskip(SKIP_1) | instid1(SALU_CYCLE_1)
	v_cmp_le_i32_e32 vcc_lo, s25, v15
	s_or_b32 s28, vcc_lo, s28
	s_and_not1_b32 exec_lo, exec_lo, s28
	s_cbranch_execz .LBB22_8
.LBB22_35:                              ;   Parent Loop BB22_9 Depth=1
                                        ; =>  This Loop Header: Depth=2
                                        ;       Child Loop BB22_37 Depth 3
	s_and_not1_b32 vcc_lo, exec_lo, s27
	s_cbranch_vccnz .LBB22_34
; %bb.36:                               ;   in Loop: Header=BB22_35 Depth=2
	v_lshl_add_u32 v16, v15, 2, s26
	v_mov_b32_e32 v17, v14
	s_mov_b32 s29, 0
	s_mov_b32 s30, s15
	.p2align	6
.LBB22_37:                              ;   Parent Loop BB22_9 Depth=1
                                        ;     Parent Loop BB22_35 Depth=2
                                        ; =>    This Inner Loop Header: Depth=3
	s_delay_alu instid0(SALU_CYCLE_1)
	v_mov_b32_e32 v18, s30
	s_add_i32 s29, s29, 1
	s_add_i32 s30, s30, 4
	ds_load_b32 v19, v17
	ds_load_b32 v20, v16
	;; [unrolled: 1-line block ×3, first 2 shown]
	s_cmp_ge_i32 s29, s3
	s_waitcnt lgkmcnt(0)
	v_fma_f32 v18, -v20, v18, v19
	ds_store_b32 v17, v18
	v_add_nc_u32_e32 v17, s7, v17
	s_cbranch_scc0 .LBB22_37
	s_branch .LBB22_34
.LBB22_38:                              ;   in Loop: Header=BB22_9 Depth=1
	v_mov_b32_e32 v15, s20
	s_mov_b32 s29, 0
	s_and_b32 vcc_lo, exec_lo, s6
                                        ; implicit-def: $vgpr14
                                        ; implicit-def: $sgpr34
	ds_store_b32 v15, v13
	s_cbranch_vccz .LBB22_40
; %bb.39:                               ;   in Loop: Header=BB22_9 Depth=1
	v_mov_b32_e32 v14, s26
	s_mov_b32 s31, -1
	s_mov_b32 s34, 1.0
	ds_load_b32 v14, v14
.LBB22_40:                              ;   in Loop: Header=BB22_9 Depth=1
	s_mov_b32 s30, 1.0
	s_and_b32 s31, s31, exec_lo
                                        ; implicit-def: $vgpr16
	s_or_saveexec_b32 s33, s33
	v_mov_b32_e32 v15, s34
	s_xor_b32 exec_lo, exec_lo, s33
	s_cbranch_execz .LBB22_18
.LBB22_41:                              ;   in Loop: Header=BB22_9 Depth=1
	s_waitcnt lgkmcnt(0)
	v_mov_b32_e32 v14, s26
	s_and_not1_b32 s31, s31, exec_lo
	s_and_b32 s34, s6, exec_lo
	s_delay_alu instid0(SALU_CYCLE_1) | instskip(SKIP_3) | instid1(VALU_DEP_1)
	s_or_b32 s31, s31, s34
	ds_load_b32 v15, v14
	s_waitcnt lgkmcnt(0)
	v_fmac_f32_e32 v16, v15, v15
	v_mul_f32_e32 v14, 0x4f800000, v16
	v_cmp_gt_f32_e32 vcc_lo, 0xf800000, v16
	s_delay_alu instid0(VALU_DEP_2) | instskip(NEXT) | instid1(VALU_DEP_1)
	v_cndmask_b32_e32 v14, v16, v14, vcc_lo
	v_sqrt_f32_e32 v16, v14
	s_waitcnt_depctr 0xfff
	v_add_nc_u32_e32 v17, -1, v16
	v_add_nc_u32_e32 v18, 1, v16
	s_delay_alu instid0(VALU_DEP_2) | instskip(NEXT) | instid1(VALU_DEP_2)
	v_fma_f32 v19, -v17, v16, v14
	v_fma_f32 v20, -v18, v16, v14
	s_delay_alu instid0(VALU_DEP_2) | instskip(NEXT) | instid1(VALU_DEP_1)
	v_cmp_ge_f32_e64 s4, 0, v19
	v_cndmask_b32_e64 v16, v16, v17, s4
	s_delay_alu instid0(VALU_DEP_3) | instskip(NEXT) | instid1(VALU_DEP_1)
	v_cmp_lt_f32_e64 s4, 0, v20
	v_cndmask_b32_e64 v16, v16, v18, s4
	s_delay_alu instid0(VALU_DEP_1) | instskip(NEXT) | instid1(VALU_DEP_1)
	v_mul_f32_e32 v17, 0x37800000, v16
	v_cndmask_b32_e32 v16, v16, v17, vcc_lo
	v_cmp_class_f32_e64 vcc_lo, v14, 0x260
	s_delay_alu instid0(VALU_DEP_2) | instskip(SKIP_1) | instid1(VALU_DEP_2)
	v_cndmask_b32_e32 v14, v16, v14, vcc_lo
	v_cmp_le_f32_e32 vcc_lo, 0, v15
	v_cndmask_b32_e64 v14, v14, -v14, vcc_lo
	s_delay_alu instid0(VALU_DEP_1) | instskip(NEXT) | instid1(VALU_DEP_1)
	v_dual_sub_f32 v17, v14, v15 :: v_dual_sub_f32 v16, v15, v14
	v_div_scale_f32 v18, null, v14, v14, v17
	s_delay_alu instid0(VALU_DEP_2) | instskip(SKIP_1) | instid1(VALU_DEP_3)
	v_div_scale_f32 v15, null, v16, v16, 1.0
	v_div_scale_f32 v23, vcc_lo, 1.0, v16, 1.0
	v_rcp_f32_e32 v20, v18
	s_delay_alu instid0(VALU_DEP_2) | instskip(SKIP_3) | instid1(VALU_DEP_1)
	v_rcp_f32_e32 v19, v15
	s_waitcnt_depctr 0xfff
	v_fma_f32 v22, -v18, v20, 1.0
	v_fma_f32 v21, -v15, v19, 1.0
	v_dual_fmac_f32 v20, v22, v20 :: v_dual_fmac_f32 v19, v21, v19
	v_div_scale_f32 v21, s4, v17, v14, v17
	s_delay_alu instid0(VALU_DEP_2) | instskip(NEXT) | instid1(VALU_DEP_2)
	v_mul_f32_e32 v22, v23, v19
	v_mul_f32_e32 v24, v21, v20
	s_delay_alu instid0(VALU_DEP_2) | instskip(NEXT) | instid1(VALU_DEP_2)
	v_fma_f32 v25, -v15, v22, v23
	v_fma_f32 v26, -v18, v24, v21
	s_delay_alu instid0(VALU_DEP_2) | instskip(NEXT) | instid1(VALU_DEP_2)
	v_fmac_f32_e32 v22, v25, v19
	v_fmac_f32_e32 v24, v26, v20
	s_delay_alu instid0(VALU_DEP_2) | instskip(NEXT) | instid1(VALU_DEP_2)
	v_fma_f32 v15, -v15, v22, v23
	v_fma_f32 v18, -v18, v24, v21
	s_delay_alu instid0(VALU_DEP_2) | instskip(SKIP_2) | instid1(VALU_DEP_2)
	v_div_fmas_f32 v15, v15, v19, v22
	s_mov_b32 vcc_lo, s4
	s_and_b32 s4, s21, exec_lo
	v_div_fmas_f32 v18, v18, v20, v24
	s_delay_alu instid0(VALU_DEP_2) | instskip(NEXT) | instid1(VALU_DEP_2)
	v_div_fixup_f32 v15, v15, v16, 1.0
	v_div_fixup_f32 v16, v18, v14, v17
	v_mov_b32_e32 v17, s20
	ds_store_b32 v17, v16
	s_or_b32 exec_lo, exec_lo, s33
	s_and_saveexec_b32 s33, s31
	s_cbranch_execnz .LBB22_19
	s_branch .LBB22_20
.LBB22_42:
	s_and_saveexec_b32 s1, s0
	s_cbranch_execz .LBB22_48
; %bb.43:
	v_mul_lo_u32 v0, s12, v5
	v_mad_u64_u32 v[2:3], null, s16, v5, v[1:2]
	v_cmp_gt_i32_e32 vcc_lo, s13, v5
	s_lshl_b32 s2, s16, 1
	s_mov_b32 s3, 0
	s_lshl_b32 s4, s12, 3
	s_delay_alu instid0(VALU_DEP_3) | instskip(NEXT) | instid1(VALU_DEP_1)
	v_lshlrev_b32_e32 v0, 2, v0
	v_add3_u32 v0, v0, v6, 0
	s_set_inst_prefetch_distance 0x1
	s_branch .LBB22_45
	.p2align	6
.LBB22_44:                              ;   in Loop: Header=BB22_45 Depth=1
	s_or_b32 exec_lo, exec_lo, s6
	v_add_nc_u32_e32 v1, 0x80, v1
	v_add_nc_u32_e32 v2, 0x80, v2
	;; [unrolled: 1-line block ×3, first 2 shown]
	s_delay_alu instid0(VALU_DEP_3) | instskip(NEXT) | instid1(VALU_DEP_1)
	v_cmp_le_i32_e64 s0, s12, v1
	s_or_b32 s3, s0, s3
	s_delay_alu instid0(SALU_CYCLE_1)
	s_and_not1_b32 exec_lo, exec_lo, s3
	s_cbranch_execz .LBB22_48
.LBB22_45:                              ; =>This Loop Header: Depth=1
                                        ;     Child Loop BB22_47 Depth 2
	s_and_saveexec_b32 s6, vcc_lo
	s_cbranch_execz .LBB22_44
; %bb.46:                               ;   in Loop: Header=BB22_45 Depth=1
	v_dual_mov_b32 v6, v0 :: v_dual_mov_b32 v3, v2
	v_mov_b32_e32 v7, v5
	s_mov_b32 s7, 0
	.p2align	6
.LBB22_47:                              ;   Parent Loop BB22_45 Depth=1
                                        ; =>  This Inner Loop Header: Depth=2
	ds_load_b32 v10, v6
	v_ashrrev_i32_e32 v4, 31, v3
	v_add_nc_u32_e32 v7, 2, v7
	v_add_nc_u32_e32 v6, s4, v6
	s_delay_alu instid0(VALU_DEP_3) | instskip(NEXT) | instid1(VALU_DEP_3)
	v_lshlrev_b64 v[8:9], 2, v[3:4]
	v_cmp_le_i32_e64 s0, s13, v7
	v_add_nc_u32_e32 v3, s2, v3
	s_delay_alu instid0(VALU_DEP_2) | instskip(NEXT) | instid1(VALU_DEP_3)
	s_or_b32 s7, s0, s7
	v_add_co_u32 v8, s1, s5, v8
	s_delay_alu instid0(VALU_DEP_1)
	v_add_co_ci_u32_e64 v9, s1, s14, v9, s1
	s_waitcnt lgkmcnt(0)
	global_store_b32 v[8:9], v10, off
	s_and_not1_b32 exec_lo, exec_lo, s7
	s_cbranch_execnz .LBB22_47
	s_branch .LBB22_44
.LBB22_48:
	s_set_inst_prefetch_distance 0x2
	s_nop 0
	s_sendmsg sendmsg(MSG_DEALLOC_VGPRS)
	s_endpgm
	.section	.rodata,"a",@progbits
	.p2align	6, 0x0
	.amdhsa_kernel _ZN9rocsolver6v33100L18geqr2_kernel_smallILi256EfifPfEEvT1_S3_T3_lS3_lPT2_lPT0_l
		.amdhsa_group_segment_fixed_size 0
		.amdhsa_private_segment_fixed_size 0
		.amdhsa_kernarg_size 72
		.amdhsa_user_sgpr_count 14
		.amdhsa_user_sgpr_dispatch_ptr 0
		.amdhsa_user_sgpr_queue_ptr 0
		.amdhsa_user_sgpr_kernarg_segment_ptr 1
		.amdhsa_user_sgpr_dispatch_id 0
		.amdhsa_user_sgpr_private_segment_size 0
		.amdhsa_wavefront_size32 1
		.amdhsa_uses_dynamic_stack 0
		.amdhsa_enable_private_segment 0
		.amdhsa_system_sgpr_workgroup_id_x 1
		.amdhsa_system_sgpr_workgroup_id_y 0
		.amdhsa_system_sgpr_workgroup_id_z 1
		.amdhsa_system_sgpr_workgroup_info 0
		.amdhsa_system_vgpr_workitem_id 0
		.amdhsa_next_free_vgpr 27
		.amdhsa_next_free_sgpr 36
		.amdhsa_reserve_vcc 1
		.amdhsa_float_round_mode_32 0
		.amdhsa_float_round_mode_16_64 0
		.amdhsa_float_denorm_mode_32 3
		.amdhsa_float_denorm_mode_16_64 3
		.amdhsa_dx10_clamp 1
		.amdhsa_ieee_mode 1
		.amdhsa_fp16_overflow 0
		.amdhsa_workgroup_processor_mode 1
		.amdhsa_memory_ordered 1
		.amdhsa_forward_progress 0
		.amdhsa_shared_vgpr_count 0
		.amdhsa_exception_fp_ieee_invalid_op 0
		.amdhsa_exception_fp_denorm_src 0
		.amdhsa_exception_fp_ieee_div_zero 0
		.amdhsa_exception_fp_ieee_overflow 0
		.amdhsa_exception_fp_ieee_underflow 0
		.amdhsa_exception_fp_ieee_inexact 0
		.amdhsa_exception_int_div_zero 0
	.end_amdhsa_kernel
	.section	.text._ZN9rocsolver6v33100L18geqr2_kernel_smallILi256EfifPfEEvT1_S3_T3_lS3_lPT2_lPT0_l,"axG",@progbits,_ZN9rocsolver6v33100L18geqr2_kernel_smallILi256EfifPfEEvT1_S3_T3_lS3_lPT2_lPT0_l,comdat
.Lfunc_end22:
	.size	_ZN9rocsolver6v33100L18geqr2_kernel_smallILi256EfifPfEEvT1_S3_T3_lS3_lPT2_lPT0_l, .Lfunc_end22-_ZN9rocsolver6v33100L18geqr2_kernel_smallILi256EfifPfEEvT1_S3_T3_lS3_lPT2_lPT0_l
                                        ; -- End function
	.section	.AMDGPU.csdata,"",@progbits
; Kernel info:
; codeLenInByte = 2624
; NumSgprs: 38
; NumVgprs: 27
; ScratchSize: 0
; MemoryBound: 0
; FloatMode: 240
; IeeeMode: 1
; LDSByteSize: 0 bytes/workgroup (compile time only)
; SGPRBlocks: 4
; VGPRBlocks: 3
; NumSGPRsForWavesPerEU: 38
; NumVGPRsForWavesPerEU: 27
; Occupancy: 16
; WaveLimiterHint : 0
; COMPUTE_PGM_RSRC2:SCRATCH_EN: 0
; COMPUTE_PGM_RSRC2:USER_SGPR: 14
; COMPUTE_PGM_RSRC2:TRAP_HANDLER: 0
; COMPUTE_PGM_RSRC2:TGID_X_EN: 1
; COMPUTE_PGM_RSRC2:TGID_Y_EN: 0
; COMPUTE_PGM_RSRC2:TGID_Z_EN: 1
; COMPUTE_PGM_RSRC2:TIDIG_COMP_CNT: 0
	.section	.text._ZN9rocsolver6v33100L16reset_batch_infoIfiiPfEEvT2_lT0_T1_,"axG",@progbits,_ZN9rocsolver6v33100L16reset_batch_infoIfiiPfEEvT2_lT0_T1_,comdat
	.globl	_ZN9rocsolver6v33100L16reset_batch_infoIfiiPfEEvT2_lT0_T1_ ; -- Begin function _ZN9rocsolver6v33100L16reset_batch_infoIfiiPfEEvT2_lT0_T1_
	.p2align	8
	.type	_ZN9rocsolver6v33100L16reset_batch_infoIfiiPfEEvT2_lT0_T1_,@function
_ZN9rocsolver6v33100L16reset_batch_infoIfiiPfEEvT2_lT0_T1_: ; @_ZN9rocsolver6v33100L16reset_batch_infoIfiiPfEEvT2_lT0_T1_
; %bb.0:
	s_clause 0x1
	s_load_b32 s4, s[0:1], 0x24
	s_load_b64 s[2:3], s[0:1], 0x10
	s_waitcnt lgkmcnt(0)
	s_and_b32 s4, s4, 0xffff
	s_delay_alu instid0(SALU_CYCLE_1) | instskip(NEXT) | instid1(VALU_DEP_1)
	v_mad_u64_u32 v[1:2], null, s14, s4, v[0:1]
	v_cmp_gt_i32_e32 vcc_lo, s2, v1
	s_and_saveexec_b32 s2, vcc_lo
	s_cbranch_execz .LBB23_2
; %bb.1:
	s_load_b128 s[4:7], s[0:1], 0x0
	v_ashrrev_i32_e32 v2, 31, v1
	s_ashr_i32 s0, s15, 31
	s_delay_alu instid0(VALU_DEP_1)
	v_lshlrev_b64 v[0:1], 2, v[1:2]
	v_cvt_f32_i32_e32 v2, s3
	s_waitcnt lgkmcnt(0)
	s_mul_i32 s1, s15, s7
	s_mul_hi_u32 s2, s15, s6
	s_mul_i32 s7, s0, s6
	s_add_i32 s1, s2, s1
	s_mul_i32 s0, s15, s6
	s_add_i32 s1, s1, s7
	s_delay_alu instid0(SALU_CYCLE_1) | instskip(NEXT) | instid1(SALU_CYCLE_1)
	s_lshl_b64 s[0:1], s[0:1], 2
	s_add_u32 s0, s4, s0
	s_addc_u32 s1, s5, s1
	v_add_co_u32 v0, vcc_lo, s0, v0
	v_add_co_ci_u32_e32 v1, vcc_lo, s1, v1, vcc_lo
	global_store_b32 v[0:1], v2, off
.LBB23_2:
	s_nop 0
	s_sendmsg sendmsg(MSG_DEALLOC_VGPRS)
	s_endpgm
	.section	.rodata,"a",@progbits
	.p2align	6, 0x0
	.amdhsa_kernel _ZN9rocsolver6v33100L16reset_batch_infoIfiiPfEEvT2_lT0_T1_
		.amdhsa_group_segment_fixed_size 0
		.amdhsa_private_segment_fixed_size 0
		.amdhsa_kernarg_size 280
		.amdhsa_user_sgpr_count 14
		.amdhsa_user_sgpr_dispatch_ptr 0
		.amdhsa_user_sgpr_queue_ptr 0
		.amdhsa_user_sgpr_kernarg_segment_ptr 1
		.amdhsa_user_sgpr_dispatch_id 0
		.amdhsa_user_sgpr_private_segment_size 0
		.amdhsa_wavefront_size32 1
		.amdhsa_uses_dynamic_stack 0
		.amdhsa_enable_private_segment 0
		.amdhsa_system_sgpr_workgroup_id_x 1
		.amdhsa_system_sgpr_workgroup_id_y 1
		.amdhsa_system_sgpr_workgroup_id_z 0
		.amdhsa_system_sgpr_workgroup_info 0
		.amdhsa_system_vgpr_workitem_id 0
		.amdhsa_next_free_vgpr 3
		.amdhsa_next_free_sgpr 16
		.amdhsa_reserve_vcc 1
		.amdhsa_float_round_mode_32 0
		.amdhsa_float_round_mode_16_64 0
		.amdhsa_float_denorm_mode_32 3
		.amdhsa_float_denorm_mode_16_64 3
		.amdhsa_dx10_clamp 1
		.amdhsa_ieee_mode 1
		.amdhsa_fp16_overflow 0
		.amdhsa_workgroup_processor_mode 1
		.amdhsa_memory_ordered 1
		.amdhsa_forward_progress 0
		.amdhsa_shared_vgpr_count 0
		.amdhsa_exception_fp_ieee_invalid_op 0
		.amdhsa_exception_fp_denorm_src 0
		.amdhsa_exception_fp_ieee_div_zero 0
		.amdhsa_exception_fp_ieee_overflow 0
		.amdhsa_exception_fp_ieee_underflow 0
		.amdhsa_exception_fp_ieee_inexact 0
		.amdhsa_exception_int_div_zero 0
	.end_amdhsa_kernel
	.section	.text._ZN9rocsolver6v33100L16reset_batch_infoIfiiPfEEvT2_lT0_T1_,"axG",@progbits,_ZN9rocsolver6v33100L16reset_batch_infoIfiiPfEEvT2_lT0_T1_,comdat
.Lfunc_end23:
	.size	_ZN9rocsolver6v33100L16reset_batch_infoIfiiPfEEvT2_lT0_T1_, .Lfunc_end23-_ZN9rocsolver6v33100L16reset_batch_infoIfiiPfEEvT2_lT0_T1_
                                        ; -- End function
	.section	.AMDGPU.csdata,"",@progbits
; Kernel info:
; codeLenInByte = 164
; NumSgprs: 18
; NumVgprs: 3
; ScratchSize: 0
; MemoryBound: 0
; FloatMode: 240
; IeeeMode: 1
; LDSByteSize: 0 bytes/workgroup (compile time only)
; SGPRBlocks: 2
; VGPRBlocks: 0
; NumSGPRsForWavesPerEU: 18
; NumVGPRsForWavesPerEU: 3
; Occupancy: 16
; WaveLimiterHint : 0
; COMPUTE_PGM_RSRC2:SCRATCH_EN: 0
; COMPUTE_PGM_RSRC2:USER_SGPR: 14
; COMPUTE_PGM_RSRC2:TRAP_HANDLER: 0
; COMPUTE_PGM_RSRC2:TGID_X_EN: 1
; COMPUTE_PGM_RSRC2:TGID_Y_EN: 1
; COMPUTE_PGM_RSRC2:TGID_Z_EN: 0
; COMPUTE_PGM_RSRC2:TIDIG_COMP_CNT: 0
	.section	.text._ZN9rocsolver6v33100L8set_diagIfifPfTnNSt9enable_ifIXoont18rocblas_is_complexIT_E18rocblas_is_complexIT1_EEiE4typeELi0EEEvPS5_llT2_lT0_lSA_b,"axG",@progbits,_ZN9rocsolver6v33100L8set_diagIfifPfTnNSt9enable_ifIXoont18rocblas_is_complexIT_E18rocblas_is_complexIT1_EEiE4typeELi0EEEvPS5_llT2_lT0_lSA_b,comdat
	.globl	_ZN9rocsolver6v33100L8set_diagIfifPfTnNSt9enable_ifIXoont18rocblas_is_complexIT_E18rocblas_is_complexIT1_EEiE4typeELi0EEEvPS5_llT2_lT0_lSA_b ; -- Begin function _ZN9rocsolver6v33100L8set_diagIfifPfTnNSt9enable_ifIXoont18rocblas_is_complexIT_E18rocblas_is_complexIT1_EEiE4typeELi0EEEvPS5_llT2_lT0_lSA_b
	.p2align	8
	.type	_ZN9rocsolver6v33100L8set_diagIfifPfTnNSt9enable_ifIXoont18rocblas_is_complexIT_E18rocblas_is_complexIT1_EEiE4typeELi0EEEvPS5_llT2_lT0_lSA_b,@function
_ZN9rocsolver6v33100L8set_diagIfifPfTnNSt9enable_ifIXoont18rocblas_is_complexIT_E18rocblas_is_complexIT1_EEiE4typeELi0EEEvPS5_llT2_lT0_lSA_b: ; @_ZN9rocsolver6v33100L8set_diagIfifPfTnNSt9enable_ifIXoont18rocblas_is_complexIT_E18rocblas_is_complexIT1_EEiE4typeELi0EEEvPS5_llT2_lT0_lSA_b
; %bb.0:
	s_clause 0x1
	s_load_b32 s4, s[0:1], 0x4c
	s_load_b64 s[2:3], s[0:1], 0x38
	v_bfe_u32 v2, v0, 10, 10
	s_waitcnt lgkmcnt(0)
	s_lshr_b32 s4, s4, 16
	s_delay_alu instid0(VALU_DEP_1) | instid1(SALU_CYCLE_1)
	v_mad_u64_u32 v[0:1], null, s15, s4, v[2:3]
	s_delay_alu instid0(VALU_DEP_1)
	v_cmp_gt_i32_e32 vcc_lo, s2, v0
	s_and_saveexec_b32 s2, vcc_lo
	s_cbranch_execz .LBB24_2
; %bb.1:
	s_clause 0x3
	s_load_b32 s2, s[0:1], 0x28
	s_load_b64 s[12:13], s[0:1], 0x30
	s_load_b256 s[4:11], s[0:1], 0x0
	s_load_b64 s[0:1], s[0:1], 0x20
	s_bitcmp1_b32 s3, 0
	s_cselect_b32 s15, -1, 0
	s_ashr_i32 s16, s14, 31
	s_waitcnt lgkmcnt(0)
	v_mad_u64_u32 v[1:2], null, v0, s2, v[0:1]
	s_mul_i32 s2, s14, s13
	s_mul_hi_u32 s3, s14, s12
	s_mul_i32 s13, s16, s12
	s_add_i32 s3, s3, s2
	s_mul_i32 s2, s14, s12
	s_add_i32 s3, s3, s13
	s_delay_alu instid0(VALU_DEP_1)
	v_ashrrev_i32_e32 v2, 31, v1
	s_lshl_b64 s[2:3], s[2:3], 2
	s_mul_i32 s16, s16, s8
	s_add_u32 s2, s10, s2
	s_addc_u32 s3, s11, s3
	v_lshlrev_b64 v[1:2], 2, v[1:2]
	s_lshl_b64 s[0:1], s[0:1], 2
	s_delay_alu instid0(SALU_CYCLE_1) | instskip(SKIP_1) | instid1(VALU_DEP_1)
	s_add_u32 s0, s2, s0
	s_addc_u32 s1, s3, s1
	v_add_co_u32 v3, vcc_lo, s0, v1
	s_delay_alu instid0(VALU_DEP_2)
	v_add_co_ci_u32_e32 v4, vcc_lo, s1, v2, vcc_lo
	s_mul_i32 s0, s14, s9
	s_mul_hi_u32 s1, s14, s8
	v_ashrrev_i32_e32 v1, 31, v0
	global_load_b32 v2, v[3:4], off
	s_add_i32 s0, s1, s0
	s_delay_alu instid0(SALU_CYCLE_1) | instskip(SKIP_3) | instid1(SALU_CYCLE_1)
	s_add_i32 s1, s0, s16
	s_mul_i32 s0, s14, s8
	v_lshlrev_b64 v[0:1], 2, v[0:1]
	s_lshl_b64 s[0:1], s[0:1], 2
	s_add_u32 s2, s4, s0
	s_addc_u32 s3, s5, s1
	s_lshl_b64 s[0:1], s[6:7], 2
	s_delay_alu instid0(SALU_CYCLE_1)
	s_add_u32 s0, s2, s0
	s_addc_u32 s1, s3, s1
	v_add_co_u32 v0, vcc_lo, s0, v0
	v_add_co_ci_u32_e32 v1, vcc_lo, s1, v1, vcc_lo
	s_waitcnt vmcnt(0)
	v_cndmask_b32_e64 v5, v2, 1.0, s15
	global_store_b32 v[0:1], v2, off
	global_store_b32 v[3:4], v5, off
.LBB24_2:
	s_nop 0
	s_sendmsg sendmsg(MSG_DEALLOC_VGPRS)
	s_endpgm
	.section	.rodata,"a",@progbits
	.p2align	6, 0x0
	.amdhsa_kernel _ZN9rocsolver6v33100L8set_diagIfifPfTnNSt9enable_ifIXoont18rocblas_is_complexIT_E18rocblas_is_complexIT1_EEiE4typeELi0EEEvPS5_llT2_lT0_lSA_b
		.amdhsa_group_segment_fixed_size 0
		.amdhsa_private_segment_fixed_size 0
		.amdhsa_kernarg_size 320
		.amdhsa_user_sgpr_count 14
		.amdhsa_user_sgpr_dispatch_ptr 0
		.amdhsa_user_sgpr_queue_ptr 0
		.amdhsa_user_sgpr_kernarg_segment_ptr 1
		.amdhsa_user_sgpr_dispatch_id 0
		.amdhsa_user_sgpr_private_segment_size 0
		.amdhsa_wavefront_size32 1
		.amdhsa_uses_dynamic_stack 0
		.amdhsa_enable_private_segment 0
		.amdhsa_system_sgpr_workgroup_id_x 1
		.amdhsa_system_sgpr_workgroup_id_y 1
		.amdhsa_system_sgpr_workgroup_id_z 0
		.amdhsa_system_sgpr_workgroup_info 0
		.amdhsa_system_vgpr_workitem_id 1
		.amdhsa_next_free_vgpr 6
		.amdhsa_next_free_sgpr 17
		.amdhsa_reserve_vcc 1
		.amdhsa_float_round_mode_32 0
		.amdhsa_float_round_mode_16_64 0
		.amdhsa_float_denorm_mode_32 3
		.amdhsa_float_denorm_mode_16_64 3
		.amdhsa_dx10_clamp 1
		.amdhsa_ieee_mode 1
		.amdhsa_fp16_overflow 0
		.amdhsa_workgroup_processor_mode 1
		.amdhsa_memory_ordered 1
		.amdhsa_forward_progress 0
		.amdhsa_shared_vgpr_count 0
		.amdhsa_exception_fp_ieee_invalid_op 0
		.amdhsa_exception_fp_denorm_src 0
		.amdhsa_exception_fp_ieee_div_zero 0
		.amdhsa_exception_fp_ieee_overflow 0
		.amdhsa_exception_fp_ieee_underflow 0
		.amdhsa_exception_fp_ieee_inexact 0
		.amdhsa_exception_int_div_zero 0
	.end_amdhsa_kernel
	.section	.text._ZN9rocsolver6v33100L8set_diagIfifPfTnNSt9enable_ifIXoont18rocblas_is_complexIT_E18rocblas_is_complexIT1_EEiE4typeELi0EEEvPS5_llT2_lT0_lSA_b,"axG",@progbits,_ZN9rocsolver6v33100L8set_diagIfifPfTnNSt9enable_ifIXoont18rocblas_is_complexIT_E18rocblas_is_complexIT1_EEiE4typeELi0EEEvPS5_llT2_lT0_lSA_b,comdat
.Lfunc_end24:
	.size	_ZN9rocsolver6v33100L8set_diagIfifPfTnNSt9enable_ifIXoont18rocblas_is_complexIT_E18rocblas_is_complexIT1_EEiE4typeELi0EEEvPS5_llT2_lT0_lSA_b, .Lfunc_end24-_ZN9rocsolver6v33100L8set_diagIfifPfTnNSt9enable_ifIXoont18rocblas_is_complexIT_E18rocblas_is_complexIT1_EEiE4typeELi0EEEvPS5_llT2_lT0_lSA_b
                                        ; -- End function
	.section	.AMDGPU.csdata,"",@progbits
; Kernel info:
; codeLenInByte = 336
; NumSgprs: 19
; NumVgprs: 6
; ScratchSize: 0
; MemoryBound: 0
; FloatMode: 240
; IeeeMode: 1
; LDSByteSize: 0 bytes/workgroup (compile time only)
; SGPRBlocks: 2
; VGPRBlocks: 0
; NumSGPRsForWavesPerEU: 19
; NumVGPRsForWavesPerEU: 6
; Occupancy: 16
; WaveLimiterHint : 0
; COMPUTE_PGM_RSRC2:SCRATCH_EN: 0
; COMPUTE_PGM_RSRC2:USER_SGPR: 14
; COMPUTE_PGM_RSRC2:TRAP_HANDLER: 0
; COMPUTE_PGM_RSRC2:TGID_X_EN: 1
; COMPUTE_PGM_RSRC2:TGID_Y_EN: 1
; COMPUTE_PGM_RSRC2:TGID_Z_EN: 0
; COMPUTE_PGM_RSRC2:TIDIG_COMP_CNT: 1
	.section	.text._ZN9rocsolver6v33100L11set_taubetaIfifPfEEvPT_lS4_T2_llPT1_ll,"axG",@progbits,_ZN9rocsolver6v33100L11set_taubetaIfifPfEEvPT_lS4_T2_llPT1_ll,comdat
	.globl	_ZN9rocsolver6v33100L11set_taubetaIfifPfEEvPT_lS4_T2_llPT1_ll ; -- Begin function _ZN9rocsolver6v33100L11set_taubetaIfifPfEEvPT_lS4_T2_llPT1_ll
	.p2align	8
	.type	_ZN9rocsolver6v33100L11set_taubetaIfifPfEEvPT_lS4_T2_llPT1_ll,@function
_ZN9rocsolver6v33100L11set_taubetaIfifPfEEvPT_lS4_T2_llPT1_ll: ; @_ZN9rocsolver6v33100L11set_taubetaIfifPfEEvPT_lS4_T2_llPT1_ll
; %bb.0:
	s_mov_b32 s20, s15
	s_load_b512 s[4:19], s[0:1], 0x0
	s_ashr_i32 s21, s20, 31
	s_mov_b64 s[2:3], 0
	s_waitcnt lgkmcnt(0)
	s_cmp_eq_u64 s[16:17], 0
	s_cbranch_scc1 .LBB25_2
; %bb.1:
	s_load_b64 s[0:1], s[0:1], 0x40
	s_waitcnt lgkmcnt(0)
	s_mul_i32 s1, s20, s1
	s_mul_hi_u32 s2, s20, s0
	s_mul_i32 s3, s21, s0
	s_add_i32 s1, s2, s1
	s_mul_i32 s0, s20, s0
	s_add_i32 s1, s1, s3
	s_delay_alu instid0(SALU_CYCLE_1) | instskip(NEXT) | instid1(SALU_CYCLE_1)
	s_lshl_b64 s[0:1], s[0:1], 2
	s_add_u32 s2, s16, s0
	s_addc_u32 s3, s17, s1
	s_lshl_b64 s[0:1], s[18:19], 2
	s_delay_alu instid0(SALU_CYCLE_1)
	s_add_u32 s2, s2, s0
	s_addc_u32 s3, s3, s1
.LBB25_2:
	s_mul_i32 s0, s20, s15
	s_mul_hi_u32 s1, s20, s14
	s_mul_i32 s15, s21, s14
	s_add_i32 s1, s1, s0
	s_mul_i32 s0, s20, s14
	s_add_i32 s1, s1, s15
	s_mul_i32 s7, s20, s7
	s_lshl_b64 s[0:1], s[0:1], 2
	s_delay_alu instid0(SALU_CYCLE_1) | instskip(SKIP_2) | instid1(SALU_CYCLE_1)
	s_add_u32 s10, s10, s0
	s_addc_u32 s11, s11, s1
	s_lshl_b64 s[0:1], s[12:13], 2
	s_add_u32 s10, s10, s0
	s_mul_hi_u32 s0, s20, s6
	s_addc_u32 s11, s11, s1
	s_add_i32 s0, s0, s7
	s_mul_i32 s1, s21, s6
	s_delay_alu instid0(SALU_CYCLE_1) | instskip(SKIP_1) | instid1(SALU_CYCLE_1)
	s_add_i32 s1, s0, s1
	s_mul_i32 s0, s20, s6
	s_lshl_b64 s[0:1], s[0:1], 2
	s_delay_alu instid0(SALU_CYCLE_1) | instskip(SKIP_2) | instid1(SALU_CYCLE_1)
	s_add_u32 s4, s4, s0
	s_addc_u32 s5, s5, s1
	s_lshl_b64 s[0:1], s[20:21], 2
	s_add_u32 s6, s8, s0
	s_addc_u32 s7, s9, s1
	s_cmp_eq_u64 s[2:3], 0
	s_load_b32 s9, s[6:7], 0x0
	s_cselect_b32 s1, -1, 0
	s_cmp_lg_u64 s[2:3], 0
	s_cselect_b32 s8, -1, 0
	s_waitcnt lgkmcnt(0)
	v_cmp_ngt_f32_e64 s0, s9, 0
	s_delay_alu instid0(VALU_DEP_1)
	s_and_b32 vcc_lo, exec_lo, s0
	s_mov_b32 s0, 0
	s_cbranch_vccz .LBB25_5
; %bb.3:
	v_dual_mov_b32 v1, 1.0 :: v_dual_mov_b32 v0, 0
	s_mov_b32 s13, 0
	s_and_b32 vcc_lo, exec_lo, s8
	s_clause 0x1
	global_store_b32 v0, v1, s[6:7]
	global_store_b32 v0, v0, s[4:5]
	s_cbranch_vccz .LBB25_6
; %bb.4:
	global_load_b32 v0, v0, s[10:11]
	s_mov_b32 s12, -1
	s_and_b32 vcc_lo, exec_lo, s13
	s_cbranch_vccnz .LBB25_7
	s_branch .LBB25_8
.LBB25_5:
	s_mov_b32 s13, -1
.LBB25_6:
	s_mov_b32 s12, 0
                                        ; implicit-def: $vgpr0
	s_and_b32 vcc_lo, exec_lo, s13
	s_cbranch_vccz .LBB25_8
.LBB25_7:
	s_load_b32 s12, s[10:11], 0x0
	s_waitcnt vmcnt(0) lgkmcnt(0)
	v_fma_f32 v0, s12, s12, s9
	s_delay_alu instid0(VALU_DEP_1) | instskip(SKIP_1) | instid1(VALU_DEP_2)
	v_mul_f32_e32 v1, 0x4f800000, v0
	v_cmp_gt_f32_e32 vcc_lo, 0xf800000, v0
	v_cndmask_b32_e32 v0, v0, v1, vcc_lo
	s_delay_alu instid0(VALU_DEP_1) | instskip(SKIP_3) | instid1(VALU_DEP_2)
	v_sqrt_f32_e32 v1, v0
	s_waitcnt_depctr 0xfff
	v_add_nc_u32_e32 v2, -1, v1
	v_add_nc_u32_e32 v3, 1, v1
	v_fma_f32 v4, -v2, v1, v0
	s_delay_alu instid0(VALU_DEP_2) | instskip(NEXT) | instid1(VALU_DEP_2)
	v_fma_f32 v5, -v3, v1, v0
	v_cmp_ge_f32_e64 s0, 0, v4
	s_delay_alu instid0(VALU_DEP_1) | instskip(NEXT) | instid1(VALU_DEP_3)
	v_cndmask_b32_e64 v1, v1, v2, s0
	v_cmp_lt_f32_e64 s0, 0, v5
	s_delay_alu instid0(VALU_DEP_1) | instskip(SKIP_1) | instid1(VALU_DEP_2)
	v_cndmask_b32_e64 v1, v1, v3, s0
	v_cmp_ge_f32_e64 s0, s12, 0
	v_mul_f32_e32 v2, 0x37800000, v1
	s_delay_alu instid0(VALU_DEP_1) | instskip(SKIP_1) | instid1(VALU_DEP_2)
	v_cndmask_b32_e32 v1, v1, v2, vcc_lo
	v_cmp_class_f32_e64 vcc_lo, v0, 0x260
	v_cndmask_b32_e32 v0, v1, v0, vcc_lo
	s_delay_alu instid0(VALU_DEP_1) | instskip(SKIP_1) | instid1(VALU_DEP_1)
	v_cndmask_b32_e64 v0, v0, -v0, s0
	s_mov_b32 s0, s1
	v_sub_f32_e32 v1, s12, v0
	s_mov_b32 s12, s8
	s_delay_alu instid0(VALU_DEP_1) | instskip(SKIP_1) | instid1(VALU_DEP_2)
	v_div_scale_f32 v2, null, v1, v1, 1.0
	v_div_scale_f32 v5, vcc_lo, 1.0, v1, 1.0
	v_rcp_f32_e32 v3, v2
	s_waitcnt_depctr 0xfff
	v_fma_f32 v4, -v2, v3, 1.0
	s_delay_alu instid0(VALU_DEP_1) | instskip(NEXT) | instid1(VALU_DEP_1)
	v_fmac_f32_e32 v3, v4, v3
	v_mul_f32_e32 v4, v5, v3
	s_delay_alu instid0(VALU_DEP_1) | instskip(NEXT) | instid1(VALU_DEP_1)
	v_fma_f32 v6, -v2, v4, v5
	v_fmac_f32_e32 v4, v6, v3
	s_delay_alu instid0(VALU_DEP_1) | instskip(NEXT) | instid1(VALU_DEP_1)
	v_fma_f32 v2, -v2, v4, v5
	v_div_fmas_f32 v2, v2, v3, v4
	v_mov_b32_e32 v3, 0
	s_delay_alu instid0(VALU_DEP_2) | instskip(SKIP_4) | instid1(VALU_DEP_1)
	v_div_fixup_f32 v1, v2, v1, 1.0
	global_store_b32 v3, v1, s[6:7]
	global_load_b32 v1, v3, s[10:11]
	s_waitcnt vmcnt(0)
	v_sub_f32_e32 v1, v0, v1
	v_div_scale_f32 v2, null, v0, v0, v1
	s_delay_alu instid0(VALU_DEP_1) | instskip(SKIP_2) | instid1(VALU_DEP_1)
	v_rcp_f32_e32 v4, v2
	s_waitcnt_depctr 0xfff
	v_fma_f32 v5, -v2, v4, 1.0
	v_fmac_f32_e32 v4, v5, v4
	v_div_scale_f32 v5, vcc_lo, v1, v0, v1
	s_delay_alu instid0(VALU_DEP_1) | instskip(NEXT) | instid1(VALU_DEP_1)
	v_mul_f32_e32 v6, v5, v4
	v_fma_f32 v7, -v2, v6, v5
	s_delay_alu instid0(VALU_DEP_1) | instskip(NEXT) | instid1(VALU_DEP_1)
	v_fmac_f32_e32 v6, v7, v4
	v_fma_f32 v2, -v2, v6, v5
	s_delay_alu instid0(VALU_DEP_1) | instskip(NEXT) | instid1(VALU_DEP_1)
	v_div_fmas_f32 v2, v2, v4, v6
	v_div_fixup_f32 v1, v2, v0, v1
	global_store_b32 v3, v1, s[4:5]
.LBB25_8:
	s_and_not1_b32 vcc_lo, exec_lo, s12
	s_cbranch_vccz .LBB25_11
; %bb.9:
	s_and_not1_b32 vcc_lo, exec_lo, s0
	s_cbranch_vccz .LBB25_12
; %bb.10:
	s_endpgm
.LBB25_11:
	v_dual_mov_b32 v1, s2 :: v_dual_mov_b32 v2, s3
	s_waitcnt vmcnt(0)
	flat_store_b32 v[1:2], v0
	v_mov_b32_e32 v0, 1.0
.LBB25_12:
	v_mov_b32_e32 v1, 0
	s_waitcnt vmcnt(0) lgkmcnt(0)
	global_store_b32 v1, v0, s[10:11]
	s_endpgm
	.section	.rodata,"a",@progbits
	.p2align	6, 0x0
	.amdhsa_kernel _ZN9rocsolver6v33100L11set_taubetaIfifPfEEvPT_lS4_T2_llPT1_ll
		.amdhsa_group_segment_fixed_size 0
		.amdhsa_private_segment_fixed_size 0
		.amdhsa_kernarg_size 72
		.amdhsa_user_sgpr_count 15
		.amdhsa_user_sgpr_dispatch_ptr 0
		.amdhsa_user_sgpr_queue_ptr 0
		.amdhsa_user_sgpr_kernarg_segment_ptr 1
		.amdhsa_user_sgpr_dispatch_id 0
		.amdhsa_user_sgpr_private_segment_size 0
		.amdhsa_wavefront_size32 1
		.amdhsa_uses_dynamic_stack 0
		.amdhsa_enable_private_segment 0
		.amdhsa_system_sgpr_workgroup_id_x 1
		.amdhsa_system_sgpr_workgroup_id_y 0
		.amdhsa_system_sgpr_workgroup_id_z 0
		.amdhsa_system_sgpr_workgroup_info 0
		.amdhsa_system_vgpr_workitem_id 0
		.amdhsa_next_free_vgpr 8
		.amdhsa_next_free_sgpr 22
		.amdhsa_reserve_vcc 1
		.amdhsa_float_round_mode_32 0
		.amdhsa_float_round_mode_16_64 0
		.amdhsa_float_denorm_mode_32 3
		.amdhsa_float_denorm_mode_16_64 3
		.amdhsa_dx10_clamp 1
		.amdhsa_ieee_mode 1
		.amdhsa_fp16_overflow 0
		.amdhsa_workgroup_processor_mode 1
		.amdhsa_memory_ordered 1
		.amdhsa_forward_progress 0
		.amdhsa_shared_vgpr_count 0
		.amdhsa_exception_fp_ieee_invalid_op 0
		.amdhsa_exception_fp_denorm_src 0
		.amdhsa_exception_fp_ieee_div_zero 0
		.amdhsa_exception_fp_ieee_overflow 0
		.amdhsa_exception_fp_ieee_underflow 0
		.amdhsa_exception_fp_ieee_inexact 0
		.amdhsa_exception_int_div_zero 0
	.end_amdhsa_kernel
	.section	.text._ZN9rocsolver6v33100L11set_taubetaIfifPfEEvPT_lS4_T2_llPT1_ll,"axG",@progbits,_ZN9rocsolver6v33100L11set_taubetaIfifPfEEvPT_lS4_T2_llPT1_ll,comdat
.Lfunc_end25:
	.size	_ZN9rocsolver6v33100L11set_taubetaIfifPfEEvPT_lS4_T2_llPT1_ll, .Lfunc_end25-_ZN9rocsolver6v33100L11set_taubetaIfifPfEEvPT_lS4_T2_llPT1_ll
                                        ; -- End function
	.section	.AMDGPU.csdata,"",@progbits
; Kernel info:
; codeLenInByte = 816
; NumSgprs: 24
; NumVgprs: 8
; ScratchSize: 0
; MemoryBound: 0
; FloatMode: 240
; IeeeMode: 1
; LDSByteSize: 0 bytes/workgroup (compile time only)
; SGPRBlocks: 2
; VGPRBlocks: 0
; NumSGPRsForWavesPerEU: 24
; NumVGPRsForWavesPerEU: 8
; Occupancy: 16
; WaveLimiterHint : 0
; COMPUTE_PGM_RSRC2:SCRATCH_EN: 0
; COMPUTE_PGM_RSRC2:USER_SGPR: 15
; COMPUTE_PGM_RSRC2:TRAP_HANDLER: 0
; COMPUTE_PGM_RSRC2:TGID_X_EN: 1
; COMPUTE_PGM_RSRC2:TGID_Y_EN: 0
; COMPUTE_PGM_RSRC2:TGID_Z_EN: 0
; COMPUTE_PGM_RSRC2:TIDIG_COMP_CNT: 0
	.section	.text._ZN9rocsolver6v33100L13conj_in_placeIfiPfTnNSt9enable_ifIXnt18rocblas_is_complexIT_EEiE4typeELi0EEEvT0_S7_T1_lS7_l,"axG",@progbits,_ZN9rocsolver6v33100L13conj_in_placeIfiPfTnNSt9enable_ifIXnt18rocblas_is_complexIT_EEiE4typeELi0EEEvT0_S7_T1_lS7_l,comdat
	.globl	_ZN9rocsolver6v33100L13conj_in_placeIfiPfTnNSt9enable_ifIXnt18rocblas_is_complexIT_EEiE4typeELi0EEEvT0_S7_T1_lS7_l ; -- Begin function _ZN9rocsolver6v33100L13conj_in_placeIfiPfTnNSt9enable_ifIXnt18rocblas_is_complexIT_EEiE4typeELi0EEEvT0_S7_T1_lS7_l
	.p2align	8
	.type	_ZN9rocsolver6v33100L13conj_in_placeIfiPfTnNSt9enable_ifIXnt18rocblas_is_complexIT_EEiE4typeELi0EEEvT0_S7_T1_lS7_l,@function
_ZN9rocsolver6v33100L13conj_in_placeIfiPfTnNSt9enable_ifIXnt18rocblas_is_complexIT_EEiE4typeELi0EEEvT0_S7_T1_lS7_l: ; @_ZN9rocsolver6v33100L13conj_in_placeIfiPfTnNSt9enable_ifIXnt18rocblas_is_complexIT_EEiE4typeELi0EEEvT0_S7_T1_lS7_l
; %bb.0:
	s_endpgm
	.section	.rodata,"a",@progbits
	.p2align	6, 0x0
	.amdhsa_kernel _ZN9rocsolver6v33100L13conj_in_placeIfiPfTnNSt9enable_ifIXnt18rocblas_is_complexIT_EEiE4typeELi0EEEvT0_S7_T1_lS7_l
		.amdhsa_group_segment_fixed_size 0
		.amdhsa_private_segment_fixed_size 0
		.amdhsa_kernarg_size 40
		.amdhsa_user_sgpr_count 15
		.amdhsa_user_sgpr_dispatch_ptr 0
		.amdhsa_user_sgpr_queue_ptr 0
		.amdhsa_user_sgpr_kernarg_segment_ptr 1
		.amdhsa_user_sgpr_dispatch_id 0
		.amdhsa_user_sgpr_private_segment_size 0
		.amdhsa_wavefront_size32 1
		.amdhsa_uses_dynamic_stack 0
		.amdhsa_enable_private_segment 0
		.amdhsa_system_sgpr_workgroup_id_x 1
		.amdhsa_system_sgpr_workgroup_id_y 0
		.amdhsa_system_sgpr_workgroup_id_z 0
		.amdhsa_system_sgpr_workgroup_info 0
		.amdhsa_system_vgpr_workitem_id 0
		.amdhsa_next_free_vgpr 1
		.amdhsa_next_free_sgpr 1
		.amdhsa_reserve_vcc 0
		.amdhsa_float_round_mode_32 0
		.amdhsa_float_round_mode_16_64 0
		.amdhsa_float_denorm_mode_32 3
		.amdhsa_float_denorm_mode_16_64 3
		.amdhsa_dx10_clamp 1
		.amdhsa_ieee_mode 1
		.amdhsa_fp16_overflow 0
		.amdhsa_workgroup_processor_mode 1
		.amdhsa_memory_ordered 1
		.amdhsa_forward_progress 0
		.amdhsa_shared_vgpr_count 0
		.amdhsa_exception_fp_ieee_invalid_op 0
		.amdhsa_exception_fp_denorm_src 0
		.amdhsa_exception_fp_ieee_div_zero 0
		.amdhsa_exception_fp_ieee_overflow 0
		.amdhsa_exception_fp_ieee_underflow 0
		.amdhsa_exception_fp_ieee_inexact 0
		.amdhsa_exception_int_div_zero 0
	.end_amdhsa_kernel
	.section	.text._ZN9rocsolver6v33100L13conj_in_placeIfiPfTnNSt9enable_ifIXnt18rocblas_is_complexIT_EEiE4typeELi0EEEvT0_S7_T1_lS7_l,"axG",@progbits,_ZN9rocsolver6v33100L13conj_in_placeIfiPfTnNSt9enable_ifIXnt18rocblas_is_complexIT_EEiE4typeELi0EEEvT0_S7_T1_lS7_l,comdat
.Lfunc_end26:
	.size	_ZN9rocsolver6v33100L13conj_in_placeIfiPfTnNSt9enable_ifIXnt18rocblas_is_complexIT_EEiE4typeELi0EEEvT0_S7_T1_lS7_l, .Lfunc_end26-_ZN9rocsolver6v33100L13conj_in_placeIfiPfTnNSt9enable_ifIXnt18rocblas_is_complexIT_EEiE4typeELi0EEEvT0_S7_T1_lS7_l
                                        ; -- End function
	.section	.AMDGPU.csdata,"",@progbits
; Kernel info:
; codeLenInByte = 4
; NumSgprs: 0
; NumVgprs: 0
; ScratchSize: 0
; MemoryBound: 0
; FloatMode: 240
; IeeeMode: 1
; LDSByteSize: 0 bytes/workgroup (compile time only)
; SGPRBlocks: 0
; VGPRBlocks: 0
; NumSGPRsForWavesPerEU: 1
; NumVGPRsForWavesPerEU: 1
; Occupancy: 16
; WaveLimiterHint : 0
; COMPUTE_PGM_RSRC2:SCRATCH_EN: 0
; COMPUTE_PGM_RSRC2:USER_SGPR: 15
; COMPUTE_PGM_RSRC2:TRAP_HANDLER: 0
; COMPUTE_PGM_RSRC2:TGID_X_EN: 1
; COMPUTE_PGM_RSRC2:TGID_Y_EN: 0
; COMPUTE_PGM_RSRC2:TGID_Z_EN: 0
; COMPUTE_PGM_RSRC2:TIDIG_COMP_CNT: 0
	.section	.text._ZN9rocsolver6v33100L16larf_left_kernelILi1024EfiPfEEvT1_S3_T2_lS3_lPKT0_lS4_lS3_l,"axG",@progbits,_ZN9rocsolver6v33100L16larf_left_kernelILi1024EfiPfEEvT1_S3_T2_lS3_lPKT0_lS4_lS3_l,comdat
	.globl	_ZN9rocsolver6v33100L16larf_left_kernelILi1024EfiPfEEvT1_S3_T2_lS3_lPKT0_lS4_lS3_l ; -- Begin function _ZN9rocsolver6v33100L16larf_left_kernelILi1024EfiPfEEvT1_S3_T2_lS3_lPKT0_lS4_lS3_l
	.p2align	8
	.type	_ZN9rocsolver6v33100L16larf_left_kernelILi1024EfiPfEEvT1_S3_T2_lS3_lPKT0_lS4_lS3_l,@function
_ZN9rocsolver6v33100L16larf_left_kernelILi1024EfiPfEEvT1_S3_T2_lS3_lPKT0_lS4_lS3_l: ; @_ZN9rocsolver6v33100L16larf_left_kernelILi1024EfiPfEEvT1_S3_T2_lS3_lPKT0_lS4_lS3_l
; %bb.0:
	s_clause 0x4
	s_load_b32 s20, s[0:1], 0x0
	s_load_b64 s[2:3], s[0:1], 0x50
	s_load_b32 s17, s[0:1], 0x48
	s_load_b64 s[12:13], s[0:1], 0x40
	s_load_b256 s[4:11], s[0:1], 0x20
	v_mov_b32_e32 v5, 0
	v_lshlrev_b32_e32 v3, 2, v0
	s_ashr_i32 s24, s15, 31
	s_waitcnt lgkmcnt(0)
	v_cmp_gt_i32_e32 vcc_lo, s20, v0
	s_mul_i32 s21, s2, s24
	s_mul_hi_u32 s22, s2, s15
	s_mul_i32 s23, s3, s15
	s_mul_i32 s16, s2, s15
	s_mul_hi_i32 s19, s14, s17
	s_mul_i32 s18, s14, s17
	s_and_saveexec_b32 s14, vcc_lo
	s_cbranch_execz .LBB27_6
; %bb.1:
	s_clause 0x1
	s_load_b32 s26, s[0:1], 0x18
	s_load_b128 s[0:3], s[0:1], 0x8
	s_sub_i32 s17, 1, s20
	s_mul_i32 s25, s4, s24
	s_mul_hi_u32 s29, s4, s15
	s_mul_i32 s5, s5, s15
	s_mul_i32 s4, s4, s15
	v_add3_u32 v4, v3, 0, 0x80
	v_mov_b32_e32 v6, v0
	s_delay_alu instid0(VALU_DEP_2)
	v_mov_b32_e32 v5, v4
	s_waitcnt lgkmcnt(0)
	s_ashr_i32 s27, s26, 31
	v_mad_i64_i32 v[1:2], null, s26, v0, 0
	v_cmp_lt_i64_e64 s28, s[26:27], 1
	s_mul_i32 s17, s17, s26
	s_delay_alu instid0(VALU_DEP_1)
	s_and_b32 s28, s28, exec_lo
	s_cselect_b32 s28, s17, 0
	s_add_i32 s17, s29, s25
	s_ashr_i32 s29, s28, 31
	s_add_i32 s5, s17, s5
	s_lshl_b64 s[28:29], s[28:29], 2
	s_lshl_b64 s[2:3], s[2:3], 2
	;; [unrolled: 1-line block ×3, first 2 shown]
	v_lshlrev_b64 v[1:2], 2, v[1:2]
	s_add_u32 s0, s0, s28
	s_addc_u32 s1, s1, s29
	s_add_u32 s0, s0, s2
	s_addc_u32 s1, s1, s3
	;; [unrolled: 2-line block ×3, first 2 shown]
	v_add_co_u32 v1, s0, s0, v1
	s_delay_alu instid0(VALU_DEP_1)
	v_add_co_ci_u32_e64 v2, s0, s1, v2, s0
	s_mov_b32 s4, 0
	s_lshl_b64 s[2:3], s[26:27], 12
	.p2align	6
.LBB27_2:                               ; =>This Inner Loop Header: Depth=1
	global_load_b32 v7, v[1:2], off
	v_add_nc_u32_e32 v6, 0x400, v6
	v_add_co_u32 v1, s0, v1, s2
	s_delay_alu instid0(VALU_DEP_1) | instskip(NEXT) | instid1(VALU_DEP_3)
	v_add_co_ci_u32_e64 v2, s0, s3, v2, s0
	v_cmp_le_i32_e64 s1, s20, v6
	s_delay_alu instid0(VALU_DEP_1)
	s_or_b32 s4, s1, s4
	s_waitcnt vmcnt(0)
	ds_store_b32 v5, v7
	v_add_nc_u32_e32 v5, 0x1000, v5
	s_and_not1_b32 exec_lo, exec_lo, s4
	s_cbranch_execnz .LBB27_2
; %bb.3:
	s_or_b32 exec_lo, exec_lo, s4
	s_add_i32 s0, s22, s21
	v_dual_mov_b32 v6, v0 :: v_dual_lshlrev_b32 v1, 2, v0
	s_add_i32 s17, s0, s23
	s_lshl_b64 s[0:1], s[18:19], 2
	s_lshl_b64 s[2:3], s[16:17], 2
	v_mov_b32_e32 v5, 0
	s_add_u32 s2, s2, s0
	s_addc_u32 s3, s3, s1
	s_lshl_b64 s[0:1], s[12:13], 2
	s_delay_alu instid0(SALU_CYCLE_1) | instskip(SKIP_4) | instid1(VALU_DEP_1)
	s_add_u32 s0, s2, s0
	s_addc_u32 s1, s3, s1
	s_add_u32 s0, s10, s0
	s_addc_u32 s1, s11, s1
	v_add_co_u32 v1, s0, s0, v1
	v_add_co_ci_u32_e64 v2, null, s1, 0, s0
	s_mov_b32 s2, 0
	.p2align	6
.LBB27_4:                               ; =>This Inner Loop Header: Depth=1
	global_load_b32 v7, v[1:2], off
	ds_load_b32 v8, v4
	v_add_nc_u32_e32 v6, 0x400, v6
	v_add_co_u32 v1, s0, 0x1000, v1
	s_delay_alu instid0(VALU_DEP_1) | instskip(SKIP_3) | instid1(VALU_DEP_2)
	v_add_co_ci_u32_e64 v2, s0, 0, v2, s0
	s_waitcnt vmcnt(0) lgkmcnt(0)
	v_mul_f32_e32 v7, v7, v8
	v_cmp_le_i32_e64 s1, s20, v6
	v_dual_add_f32 v5, v5, v7 :: v_dual_add_nc_u32 v4, 0x1000, v4
	s_delay_alu instid0(VALU_DEP_2) | instskip(NEXT) | instid1(SALU_CYCLE_1)
	s_or_b32 s2, s1, s2
	s_and_not1_b32 exec_lo, exec_lo, s2
	s_cbranch_execnz .LBB27_4
; %bb.5:
	s_or_b32 exec_lo, exec_lo, s2
.LBB27_6:
	s_delay_alu instid0(SALU_CYCLE_1) | instskip(SKIP_2) | instid1(VALU_DEP_1)
	s_or_b32 exec_lo, exec_lo, s14
	v_mbcnt_lo_u32_b32 v1, -1, 0
	s_mov_b32 s1, exec_lo
	v_cmp_ne_u32_e64 s0, 31, v1
	s_delay_alu instid0(VALU_DEP_1) | instskip(SKIP_1) | instid1(VALU_DEP_2)
	v_add_co_ci_u32_e64 v2, s0, 0, v1, s0
	v_cmp_gt_u32_e64 s0, 30, v1
	v_lshlrev_b32_e32 v2, 2, v2
	s_delay_alu instid0(VALU_DEP_2) | instskip(SKIP_3) | instid1(VALU_DEP_1)
	v_cndmask_b32_e64 v4, 0, 1, s0
	v_cmp_gt_u32_e64 s0, 28, v1
	ds_bpermute_b32 v2, v2, v5
	v_lshlrev_b32_e32 v4, 1, v4
	v_add_lshl_u32 v4, v4, v1, 2
	s_waitcnt lgkmcnt(0)
	v_add_f32_e32 v2, v5, v2
	v_cndmask_b32_e64 v5, 0, 1, s0
	v_cmp_gt_u32_e64 s0, 24, v1
	s_delay_alu instid0(VALU_DEP_2)
	v_lshlrev_b32_e32 v5, 2, v5
	ds_bpermute_b32 v4, v4, v2
	v_add_lshl_u32 v5, v5, v1, 2
	s_waitcnt lgkmcnt(0)
	v_add_f32_e32 v2, v2, v4
	ds_bpermute_b32 v4, v5, v2
	v_cndmask_b32_e64 v5, 0, 1, s0
	v_cmp_gt_u32_e64 s0, 16, v1
	s_delay_alu instid0(VALU_DEP_2) | instskip(NEXT) | instid1(VALU_DEP_1)
	v_lshlrev_b32_e32 v5, 3, v5
	v_add_lshl_u32 v5, v5, v1, 2
	s_waitcnt lgkmcnt(0)
	v_add_f32_e32 v2, v2, v4
	ds_bpermute_b32 v4, v5, v2
	v_cndmask_b32_e64 v5, 0, 1, s0
	s_delay_alu instid0(VALU_DEP_1) | instskip(NEXT) | instid1(VALU_DEP_1)
	v_lshlrev_b32_e32 v5, 4, v5
	v_add_lshl_u32 v1, v5, v1, 2
	s_waitcnt lgkmcnt(0)
	v_add_f32_e32 v2, v2, v4
	v_and_b32_e32 v4, 31, v0
	ds_bpermute_b32 v1, v1, v2
	s_waitcnt lgkmcnt(0)
	v_add_f32_e32 v1, v2, v1
	v_cmpx_eq_u32_e32 0, v4
	s_cbranch_execz .LBB27_8
; %bb.7:
	v_lshrrev_b32_e32 v2, 3, v0
	s_delay_alu instid0(VALU_DEP_1)
	v_add_nc_u32_e32 v2, 0, v2
	ds_store_b32 v2, v1
.LBB27_8:
	s_or_b32 exec_lo, exec_lo, s1
	s_delay_alu instid0(SALU_CYCLE_1)
	s_mov_b32 s1, exec_lo
	s_waitcnt lgkmcnt(0)
	s_barrier
	buffer_gl0_inv
	v_cmpx_eq_u32_e32 0, v0
	s_cbranch_execz .LBB27_10
; %bb.9:
	v_mov_b32_e32 v12, 0
	ds_load_2addr_b32 v[4:5], v12 offset0:1 offset1:2
	ds_load_2addr_b32 v[6:7], v12 offset0:3 offset1:4
	;; [unrolled: 1-line block ×4, first 2 shown]
	s_waitcnt lgkmcnt(3)
	v_add_f32_e32 v1, v1, v4
	s_delay_alu instid0(VALU_DEP_1) | instskip(SKIP_1) | instid1(VALU_DEP_1)
	v_add_f32_e32 v1, v1, v5
	s_waitcnt lgkmcnt(2)
	v_add_f32_e32 v1, v1, v6
	s_delay_alu instid0(VALU_DEP_1) | instskip(SKIP_1) | instid1(VALU_DEP_1)
	v_add_f32_e32 v1, v1, v7
	s_waitcnt lgkmcnt(1)
	v_add_f32_e32 v4, v1, v8
	ds_load_2addr_b32 v[1:2], v12 offset0:9 offset1:10
	v_add_f32_e32 v4, v4, v9
	s_waitcnt lgkmcnt(1)
	s_delay_alu instid0(VALU_DEP_1)
	v_add_f32_e32 v6, v4, v10
	ds_load_2addr_b32 v[4:5], v12 offset0:11 offset1:12
	v_add_f32_e32 v10, v6, v11
	ds_load_2addr_b32 v[6:7], v12 offset0:13 offset1:14
	ds_load_2addr_b32 v[8:9], v12 offset0:15 offset1:16
	s_waitcnt lgkmcnt(3)
	v_add_f32_e32 v1, v10, v1
	s_delay_alu instid0(VALU_DEP_1) | instskip(SKIP_1) | instid1(VALU_DEP_1)
	v_add_f32_e32 v1, v1, v2
	s_waitcnt lgkmcnt(2)
	v_add_f32_e32 v1, v1, v4
	s_delay_alu instid0(VALU_DEP_1) | instskip(SKIP_1) | instid1(VALU_DEP_1)
	v_add_f32_e32 v1, v1, v5
	s_waitcnt lgkmcnt(1)
	v_add_f32_e32 v4, v1, v6
	ds_load_2addr_b32 v[1:2], v12 offset0:17 offset1:18
	v_add_f32_e32 v4, v4, v7
	s_waitcnt lgkmcnt(1)
	s_delay_alu instid0(VALU_DEP_1)
	v_add_f32_e32 v6, v4, v8
	ds_load_2addr_b32 v[4:5], v12 offset0:19 offset1:20
	v_add_f32_e32 v10, v6, v9
	ds_load_2addr_b32 v[6:7], v12 offset0:21 offset1:22
	ds_load_2addr_b32 v[8:9], v12 offset0:23 offset1:24
	s_waitcnt lgkmcnt(3)
	v_add_f32_e32 v1, v10, v1
	s_delay_alu instid0(VALU_DEP_1) | instskip(SKIP_1) | instid1(VALU_DEP_1)
	v_add_f32_e32 v1, v1, v2
	s_waitcnt lgkmcnt(2)
	v_add_f32_e32 v1, v1, v4
	s_delay_alu instid0(VALU_DEP_1) | instskip(SKIP_1) | instid1(VALU_DEP_1)
	v_add_f32_e32 v1, v1, v5
	s_waitcnt lgkmcnt(1)
	v_add_f32_e32 v4, v1, v6
	ds_load_2addr_b32 v[1:2], v12 offset0:25 offset1:26
	v_add_f32_e32 v4, v4, v7
	s_waitcnt lgkmcnt(1)
	s_delay_alu instid0(VALU_DEP_1)
	v_add_f32_e32 v6, v4, v8
	ds_load_2addr_b32 v[4:5], v12 offset0:27 offset1:28
	v_add_f32_e32 v8, v6, v9
	ds_load_2addr_b32 v[6:7], v12 offset0:29 offset1:30
	ds_load_b32 v9, v12 offset:124
	s_waitcnt lgkmcnt(3)
	v_add_f32_e32 v1, v8, v1
	s_delay_alu instid0(VALU_DEP_1) | instskip(SKIP_1) | instid1(VALU_DEP_1)
	v_add_f32_e32 v1, v1, v2
	s_waitcnt lgkmcnt(2)
	v_add_f32_e32 v1, v1, v4
	s_delay_alu instid0(VALU_DEP_1) | instskip(SKIP_1) | instid1(VALU_DEP_1)
	v_add_f32_e32 v1, v1, v5
	;; [unrolled: 4-line block ×3, first 2 shown]
	s_waitcnt lgkmcnt(0)
	v_add_f32_e32 v1, v1, v9
	ds_store_b32 v12, v1
.LBB27_10:
	s_or_b32 exec_lo, exec_lo, s1
	s_waitcnt lgkmcnt(0)
	s_barrier
	buffer_gl0_inv
	s_and_saveexec_b32 s0, vcc_lo
	s_cbranch_execz .LBB27_13
; %bb.11:
	s_mul_i32 s0, s15, s9
	s_mul_hi_u32 s1, s15, s8
	s_mul_i32 s2, s24, s8
	s_add_i32 s0, s1, s0
	v_mov_b32_e32 v1, 0
	s_add_i32 s1, s0, s2
	s_mul_i32 s0, s15, s8
	v_add3_u32 v4, v3, 0, 0x80
	s_lshl_b64 s[0:1], s[0:1], 2
	ds_load_b32 v1, v1
	s_add_u32 s0, s6, s0
	s_addc_u32 s1, s7, s1
	s_load_b32 s4, s[0:1], 0x0
	s_add_i32 s0, s22, s21
	s_delay_alu instid0(SALU_CYCLE_1) | instskip(SKIP_2) | instid1(SALU_CYCLE_1)
	s_add_i32 s17, s0, s23
	s_lshl_b64 s[0:1], s[18:19], 2
	s_lshl_b64 s[2:3], s[16:17], 2
	s_add_u32 s2, s2, s0
	s_addc_u32 s3, s3, s1
	s_lshl_b64 s[0:1], s[12:13], 2
	s_delay_alu instid0(SALU_CYCLE_1)
	s_add_u32 s0, s2, s0
	s_addc_u32 s1, s3, s1
	s_add_u32 s0, s10, s0
	s_addc_u32 s1, s11, s1
	s_waitcnt lgkmcnt(0)
	v_mul_f32_e64 v5, v1, -s4
	v_add_co_u32 v1, s0, s0, v3
	s_delay_alu instid0(VALU_DEP_1)
	v_add_co_ci_u32_e64 v2, null, s1, 0, s0
	s_mov_b32 s1, 0
	.p2align	6
.LBB27_12:                              ; =>This Inner Loop Header: Depth=1
	global_load_b32 v3, v[1:2], off
	ds_load_b32 v6, v4
	v_add_nc_u32_e32 v0, 0x400, v0
	s_waitcnt vmcnt(0) lgkmcnt(0)
	v_dual_fmac_f32 v3, v5, v6 :: v_dual_add_nc_u32 v4, 0x1000, v4
	s_delay_alu instid0(VALU_DEP_2) | instskip(SKIP_2) | instid1(VALU_DEP_1)
	v_cmp_le_i32_e32 vcc_lo, s20, v0
	global_store_b32 v[1:2], v3, off
	v_add_co_u32 v1, s0, 0x1000, v1
	v_add_co_ci_u32_e64 v2, s0, 0, v2, s0
	s_or_b32 s1, vcc_lo, s1
	s_delay_alu instid0(SALU_CYCLE_1)
	s_and_not1_b32 exec_lo, exec_lo, s1
	s_cbranch_execnz .LBB27_12
.LBB27_13:
	s_nop 0
	s_sendmsg sendmsg(MSG_DEALLOC_VGPRS)
	s_endpgm
	.section	.rodata,"a",@progbits
	.p2align	6, 0x0
	.amdhsa_kernel _ZN9rocsolver6v33100L16larf_left_kernelILi1024EfiPfEEvT1_S3_T2_lS3_lPKT0_lS4_lS3_l
		.amdhsa_group_segment_fixed_size 0
		.amdhsa_private_segment_fixed_size 0
		.amdhsa_kernarg_size 88
		.amdhsa_user_sgpr_count 13
		.amdhsa_user_sgpr_dispatch_ptr 0
		.amdhsa_user_sgpr_queue_ptr 0
		.amdhsa_user_sgpr_kernarg_segment_ptr 1
		.amdhsa_user_sgpr_dispatch_id 0
		.amdhsa_user_sgpr_private_segment_size 0
		.amdhsa_wavefront_size32 1
		.amdhsa_uses_dynamic_stack 0
		.amdhsa_enable_private_segment 0
		.amdhsa_system_sgpr_workgroup_id_x 1
		.amdhsa_system_sgpr_workgroup_id_y 1
		.amdhsa_system_sgpr_workgroup_id_z 1
		.amdhsa_system_sgpr_workgroup_info 0
		.amdhsa_system_vgpr_workitem_id 0
		.amdhsa_next_free_vgpr 13
		.amdhsa_next_free_sgpr 30
		.amdhsa_reserve_vcc 1
		.amdhsa_float_round_mode_32 0
		.amdhsa_float_round_mode_16_64 0
		.amdhsa_float_denorm_mode_32 3
		.amdhsa_float_denorm_mode_16_64 3
		.amdhsa_dx10_clamp 1
		.amdhsa_ieee_mode 1
		.amdhsa_fp16_overflow 0
		.amdhsa_workgroup_processor_mode 1
		.amdhsa_memory_ordered 1
		.amdhsa_forward_progress 0
		.amdhsa_shared_vgpr_count 0
		.amdhsa_exception_fp_ieee_invalid_op 0
		.amdhsa_exception_fp_denorm_src 0
		.amdhsa_exception_fp_ieee_div_zero 0
		.amdhsa_exception_fp_ieee_overflow 0
		.amdhsa_exception_fp_ieee_underflow 0
		.amdhsa_exception_fp_ieee_inexact 0
		.amdhsa_exception_int_div_zero 0
	.end_amdhsa_kernel
	.section	.text._ZN9rocsolver6v33100L16larf_left_kernelILi1024EfiPfEEvT1_S3_T2_lS3_lPKT0_lS4_lS3_l,"axG",@progbits,_ZN9rocsolver6v33100L16larf_left_kernelILi1024EfiPfEEvT1_S3_T2_lS3_lPKT0_lS4_lS3_l,comdat
.Lfunc_end27:
	.size	_ZN9rocsolver6v33100L16larf_left_kernelILi1024EfiPfEEvT1_S3_T2_lS3_lPKT0_lS4_lS3_l, .Lfunc_end27-_ZN9rocsolver6v33100L16larf_left_kernelILi1024EfiPfEEvT1_S3_T2_lS3_lPKT0_lS4_lS3_l
                                        ; -- End function
	.section	.AMDGPU.csdata,"",@progbits
; Kernel info:
; codeLenInByte = 1528
; NumSgprs: 32
; NumVgprs: 13
; ScratchSize: 0
; MemoryBound: 0
; FloatMode: 240
; IeeeMode: 1
; LDSByteSize: 0 bytes/workgroup (compile time only)
; SGPRBlocks: 3
; VGPRBlocks: 1
; NumSGPRsForWavesPerEU: 32
; NumVGPRsForWavesPerEU: 13
; Occupancy: 16
; WaveLimiterHint : 0
; COMPUTE_PGM_RSRC2:SCRATCH_EN: 0
; COMPUTE_PGM_RSRC2:USER_SGPR: 13
; COMPUTE_PGM_RSRC2:TRAP_HANDLER: 0
; COMPUTE_PGM_RSRC2:TGID_X_EN: 1
; COMPUTE_PGM_RSRC2:TGID_Y_EN: 1
; COMPUTE_PGM_RSRC2:TGID_Z_EN: 1
; COMPUTE_PGM_RSRC2:TIDIG_COMP_CNT: 0
	.section	.text._ZN9rocsolver6v33100L17larf_right_kernelILi1024EfiPfEEvT1_S3_T2_lS3_lPKT0_lS4_lS3_l,"axG",@progbits,_ZN9rocsolver6v33100L17larf_right_kernelILi1024EfiPfEEvT1_S3_T2_lS3_lPKT0_lS4_lS3_l,comdat
	.globl	_ZN9rocsolver6v33100L17larf_right_kernelILi1024EfiPfEEvT1_S3_T2_lS3_lPKT0_lS4_lS3_l ; -- Begin function _ZN9rocsolver6v33100L17larf_right_kernelILi1024EfiPfEEvT1_S3_T2_lS3_lPKT0_lS4_lS3_l
	.p2align	8
	.type	_ZN9rocsolver6v33100L17larf_right_kernelILi1024EfiPfEEvT1_S3_T2_lS3_lPKT0_lS4_lS3_l,@function
_ZN9rocsolver6v33100L17larf_right_kernelILi1024EfiPfEEvT1_S3_T2_lS3_lPKT0_lS4_lS3_l: ; @_ZN9rocsolver6v33100L17larf_right_kernelILi1024EfiPfEEvT1_S3_T2_lS3_lPKT0_lS4_lS3_l
; %bb.0:
	s_clause 0x4
	s_load_b32 s24, s[0:1], 0x4
	s_load_b64 s[16:17], s[0:1], 0x50
	s_load_b64 s[20:21], s[0:1], 0x40
	s_load_b32 s12, s[0:1], 0x48
	s_load_b256 s[4:11], s[0:1], 0x20
	v_mov_b32_e32 v5, 0
	v_lshlrev_b32_e32 v3, 2, v0
	s_mov_b32 s2, s15
	s_ashr_i32 s27, s15, 31
	s_ashr_i32 s15, s14, 31
	s_waitcnt lgkmcnt(0)
	v_cmp_gt_i32_e32 vcc_lo, s24, v0
	s_mul_i32 s3, s16, s27
	s_mul_hi_u32 s26, s16, s2
	s_mul_i32 s25, s17, s2
	s_mul_i32 s22, s16, s2
	s_and_saveexec_b32 s28, vcc_lo
	s_cbranch_execz .LBB28_6
; %bb.1:
	s_clause 0x1
	s_load_b32 s30, s[0:1], 0x18
	s_load_b128 s[16:19], s[0:1], 0x8
	s_sub_i32 s1, 1, s24
	s_mul_i32 s13, s4, s27
	s_mul_hi_u32 s29, s4, s2
	s_mul_i32 s0, s4, s2
	s_mul_i32 s33, s5, s2
	v_add3_u32 v4, v3, 0, 0x80
	v_mov_b32_e32 v6, v0
	s_delay_alu instid0(VALU_DEP_2)
	v_mov_b32_e32 v5, v4
	s_waitcnt lgkmcnt(0)
	s_ashr_i32 s31, s30, 31
	v_mad_i64_i32 v[1:2], null, s30, v0, 0
	v_cmp_lt_i64_e64 s23, s[30:31], 1
	s_mul_i32 s1, s1, s30
	s_delay_alu instid0(VALU_DEP_1)
	s_and_b32 s4, s23, exec_lo
	s_cselect_b32 s4, s1, 0
	s_add_i32 s1, s29, s13
	s_ashr_i32 s5, s4, 31
	s_add_i32 s1, s1, s33
	s_lshl_b64 s[4:5], s[4:5], 2
	s_lshl_b64 s[18:19], s[18:19], 2
	;; [unrolled: 1-line block ×3, first 2 shown]
	v_lshlrev_b64 v[1:2], 2, v[1:2]
	s_add_u32 s4, s16, s4
	s_addc_u32 s5, s17, s5
	s_add_u32 s4, s4, s18
	s_addc_u32 s5, s5, s19
	;; [unrolled: 2-line block ×3, first 2 shown]
	v_add_co_u32 v1, s0, s0, v1
	s_delay_alu instid0(VALU_DEP_1)
	v_add_co_ci_u32_e64 v2, s0, s1, v2, s0
	s_mov_b32 s13, 0
	s_lshl_b64 s[4:5], s[30:31], 12
	.p2align	6
.LBB28_2:                               ; =>This Inner Loop Header: Depth=1
	global_load_b32 v7, v[1:2], off
	v_add_nc_u32_e32 v6, 0x400, v6
	v_add_co_u32 v1, s0, v1, s4
	s_delay_alu instid0(VALU_DEP_1) | instskip(NEXT) | instid1(VALU_DEP_3)
	v_add_co_ci_u32_e64 v2, s0, s5, v2, s0
	v_cmp_le_i32_e64 s1, s24, v6
	s_delay_alu instid0(VALU_DEP_1)
	s_or_b32 s13, s1, s13
	s_waitcnt vmcnt(0)
	ds_store_b32 v5, v7
	v_add_nc_u32_e32 v5, 0x1000, v5
	s_and_not1_b32 exec_lo, exec_lo, s13
	s_cbranch_execnz .LBB28_2
; %bb.3:
	s_or_b32 exec_lo, exec_lo, s13
	v_mad_i64_i32 v[1:2], null, s12, v0, 0
	s_add_i32 s4, s26, s3
	s_ashr_i32 s13, s12, 31
	s_add_i32 s23, s4, s25
	s_lshl_b64 s[4:5], s[14:15], 2
	s_lshl_b64 s[0:1], s[20:21], 2
	;; [unrolled: 1-line block ×3, first 2 shown]
	s_delay_alu instid0(VALU_DEP_1)
	v_lshlrev_b64 v[1:2], 2, v[1:2]
	s_add_u32 s4, s10, s4
	s_addc_u32 s5, s11, s5
	s_add_u32 s0, s4, s0
	s_addc_u32 s1, s5, s1
	;; [unrolled: 2-line block ×3, first 2 shown]
	v_add_co_u32 v1, s0, s0, v1
	s_delay_alu instid0(VALU_DEP_1)
	v_add_co_ci_u32_e64 v2, s0, s1, v2, s0
	v_dual_mov_b32 v5, 0 :: v_dual_mov_b32 v6, v0
	s_lshl_b64 s[4:5], s[12:13], 12
	s_mov_b32 s13, 0
	.p2align	6
.LBB28_4:                               ; =>This Inner Loop Header: Depth=1
	global_load_b32 v7, v[1:2], off
	ds_load_b32 v8, v4
	v_add_nc_u32_e32 v6, 0x400, v6
	v_add_co_u32 v1, s0, v1, s4
	s_delay_alu instid0(VALU_DEP_1) | instskip(SKIP_3) | instid1(VALU_DEP_2)
	v_add_co_ci_u32_e64 v2, s0, s5, v2, s0
	s_waitcnt vmcnt(0) lgkmcnt(0)
	v_mul_f32_e32 v7, v7, v8
	v_cmp_le_i32_e64 s1, s24, v6
	v_dual_add_f32 v5, v5, v7 :: v_dual_add_nc_u32 v4, 0x1000, v4
	s_delay_alu instid0(VALU_DEP_2) | instskip(NEXT) | instid1(SALU_CYCLE_1)
	s_or_b32 s13, s1, s13
	s_and_not1_b32 exec_lo, exec_lo, s13
	s_cbranch_execnz .LBB28_4
; %bb.5:
	s_or_b32 exec_lo, exec_lo, s13
.LBB28_6:
	s_delay_alu instid0(SALU_CYCLE_1) | instskip(SKIP_2) | instid1(VALU_DEP_1)
	s_or_b32 exec_lo, exec_lo, s28
	v_mbcnt_lo_u32_b32 v1, -1, 0
	s_mov_b32 s1, exec_lo
	v_cmp_ne_u32_e64 s0, 31, v1
	s_delay_alu instid0(VALU_DEP_1) | instskip(SKIP_1) | instid1(VALU_DEP_2)
	v_add_co_ci_u32_e64 v2, s0, 0, v1, s0
	v_cmp_gt_u32_e64 s0, 30, v1
	v_lshlrev_b32_e32 v2, 2, v2
	s_delay_alu instid0(VALU_DEP_2) | instskip(SKIP_3) | instid1(VALU_DEP_1)
	v_cndmask_b32_e64 v4, 0, 1, s0
	v_cmp_gt_u32_e64 s0, 28, v1
	ds_bpermute_b32 v2, v2, v5
	v_lshlrev_b32_e32 v4, 1, v4
	v_add_lshl_u32 v4, v4, v1, 2
	s_waitcnt lgkmcnt(0)
	v_add_f32_e32 v2, v5, v2
	v_cndmask_b32_e64 v5, 0, 1, s0
	v_cmp_gt_u32_e64 s0, 24, v1
	s_delay_alu instid0(VALU_DEP_2)
	v_lshlrev_b32_e32 v5, 2, v5
	ds_bpermute_b32 v4, v4, v2
	v_add_lshl_u32 v5, v5, v1, 2
	s_waitcnt lgkmcnt(0)
	v_add_f32_e32 v2, v2, v4
	ds_bpermute_b32 v4, v5, v2
	v_cndmask_b32_e64 v5, 0, 1, s0
	v_cmp_gt_u32_e64 s0, 16, v1
	s_delay_alu instid0(VALU_DEP_2) | instskip(NEXT) | instid1(VALU_DEP_1)
	v_lshlrev_b32_e32 v5, 3, v5
	v_add_lshl_u32 v5, v5, v1, 2
	s_waitcnt lgkmcnt(0)
	v_add_f32_e32 v2, v2, v4
	ds_bpermute_b32 v4, v5, v2
	v_cndmask_b32_e64 v5, 0, 1, s0
	s_delay_alu instid0(VALU_DEP_1) | instskip(NEXT) | instid1(VALU_DEP_1)
	v_lshlrev_b32_e32 v5, 4, v5
	v_add_lshl_u32 v1, v5, v1, 2
	s_waitcnt lgkmcnt(0)
	v_add_f32_e32 v2, v2, v4
	v_and_b32_e32 v4, 31, v0
	ds_bpermute_b32 v1, v1, v2
	s_waitcnt lgkmcnt(0)
	v_add_f32_e32 v1, v2, v1
	v_cmpx_eq_u32_e32 0, v4
	s_cbranch_execz .LBB28_8
; %bb.7:
	v_lshrrev_b32_e32 v2, 3, v0
	s_delay_alu instid0(VALU_DEP_1)
	v_add_nc_u32_e32 v2, 0, v2
	ds_store_b32 v2, v1
.LBB28_8:
	s_or_b32 exec_lo, exec_lo, s1
	s_delay_alu instid0(SALU_CYCLE_1)
	s_mov_b32 s1, exec_lo
	s_waitcnt lgkmcnt(0)
	s_barrier
	buffer_gl0_inv
	v_cmpx_eq_u32_e32 0, v0
	s_cbranch_execz .LBB28_10
; %bb.9:
	v_mov_b32_e32 v12, 0
	ds_load_2addr_b32 v[4:5], v12 offset0:1 offset1:2
	ds_load_2addr_b32 v[6:7], v12 offset0:3 offset1:4
	;; [unrolled: 1-line block ×4, first 2 shown]
	s_waitcnt lgkmcnt(3)
	v_add_f32_e32 v1, v1, v4
	s_delay_alu instid0(VALU_DEP_1) | instskip(SKIP_1) | instid1(VALU_DEP_1)
	v_add_f32_e32 v1, v1, v5
	s_waitcnt lgkmcnt(2)
	v_add_f32_e32 v1, v1, v6
	s_delay_alu instid0(VALU_DEP_1) | instskip(SKIP_1) | instid1(VALU_DEP_1)
	v_add_f32_e32 v1, v1, v7
	s_waitcnt lgkmcnt(1)
	v_add_f32_e32 v4, v1, v8
	ds_load_2addr_b32 v[1:2], v12 offset0:9 offset1:10
	v_add_f32_e32 v4, v4, v9
	s_waitcnt lgkmcnt(1)
	s_delay_alu instid0(VALU_DEP_1)
	v_add_f32_e32 v6, v4, v10
	ds_load_2addr_b32 v[4:5], v12 offset0:11 offset1:12
	v_add_f32_e32 v10, v6, v11
	ds_load_2addr_b32 v[6:7], v12 offset0:13 offset1:14
	ds_load_2addr_b32 v[8:9], v12 offset0:15 offset1:16
	s_waitcnt lgkmcnt(3)
	v_add_f32_e32 v1, v10, v1
	s_delay_alu instid0(VALU_DEP_1) | instskip(SKIP_1) | instid1(VALU_DEP_1)
	v_add_f32_e32 v1, v1, v2
	s_waitcnt lgkmcnt(2)
	v_add_f32_e32 v1, v1, v4
	s_delay_alu instid0(VALU_DEP_1) | instskip(SKIP_1) | instid1(VALU_DEP_1)
	v_add_f32_e32 v1, v1, v5
	s_waitcnt lgkmcnt(1)
	v_add_f32_e32 v4, v1, v6
	ds_load_2addr_b32 v[1:2], v12 offset0:17 offset1:18
	v_add_f32_e32 v4, v4, v7
	s_waitcnt lgkmcnt(1)
	s_delay_alu instid0(VALU_DEP_1)
	v_add_f32_e32 v6, v4, v8
	ds_load_2addr_b32 v[4:5], v12 offset0:19 offset1:20
	v_add_f32_e32 v10, v6, v9
	ds_load_2addr_b32 v[6:7], v12 offset0:21 offset1:22
	ds_load_2addr_b32 v[8:9], v12 offset0:23 offset1:24
	s_waitcnt lgkmcnt(3)
	v_add_f32_e32 v1, v10, v1
	s_delay_alu instid0(VALU_DEP_1) | instskip(SKIP_1) | instid1(VALU_DEP_1)
	v_add_f32_e32 v1, v1, v2
	s_waitcnt lgkmcnt(2)
	v_add_f32_e32 v1, v1, v4
	s_delay_alu instid0(VALU_DEP_1) | instskip(SKIP_1) | instid1(VALU_DEP_1)
	v_add_f32_e32 v1, v1, v5
	s_waitcnt lgkmcnt(1)
	v_add_f32_e32 v4, v1, v6
	ds_load_2addr_b32 v[1:2], v12 offset0:25 offset1:26
	v_add_f32_e32 v4, v4, v7
	s_waitcnt lgkmcnt(1)
	s_delay_alu instid0(VALU_DEP_1)
	v_add_f32_e32 v6, v4, v8
	ds_load_2addr_b32 v[4:5], v12 offset0:27 offset1:28
	v_add_f32_e32 v8, v6, v9
	ds_load_2addr_b32 v[6:7], v12 offset0:29 offset1:30
	ds_load_b32 v9, v12 offset:124
	s_waitcnt lgkmcnt(3)
	v_add_f32_e32 v1, v8, v1
	s_delay_alu instid0(VALU_DEP_1) | instskip(SKIP_1) | instid1(VALU_DEP_1)
	v_add_f32_e32 v1, v1, v2
	s_waitcnt lgkmcnt(2)
	v_add_f32_e32 v1, v1, v4
	s_delay_alu instid0(VALU_DEP_1) | instskip(SKIP_1) | instid1(VALU_DEP_1)
	v_add_f32_e32 v1, v1, v5
	;; [unrolled: 4-line block ×3, first 2 shown]
	s_waitcnt lgkmcnt(0)
	v_add_f32_e32 v1, v1, v9
	ds_store_b32 v12, v1
.LBB28_10:
	s_or_b32 exec_lo, exec_lo, s1
	s_waitcnt lgkmcnt(0)
	s_barrier
	buffer_gl0_inv
	s_and_saveexec_b32 s0, vcc_lo
	s_cbranch_execz .LBB28_13
; %bb.11:
	s_mul_i32 s0, s2, s9
	s_mul_hi_u32 s1, s2, s8
	s_mul_i32 s4, s27, s8
	s_add_i32 s0, s1, s0
	v_mov_b32_e32 v1, 0
	s_add_i32 s1, s0, s4
	s_mul_i32 s0, s2, s8
	v_add3_u32 v3, v3, 0, 0x80
	s_lshl_b64 s[0:1], s[0:1], 2
	ds_load_b32 v4, v1
	s_add_u32 s0, s6, s0
	s_addc_u32 s1, s7, s1
	v_mad_i64_i32 v[1:2], null, s12, v0, 0
	s_load_b32 s6, s[0:1], 0x0
	s_add_i32 s2, s26, s3
	s_ashr_i32 s13, s12, 31
	s_add_i32 s23, s2, s25
	s_lshl_b64 s[2:3], s[14:15], 2
	s_lshl_b64 s[0:1], s[20:21], 2
	;; [unrolled: 1-line block ×3, first 2 shown]
	v_lshlrev_b64 v[1:2], 2, v[1:2]
	s_add_u32 s2, s10, s2
	s_addc_u32 s3, s11, s3
	s_add_u32 s0, s2, s0
	s_addc_u32 s1, s3, s1
	;; [unrolled: 2-line block ×3, first 2 shown]
	v_add_co_u32 v1, vcc_lo, s0, v1
	v_add_co_ci_u32_e32 v2, vcc_lo, s1, v2, vcc_lo
	s_mov_b32 s1, 0
	s_lshl_b64 s[2:3], s[12:13], 12
	s_waitcnt lgkmcnt(0)
	v_mul_f32_e64 v4, v4, -s6
	.p2align	6
.LBB28_12:                              ; =>This Inner Loop Header: Depth=1
	global_load_b32 v5, v[1:2], off
	ds_load_b32 v6, v3
	v_add_nc_u32_e32 v0, 0x400, v0
	v_add_nc_u32_e32 v3, 0x1000, v3
	s_waitcnt vmcnt(0) lgkmcnt(0)
	v_fmac_f32_e32 v5, v4, v6
	s_delay_alu instid0(VALU_DEP_3) | instskip(SKIP_2) | instid1(VALU_DEP_1)
	v_cmp_le_i32_e32 vcc_lo, s24, v0
	global_store_b32 v[1:2], v5, off
	v_add_co_u32 v1, s0, v1, s2
	v_add_co_ci_u32_e64 v2, s0, s3, v2, s0
	s_or_b32 s1, vcc_lo, s1
	s_delay_alu instid0(SALU_CYCLE_1)
	s_and_not1_b32 exec_lo, exec_lo, s1
	s_cbranch_execnz .LBB28_12
.LBB28_13:
	s_nop 0
	s_sendmsg sendmsg(MSG_DEALLOC_VGPRS)
	s_endpgm
	.section	.rodata,"a",@progbits
	.p2align	6, 0x0
	.amdhsa_kernel _ZN9rocsolver6v33100L17larf_right_kernelILi1024EfiPfEEvT1_S3_T2_lS3_lPKT0_lS4_lS3_l
		.amdhsa_group_segment_fixed_size 0
		.amdhsa_private_segment_fixed_size 0
		.amdhsa_kernarg_size 88
		.amdhsa_user_sgpr_count 13
		.amdhsa_user_sgpr_dispatch_ptr 0
		.amdhsa_user_sgpr_queue_ptr 0
		.amdhsa_user_sgpr_kernarg_segment_ptr 1
		.amdhsa_user_sgpr_dispatch_id 0
		.amdhsa_user_sgpr_private_segment_size 0
		.amdhsa_wavefront_size32 1
		.amdhsa_uses_dynamic_stack 0
		.amdhsa_enable_private_segment 0
		.amdhsa_system_sgpr_workgroup_id_x 1
		.amdhsa_system_sgpr_workgroup_id_y 1
		.amdhsa_system_sgpr_workgroup_id_z 1
		.amdhsa_system_sgpr_workgroup_info 0
		.amdhsa_system_vgpr_workitem_id 0
		.amdhsa_next_free_vgpr 13
		.amdhsa_next_free_sgpr 34
		.amdhsa_reserve_vcc 1
		.amdhsa_float_round_mode_32 0
		.amdhsa_float_round_mode_16_64 0
		.amdhsa_float_denorm_mode_32 3
		.amdhsa_float_denorm_mode_16_64 3
		.amdhsa_dx10_clamp 1
		.amdhsa_ieee_mode 1
		.amdhsa_fp16_overflow 0
		.amdhsa_workgroup_processor_mode 1
		.amdhsa_memory_ordered 1
		.amdhsa_forward_progress 0
		.amdhsa_shared_vgpr_count 0
		.amdhsa_exception_fp_ieee_invalid_op 0
		.amdhsa_exception_fp_denorm_src 0
		.amdhsa_exception_fp_ieee_div_zero 0
		.amdhsa_exception_fp_ieee_overflow 0
		.amdhsa_exception_fp_ieee_underflow 0
		.amdhsa_exception_fp_ieee_inexact 0
		.amdhsa_exception_int_div_zero 0
	.end_amdhsa_kernel
	.section	.text._ZN9rocsolver6v33100L17larf_right_kernelILi1024EfiPfEEvT1_S3_T2_lS3_lPKT0_lS4_lS3_l,"axG",@progbits,_ZN9rocsolver6v33100L17larf_right_kernelILi1024EfiPfEEvT1_S3_T2_lS3_lPKT0_lS4_lS3_l,comdat
.Lfunc_end28:
	.size	_ZN9rocsolver6v33100L17larf_right_kernelILi1024EfiPfEEvT1_S3_T2_lS3_lPKT0_lS4_lS3_l, .Lfunc_end28-_ZN9rocsolver6v33100L17larf_right_kernelILi1024EfiPfEEvT1_S3_T2_lS3_lPKT0_lS4_lS3_l
                                        ; -- End function
	.section	.AMDGPU.csdata,"",@progbits
; Kernel info:
; codeLenInByte = 1552
; NumSgprs: 36
; NumVgprs: 13
; ScratchSize: 0
; MemoryBound: 0
; FloatMode: 240
; IeeeMode: 1
; LDSByteSize: 0 bytes/workgroup (compile time only)
; SGPRBlocks: 4
; VGPRBlocks: 1
; NumSGPRsForWavesPerEU: 36
; NumVGPRsForWavesPerEU: 13
; Occupancy: 16
; WaveLimiterHint : 0
; COMPUTE_PGM_RSRC2:SCRATCH_EN: 0
; COMPUTE_PGM_RSRC2:USER_SGPR: 13
; COMPUTE_PGM_RSRC2:TRAP_HANDLER: 0
; COMPUTE_PGM_RSRC2:TGID_X_EN: 1
; COMPUTE_PGM_RSRC2:TGID_Y_EN: 1
; COMPUTE_PGM_RSRC2:TGID_Z_EN: 1
; COMPUTE_PGM_RSRC2:TIDIG_COMP_CNT: 0
	.section	.text._ZN9rocsolver6v33100L12restore_diagIfifPfEEvPT1_llT2_lT0_lS6_,"axG",@progbits,_ZN9rocsolver6v33100L12restore_diagIfifPfEEvPT1_llT2_lT0_lS6_,comdat
	.globl	_ZN9rocsolver6v33100L12restore_diagIfifPfEEvPT1_llT2_lT0_lS6_ ; -- Begin function _ZN9rocsolver6v33100L12restore_diagIfifPfEEvPT1_llT2_lT0_lS6_
	.p2align	8
	.type	_ZN9rocsolver6v33100L12restore_diagIfifPfEEvPT1_llT2_lT0_lS6_,@function
_ZN9rocsolver6v33100L12restore_diagIfifPfEEvPT1_llT2_lT0_lS6_: ; @_ZN9rocsolver6v33100L12restore_diagIfifPfEEvPT1_llT2_lT0_lS6_
; %bb.0:
	s_clause 0x1
	s_load_b32 s2, s[0:1], 0x4c
	s_load_b32 s3, s[0:1], 0x38
	v_bfe_u32 v2, v0, 10, 10
	s_waitcnt lgkmcnt(0)
	s_lshr_b32 s2, s2, 16
	s_delay_alu instid0(VALU_DEP_1) | instid1(SALU_CYCLE_1)
	v_mad_u64_u32 v[0:1], null, s15, s2, v[2:3]
	s_mov_b32 s2, exec_lo
	s_delay_alu instid0(VALU_DEP_1)
	v_cmpx_gt_i32_e64 s3, v0
	s_cbranch_execz .LBB29_2
; %bb.1:
	s_clause 0x3
	s_load_b64 s[2:3], s[0:1], 0x30
	s_load_b256 s[4:11], s[0:1], 0x0
	s_load_b32 s12, s[0:1], 0x28
	s_load_b64 s[0:1], s[0:1], 0x20
	s_ashr_i32 s13, s14, 31
	s_waitcnt lgkmcnt(0)
	s_mul_i32 s3, s14, s3
	s_mul_hi_u32 s15, s14, s2
	s_mul_i32 s16, s13, s2
	s_add_i32 s3, s15, s3
	s_mul_i32 s2, s14, s2
	s_add_i32 s3, s3, s16
	s_mul_i32 s9, s14, s9
	s_lshl_b64 s[2:3], s[2:3], 2
	s_mul_hi_u32 s15, s14, s8
	s_add_u32 s2, s10, s2
	s_addc_u32 s3, s11, s3
	s_lshl_b64 s[0:1], s[0:1], 2
	s_mul_i32 s13, s13, s8
	s_add_u32 s2, s2, s0
	v_mad_u64_u32 v[2:3], null, v0, s12, v[0:1]
	v_ashrrev_i32_e32 v1, 31, v0
	s_addc_u32 s3, s3, s1
	s_add_i32 s1, s15, s9
	s_mul_i32 s0, s14, s8
	s_add_i32 s1, s1, s13
	v_lshlrev_b64 v[0:1], 2, v[0:1]
	s_lshl_b64 s[0:1], s[0:1], 2
	v_ashrrev_i32_e32 v3, 31, v2
	s_add_u32 s4, s4, s0
	s_addc_u32 s5, s5, s1
	s_lshl_b64 s[0:1], s[6:7], 2
	s_delay_alu instid0(SALU_CYCLE_1)
	s_add_u32 s0, s4, s0
	s_addc_u32 s1, s5, s1
	v_add_co_u32 v0, vcc_lo, s0, v0
	v_add_co_ci_u32_e32 v1, vcc_lo, s1, v1, vcc_lo
	global_load_b32 v4, v[0:1], off
	v_lshlrev_b64 v[0:1], 2, v[2:3]
	s_delay_alu instid0(VALU_DEP_1) | instskip(NEXT) | instid1(VALU_DEP_2)
	v_add_co_u32 v0, vcc_lo, s2, v0
	v_add_co_ci_u32_e32 v1, vcc_lo, s3, v1, vcc_lo
	s_waitcnt vmcnt(0)
	global_store_b32 v[0:1], v4, off
.LBB29_2:
	s_nop 0
	s_sendmsg sendmsg(MSG_DEALLOC_VGPRS)
	s_endpgm
	.section	.rodata,"a",@progbits
	.p2align	6, 0x0
	.amdhsa_kernel _ZN9rocsolver6v33100L12restore_diagIfifPfEEvPT1_llT2_lT0_lS6_
		.amdhsa_group_segment_fixed_size 0
		.amdhsa_private_segment_fixed_size 0
		.amdhsa_kernarg_size 320
		.amdhsa_user_sgpr_count 14
		.amdhsa_user_sgpr_dispatch_ptr 0
		.amdhsa_user_sgpr_queue_ptr 0
		.amdhsa_user_sgpr_kernarg_segment_ptr 1
		.amdhsa_user_sgpr_dispatch_id 0
		.amdhsa_user_sgpr_private_segment_size 0
		.amdhsa_wavefront_size32 1
		.amdhsa_uses_dynamic_stack 0
		.amdhsa_enable_private_segment 0
		.amdhsa_system_sgpr_workgroup_id_x 1
		.amdhsa_system_sgpr_workgroup_id_y 1
		.amdhsa_system_sgpr_workgroup_id_z 0
		.amdhsa_system_sgpr_workgroup_info 0
		.amdhsa_system_vgpr_workitem_id 1
		.amdhsa_next_free_vgpr 5
		.amdhsa_next_free_sgpr 17
		.amdhsa_reserve_vcc 1
		.amdhsa_float_round_mode_32 0
		.amdhsa_float_round_mode_16_64 0
		.amdhsa_float_denorm_mode_32 3
		.amdhsa_float_denorm_mode_16_64 3
		.amdhsa_dx10_clamp 1
		.amdhsa_ieee_mode 1
		.amdhsa_fp16_overflow 0
		.amdhsa_workgroup_processor_mode 1
		.amdhsa_memory_ordered 1
		.amdhsa_forward_progress 0
		.amdhsa_shared_vgpr_count 0
		.amdhsa_exception_fp_ieee_invalid_op 0
		.amdhsa_exception_fp_denorm_src 0
		.amdhsa_exception_fp_ieee_div_zero 0
		.amdhsa_exception_fp_ieee_overflow 0
		.amdhsa_exception_fp_ieee_underflow 0
		.amdhsa_exception_fp_ieee_inexact 0
		.amdhsa_exception_int_div_zero 0
	.end_amdhsa_kernel
	.section	.text._ZN9rocsolver6v33100L12restore_diagIfifPfEEvPT1_llT2_lT0_lS6_,"axG",@progbits,_ZN9rocsolver6v33100L12restore_diagIfifPfEEvPT1_llT2_lT0_lS6_,comdat
.Lfunc_end29:
	.size	_ZN9rocsolver6v33100L12restore_diagIfifPfEEvPT1_llT2_lT0_lS6_, .Lfunc_end29-_ZN9rocsolver6v33100L12restore_diagIfifPfEEvPT1_llT2_lT0_lS6_
                                        ; -- End function
	.section	.AMDGPU.csdata,"",@progbits
; Kernel info:
; codeLenInByte = 304
; NumSgprs: 19
; NumVgprs: 5
; ScratchSize: 0
; MemoryBound: 0
; FloatMode: 240
; IeeeMode: 1
; LDSByteSize: 0 bytes/workgroup (compile time only)
; SGPRBlocks: 2
; VGPRBlocks: 0
; NumSGPRsForWavesPerEU: 19
; NumVGPRsForWavesPerEU: 5
; Occupancy: 16
; WaveLimiterHint : 0
; COMPUTE_PGM_RSRC2:SCRATCH_EN: 0
; COMPUTE_PGM_RSRC2:USER_SGPR: 14
; COMPUTE_PGM_RSRC2:TRAP_HANDLER: 0
; COMPUTE_PGM_RSRC2:TGID_X_EN: 1
; COMPUTE_PGM_RSRC2:TGID_Y_EN: 1
; COMPUTE_PGM_RSRC2:TGID_Z_EN: 0
; COMPUTE_PGM_RSRC2:TIDIG_COMP_CNT: 1
	.section	.text._ZN9rocsolver6v33100L14set_triangularIfPfTnNSt9enable_ifIXnt18rocblas_is_complexIT_EEiE4typeELi0EEEviiT0_iilPS4_lS8_il15rocblas_direct_15rocblas_storev_b,"axG",@progbits,_ZN9rocsolver6v33100L14set_triangularIfPfTnNSt9enable_ifIXnt18rocblas_is_complexIT_EEiE4typeELi0EEEviiT0_iilPS4_lS8_il15rocblas_direct_15rocblas_storev_b,comdat
	.globl	_ZN9rocsolver6v33100L14set_triangularIfPfTnNSt9enable_ifIXnt18rocblas_is_complexIT_EEiE4typeELi0EEEviiT0_iilPS4_lS8_il15rocblas_direct_15rocblas_storev_b ; -- Begin function _ZN9rocsolver6v33100L14set_triangularIfPfTnNSt9enable_ifIXnt18rocblas_is_complexIT_EEiE4typeELi0EEEviiT0_iilPS4_lS8_il15rocblas_direct_15rocblas_storev_b
	.p2align	8
	.type	_ZN9rocsolver6v33100L14set_triangularIfPfTnNSt9enable_ifIXnt18rocblas_is_complexIT_EEiE4typeELi0EEEviiT0_iilPS4_lS8_il15rocblas_direct_15rocblas_storev_b,@function
_ZN9rocsolver6v33100L14set_triangularIfPfTnNSt9enable_ifIXnt18rocblas_is_complexIT_EEiE4typeELi0EEEviiT0_iilPS4_lS8_il15rocblas_direct_15rocblas_storev_b: ; @_ZN9rocsolver6v33100L14set_triangularIfPfTnNSt9enable_ifIXnt18rocblas_is_complexIT_EEiE4typeELi0EEEviiT0_iilPS4_lS8_il15rocblas_direct_15rocblas_storev_b
; %bb.0:
	s_clause 0x1
	s_load_b32 s2, s[0:1], 0x64
	s_load_b64 s[16:17], s[0:1], 0x0
	v_and_b32_e32 v2, 0x3ff, v0
	v_bfe_u32 v4, v0, 10, 10
	s_waitcnt lgkmcnt(0)
	s_lshr_b32 s3, s2, 16
	s_and_b32 s2, s2, 0xffff
	s_delay_alu instid0(SALU_CYCLE_1) | instskip(SKIP_2) | instid1(VALU_DEP_1)
	v_mad_u64_u32 v[0:1], null, s13, s2, v[2:3]
	v_mad_u64_u32 v[2:3], null, s14, s3, v[4:5]
	s_mov_b32 s2, exec_lo
	v_max_u32_e32 v1, v0, v2
	s_delay_alu instid0(VALU_DEP_1)
	v_cmpx_gt_u32_e64 s17, v1
	s_cbranch_execz .LBB30_36
; %bb.1:
	s_clause 0x2
	s_load_b256 s[4:11], s[0:1], 0x18
	s_load_b64 s[2:3], s[0:1], 0x40
	s_load_b32 s12, s[0:1], 0x38
	s_waitcnt lgkmcnt(0)
	s_mul_i32 s9, s15, s9
	s_mul_hi_u32 s13, s15, s8
	s_mul_i32 s8, s15, s8
	s_add_i32 s9, s13, s9
	s_mul_i32 s3, s15, s3
	s_lshl_b64 s[8:9], s[8:9], 2
	s_mul_hi_u32 s18, s15, s2
	s_add_u32 s13, s6, s8
	s_mul_i32 s2, s15, s2
	s_addc_u32 s14, s7, s9
	s_add_i32 s3, s18, s3
	s_delay_alu instid0(SALU_CYCLE_1) | instskip(NEXT) | instid1(SALU_CYCLE_1)
	s_lshl_b64 s[2:3], s[2:3], 2
	s_add_u32 s6, s10, s2
	s_addc_u32 s7, s11, s3
	s_mov_b32 s2, exec_lo
	v_cmpx_ne_u32_e64 v2, v0
	s_xor_b32 s18, exec_lo, s2
	s_cbranch_execz .LBB30_34
; %bb.2:
	s_clause 0x1
	s_load_b128 s[8:11], s[0:1], 0x8
	s_load_b128 s[0:3], s[0:1], 0x48
	s_waitcnt lgkmcnt(0)
	s_mul_i32 s3, s15, s5
	s_mul_hi_u32 s5, s15, s4
	s_mul_i32 s4, s15, s4
	s_add_i32 s5, s5, s3
	v_mov_b32_e32 v1, 0
	s_lshl_b64 s[4:5], s[4:5], 2
	s_ashr_i32 s21, s10, 31
	s_mov_b32 s20, s10
	s_add_u32 s3, s8, s4
	s_addc_u32 s8, s9, s5
	s_lshl_b64 s[4:5], s[20:21], 2
	s_delay_alu instid0(SALU_CYCLE_1) | instskip(SKIP_3) | instid1(SALU_CYCLE_1)
	s_add_u32 s3, s3, s4
	s_addc_u32 s4, s8, s5
	s_bitcmp1_b32 s2, 0
	s_cselect_b32 s2, -1, 0
	s_xor_b32 s2, s2, -1
	s_cmpk_lg_i32 s0, 0xab
	s_mov_b32 s0, -1
	s_cbranch_scc0 .LBB30_18
; %bb.3:
	s_mov_b32 s0, exec_lo
	v_cmpx_le_u32_e64 v2, v0
	s_xor_b32 s0, exec_lo, s0
	s_cbranch_execz .LBB30_5
; %bb.4:
	v_mad_u64_u32 v[4:5], null, v0, s12, 0
	s_ashr_i32 s5, s12, 31
	s_delay_alu instid0(VALU_DEP_1) | instskip(NEXT) | instid1(VALU_DEP_1)
	v_mov_b32_e32 v3, v5
	v_mad_u64_u32 v[5:6], null, v0, s5, v[3:4]
	v_mov_b32_e32 v3, 0
	s_delay_alu instid0(VALU_DEP_1) | instskip(NEXT) | instid1(VALU_DEP_3)
	v_lshlrev_b64 v[6:7], 2, v[2:3]
	v_lshlrev_b64 v[4:5], 2, v[4:5]
	s_delay_alu instid0(VALU_DEP_1) | instskip(NEXT) | instid1(VALU_DEP_2)
	v_add_co_u32 v4, vcc_lo, s6, v4
	v_add_co_ci_u32_e32 v5, vcc_lo, s7, v5, vcc_lo
	s_delay_alu instid0(VALU_DEP_2) | instskip(NEXT) | instid1(VALU_DEP_2)
	v_add_co_u32 v4, vcc_lo, v4, v6
	v_add_co_ci_u32_e32 v5, vcc_lo, v5, v7, vcc_lo
	global_store_b32 v[4:5], v3, off
.LBB30_5:
	s_and_not1_saveexec_b32 s0, s0
	s_cbranch_execz .LBB30_17
; %bb.6:
	v_lshlrev_b64 v[3:4], 2, v[0:1]
	s_cmpk_lg_i32 s1, 0xb5
	s_mov_b32 s5, -1
	s_delay_alu instid0(VALU_DEP_1) | instskip(NEXT) | instid1(VALU_DEP_2)
	v_add_co_u32 v3, vcc_lo, s13, v3
	v_add_co_ci_u32_e32 v4, vcc_lo, s14, v4, vcc_lo
	global_load_b32 v5, v[3:4], off
	s_cbranch_scc0 .LBB30_12
; %bb.7:
	v_mov_b32_e32 v3, 0
	s_and_not1_b32 vcc_lo, exec_lo, s2
	s_delay_alu instid0(VALU_DEP_1)
	v_lshlrev_b64 v[3:4], 2, v[2:3]
	s_cbranch_vccnz .LBB30_9
; %bb.8:
	s_sub_i32 s5, s16, s17
	s_delay_alu instid0(SALU_CYCLE_1) | instskip(SKIP_1) | instid1(VALU_DEP_1)
	v_add_nc_u32_e32 v10, s5, v0
	s_ashr_i32 s5, s11, 31
	v_mad_u64_u32 v[6:7], null, v10, s11, 0
	s_delay_alu instid0(VALU_DEP_1) | instskip(SKIP_1) | instid1(VALU_DEP_1)
	v_mad_u64_u32 v[8:9], null, v10, s5, v[7:8]
	s_ashr_i32 s5, s12, 31
	v_mov_b32_e32 v7, v8
	s_delay_alu instid0(VALU_DEP_1) | instskip(NEXT) | instid1(VALU_DEP_1)
	v_lshlrev_b64 v[6:7], 2, v[6:7]
	v_add_co_u32 v6, vcc_lo, s3, v6
	s_delay_alu instid0(VALU_DEP_2) | instskip(NEXT) | instid1(VALU_DEP_2)
	v_add_co_ci_u32_e32 v7, vcc_lo, s4, v7, vcc_lo
	v_add_co_u32 v6, vcc_lo, v6, v3
	s_delay_alu instid0(VALU_DEP_2) | instskip(SKIP_2) | instid1(VALU_DEP_1)
	v_add_co_ci_u32_e32 v7, vcc_lo, v7, v4, vcc_lo
	global_load_b32 v10, v[6:7], off
	v_mad_u64_u32 v[6:7], null, v0, s12, 0
	v_mad_u64_u32 v[8:9], null, v0, s5, v[7:8]
	s_mov_b32 s5, 0
	s_delay_alu instid0(VALU_DEP_1) | instskip(NEXT) | instid1(VALU_DEP_1)
	v_mov_b32_e32 v7, v8
	v_lshlrev_b64 v[6:7], 2, v[6:7]
	s_delay_alu instid0(VALU_DEP_1) | instskip(NEXT) | instid1(VALU_DEP_2)
	v_add_co_u32 v6, vcc_lo, s6, v6
	v_add_co_ci_u32_e32 v7, vcc_lo, s7, v7, vcc_lo
	s_delay_alu instid0(VALU_DEP_2) | instskip(NEXT) | instid1(VALU_DEP_2)
	v_add_co_u32 v6, vcc_lo, v6, v3
	v_add_co_ci_u32_e32 v7, vcc_lo, v7, v4, vcc_lo
	s_waitcnt vmcnt(0)
	v_mul_f32_e64 v8, v10, -v5
	global_store_b32 v[6:7], v8, off
.LBB30_9:
	s_and_not1_b32 vcc_lo, exec_lo, s5
	s_cbranch_vccnz .LBB30_11
; %bb.10:
	s_sub_i32 s5, s16, s17
	v_mad_u64_u32 v[6:7], null, v0, s12, 0
	v_add_nc_u32_e32 v13, s5, v0
	s_ashr_i32 s5, s12, 31
	s_delay_alu instid0(VALU_DEP_1) | instskip(NEXT) | instid1(VALU_DEP_1)
	v_mad_u64_u32 v[8:9], null, v13, s11, 0
	v_mad_u64_u32 v[10:11], null, v0, s5, v[7:8]
	s_ashr_i32 s5, s11, 31
	s_delay_alu instid0(VALU_DEP_1) | instid1(SALU_CYCLE_1)
	v_mad_u64_u32 v[11:12], null, v13, s5, v[9:10]
	v_mov_b32_e32 v7, v10
	s_delay_alu instid0(VALU_DEP_1) | instskip(NEXT) | instid1(VALU_DEP_3)
	v_lshlrev_b64 v[6:7], 2, v[6:7]
	v_mov_b32_e32 v9, v11
	s_delay_alu instid0(VALU_DEP_2) | instskip(NEXT) | instid1(VALU_DEP_2)
	v_add_co_u32 v6, vcc_lo, s6, v6
	v_lshlrev_b64 v[8:9], 2, v[8:9]
	s_delay_alu instid0(VALU_DEP_4) | instskip(NEXT) | instid1(VALU_DEP_2)
	v_add_co_ci_u32_e32 v7, vcc_lo, s7, v7, vcc_lo
	v_add_co_u32 v8, vcc_lo, s3, v8
	s_delay_alu instid0(VALU_DEP_3) | instskip(SKIP_1) | instid1(VALU_DEP_4)
	v_add_co_ci_u32_e32 v9, vcc_lo, s4, v9, vcc_lo
	v_add_co_u32 v6, vcc_lo, v6, v3
	v_add_co_ci_u32_e32 v7, vcc_lo, v7, v4, vcc_lo
	s_delay_alu instid0(VALU_DEP_4) | instskip(NEXT) | instid1(VALU_DEP_4)
	v_add_co_u32 v3, vcc_lo, v8, v3
	v_add_co_ci_u32_e32 v4, vcc_lo, v9, v4, vcc_lo
	global_load_b32 v8, v[6:7], off
	global_load_b32 v3, v[3:4], off
	s_waitcnt vmcnt(0)
	v_add_f32_e32 v3, v8, v3
	s_delay_alu instid0(VALU_DEP_1)
	v_mul_f32_e64 v3, v3, -v5
	global_store_b32 v[6:7], v3, off
.LBB30_11:
	s_mov_b32 s5, 0
.LBB30_12:
	s_delay_alu instid0(SALU_CYCLE_1)
	s_and_not1_b32 vcc_lo, exec_lo, s5
	s_cbranch_vccnz .LBB30_17
; %bb.13:
	s_and_not1_b32 vcc_lo, exec_lo, s2
	s_mov_b32 s5, -1
	s_cbranch_vccnz .LBB30_15
; %bb.14:
	v_mad_u64_u32 v[3:4], null, v2, s11, 0
	s_ashr_i32 s5, s11, 31
	s_waitcnt vmcnt(0)
	s_delay_alu instid0(VALU_DEP_1) | instskip(SKIP_1) | instid1(VALU_DEP_1)
	v_mad_u64_u32 v[6:7], null, v2, s5, v[4:5]
	s_sub_i32 s5, s16, s17
	v_dual_mov_b32 v7, 0 :: v_dual_mov_b32 v4, v6
	v_add_nc_u32_e32 v6, s5, v0
	s_ashr_i32 s5, s12, 31
	s_delay_alu instid0(VALU_DEP_2) | instskip(NEXT) | instid1(VALU_DEP_2)
	v_lshlrev_b64 v[3:4], 2, v[3:4]
	v_lshlrev_b64 v[8:9], 2, v[6:7]
	s_delay_alu instid0(VALU_DEP_2) | instskip(NEXT) | instid1(VALU_DEP_3)
	v_add_co_u32 v3, vcc_lo, s3, v3
	v_add_co_ci_u32_e32 v4, vcc_lo, s4, v4, vcc_lo
	s_delay_alu instid0(VALU_DEP_2) | instskip(NEXT) | instid1(VALU_DEP_2)
	v_add_co_u32 v3, vcc_lo, v3, v8
	v_add_co_ci_u32_e32 v4, vcc_lo, v4, v9, vcc_lo
	v_mad_u64_u32 v[8:9], null, v0, s12, 0
	global_load_b32 v11, v[3:4], off
	v_mov_b32_e32 v3, v9
	s_delay_alu instid0(VALU_DEP_1) | instskip(SKIP_2) | instid1(VALU_DEP_1)
	v_mad_u64_u32 v[9:10], null, v0, s5, v[3:4]
	v_mov_b32_e32 v3, v7
	s_mov_b32 s5, 0
	v_lshlrev_b64 v[3:4], 2, v[2:3]
	s_delay_alu instid0(VALU_DEP_3) | instskip(NEXT) | instid1(VALU_DEP_1)
	v_lshlrev_b64 v[6:7], 2, v[8:9]
	v_add_co_u32 v6, vcc_lo, s6, v6
	s_delay_alu instid0(VALU_DEP_2) | instskip(NEXT) | instid1(VALU_DEP_2)
	v_add_co_ci_u32_e32 v7, vcc_lo, s7, v7, vcc_lo
	v_add_co_u32 v3, vcc_lo, v6, v3
	s_delay_alu instid0(VALU_DEP_2)
	v_add_co_ci_u32_e32 v4, vcc_lo, v7, v4, vcc_lo
	s_waitcnt vmcnt(0)
	v_mul_f32_e64 v8, v11, -v5
	global_store_b32 v[3:4], v8, off
.LBB30_15:
	s_and_not1_b32 vcc_lo, exec_lo, s5
	s_cbranch_vccnz .LBB30_17
; %bb.16:
	v_mad_u64_u32 v[6:7], null, v0, s12, 0
	v_mad_u64_u32 v[8:9], null, v2, s11, 0
	s_ashr_i32 s5, s12, 31
	s_delay_alu instid0(VALU_DEP_1) | instskip(NEXT) | instid1(VALU_DEP_1)
	v_dual_mov_b32 v3, v7 :: v_dual_mov_b32 v4, v9
	v_mad_u64_u32 v[9:10], null, v0, s5, v[3:4]
	s_ashr_i32 s5, s11, 31
	v_mov_b32_e32 v3, 0
	s_waitcnt vmcnt(0)
	v_mad_u64_u32 v[10:11], null, v2, s5, v[4:5]
	s_sub_i32 s5, s16, s17
	s_delay_alu instid0(VALU_DEP_2) | instskip(SKIP_2) | instid1(VALU_DEP_4)
	v_dual_mov_b32 v7, v9 :: v_dual_mov_b32 v12, v3
	v_add_nc_u32_e32 v11, s5, v0
	v_lshlrev_b64 v[3:4], 2, v[2:3]
	v_mov_b32_e32 v9, v10
	s_delay_alu instid0(VALU_DEP_4) | instskip(NEXT) | instid1(VALU_DEP_4)
	v_lshlrev_b64 v[6:7], 2, v[6:7]
	v_lshlrev_b64 v[10:11], 2, v[11:12]
	s_delay_alu instid0(VALU_DEP_3) | instskip(NEXT) | instid1(VALU_DEP_3)
	v_lshlrev_b64 v[8:9], 2, v[8:9]
	v_add_co_u32 v6, vcc_lo, s6, v6
	s_delay_alu instid0(VALU_DEP_4) | instskip(NEXT) | instid1(VALU_DEP_3)
	v_add_co_ci_u32_e32 v7, vcc_lo, s7, v7, vcc_lo
	v_add_co_u32 v8, vcc_lo, s3, v8
	s_delay_alu instid0(VALU_DEP_4) | instskip(NEXT) | instid1(VALU_DEP_4)
	v_add_co_ci_u32_e32 v9, vcc_lo, s4, v9, vcc_lo
	v_add_co_u32 v3, vcc_lo, v6, v3
	s_delay_alu instid0(VALU_DEP_4) | instskip(NEXT) | instid1(VALU_DEP_4)
	v_add_co_ci_u32_e32 v4, vcc_lo, v7, v4, vcc_lo
	v_add_co_u32 v6, vcc_lo, v8, v10
	s_delay_alu instid0(VALU_DEP_4) | instskip(SKIP_4) | instid1(VALU_DEP_1)
	v_add_co_ci_u32_e32 v7, vcc_lo, v9, v11, vcc_lo
	global_load_b32 v8, v[3:4], off
	global_load_b32 v6, v[6:7], off
	s_waitcnt vmcnt(0)
	v_add_f32_e32 v6, v8, v6
	v_mul_f32_e64 v5, v6, -v5
	global_store_b32 v[3:4], v5, off
.LBB30_17:
	s_or_b32 exec_lo, exec_lo, s0
	s_mov_b32 s0, 0
.LBB30_18:
	s_delay_alu instid0(SALU_CYCLE_1)
	s_and_not1_b32 vcc_lo, exec_lo, s0
	s_cbranch_vccnz .LBB30_34
; %bb.19:
	s_mov_b32 s0, exec_lo
	v_cmpx_ge_u32_e64 v2, v0
	s_xor_b32 s0, exec_lo, s0
	s_cbranch_execz .LBB30_21
; %bb.20:
	s_waitcnt vmcnt(0)
	v_mad_u64_u32 v[4:5], null, v0, s12, 0
	s_ashr_i32 s5, s12, 31
	v_mov_b32_e32 v3, 0
	s_delay_alu instid0(VALU_DEP_2) | instskip(NEXT) | instid1(VALU_DEP_1)
	v_mov_b32_e32 v1, v5
	v_mad_u64_u32 v[5:6], null, v0, s5, v[1:2]
	s_delay_alu instid0(VALU_DEP_1) | instskip(NEXT) | instid1(VALU_DEP_4)
	v_lshlrev_b64 v[0:1], 2, v[4:5]
	v_lshlrev_b64 v[4:5], 2, v[2:3]
	s_delay_alu instid0(VALU_DEP_2) | instskip(NEXT) | instid1(VALU_DEP_3)
	v_add_co_u32 v0, vcc_lo, s6, v0
	v_add_co_ci_u32_e32 v1, vcc_lo, s7, v1, vcc_lo
	s_delay_alu instid0(VALU_DEP_2) | instskip(NEXT) | instid1(VALU_DEP_2)
	v_add_co_u32 v0, vcc_lo, v0, v4
	v_add_co_ci_u32_e32 v1, vcc_lo, v1, v5, vcc_lo
	global_store_b32 v[0:1], v3, off
                                        ; implicit-def: $vgpr0_vgpr1
                                        ; implicit-def: $vgpr2_vgpr3
.LBB30_21:
	s_and_not1_saveexec_b32 s0, s0
	s_cbranch_execz .LBB30_33
; %bb.22:
	s_waitcnt vmcnt(0)
	v_lshlrev_b64 v[4:5], 2, v[0:1]
	v_mov_b32_e32 v3, 0
	s_cmpk_lg_i32 s1, 0xb5
	s_mov_b32 s1, -1
	s_delay_alu instid0(VALU_DEP_2) | instskip(NEXT) | instid1(VALU_DEP_3)
	v_add_co_u32 v6, vcc_lo, s13, v4
	v_add_co_ci_u32_e32 v7, vcc_lo, s14, v5, vcc_lo
	global_load_b32 v1, v[6:7], off
	v_cndmask_b32_e64 v6, 0, 1, s2
	s_delay_alu instid0(VALU_DEP_1)
	v_cmp_ne_u32_e32 vcc_lo, 1, v6
	s_cbranch_scc0 .LBB30_28
; %bb.23:
	s_and_b32 vcc_lo, exec_lo, vcc_lo
	s_cbranch_vccnz .LBB30_25
; %bb.24:
	v_mad_u64_u32 v[6:7], null, v0, s11, 0
	s_ashr_i32 s1, s11, 31
	s_delay_alu instid0(VALU_DEP_1) | instid1(SALU_CYCLE_1)
	v_mad_u64_u32 v[8:9], null, v0, s1, v[7:8]
	s_ashr_i32 s1, s12, 31
	s_delay_alu instid0(VALU_DEP_1) | instskip(SKIP_1) | instid1(VALU_DEP_2)
	v_mov_b32_e32 v7, v8
	v_lshlrev_b64 v[8:9], 2, v[2:3]
	v_lshlrev_b64 v[6:7], 2, v[6:7]
	s_delay_alu instid0(VALU_DEP_1) | instskip(NEXT) | instid1(VALU_DEP_2)
	v_add_co_u32 v6, vcc_lo, s3, v6
	v_add_co_ci_u32_e32 v7, vcc_lo, s4, v7, vcc_lo
	s_delay_alu instid0(VALU_DEP_2) | instskip(NEXT) | instid1(VALU_DEP_2)
	v_add_co_u32 v6, vcc_lo, v6, v8
	v_add_co_ci_u32_e32 v7, vcc_lo, v7, v9, vcc_lo
	global_load_b32 v12, v[6:7], off
	v_mad_u64_u32 v[6:7], null, v0, s12, 0
	s_delay_alu instid0(VALU_DEP_1) | instskip(SKIP_1) | instid1(VALU_DEP_1)
	v_mad_u64_u32 v[10:11], null, v0, s1, v[7:8]
	s_mov_b32 s1, 0
	v_mov_b32_e32 v7, v10
	s_delay_alu instid0(VALU_DEP_1) | instskip(NEXT) | instid1(VALU_DEP_1)
	v_lshlrev_b64 v[6:7], 2, v[6:7]
	v_add_co_u32 v6, vcc_lo, s6, v6
	s_delay_alu instid0(VALU_DEP_2) | instskip(NEXT) | instid1(VALU_DEP_2)
	v_add_co_ci_u32_e32 v7, vcc_lo, s7, v7, vcc_lo
	v_add_co_u32 v6, vcc_lo, v6, v8
	s_delay_alu instid0(VALU_DEP_2)
	v_add_co_ci_u32_e32 v7, vcc_lo, v7, v9, vcc_lo
	s_waitcnt vmcnt(0)
	v_mul_f32_e64 v10, v12, -v1
	global_store_b32 v[6:7], v10, off
.LBB30_25:
	s_and_not1_b32 vcc_lo, exec_lo, s1
	s_cbranch_vccnz .LBB30_27
; %bb.26:
	v_mad_u64_u32 v[6:7], null, v0, s12, 0
	v_mad_u64_u32 v[8:9], null, v0, s11, 0
	s_ashr_i32 s1, s12, 31
	s_delay_alu instid0(VALU_DEP_1) | instid1(SALU_CYCLE_1)
	v_mad_u64_u32 v[10:11], null, v0, s1, v[7:8]
	s_ashr_i32 s1, s11, 31
	s_delay_alu instid0(VALU_DEP_1) | instid1(SALU_CYCLE_1)
	v_mad_u64_u32 v[11:12], null, v0, s1, v[9:10]
	v_mov_b32_e32 v7, v10
	s_delay_alu instid0(VALU_DEP_1) | instskip(NEXT) | instid1(VALU_DEP_3)
	v_lshlrev_b64 v[6:7], 2, v[6:7]
	v_mov_b32_e32 v9, v11
	v_lshlrev_b64 v[10:11], 2, v[2:3]
	s_delay_alu instid0(VALU_DEP_3) | instskip(NEXT) | instid1(VALU_DEP_3)
	v_add_co_u32 v6, vcc_lo, s6, v6
	v_lshlrev_b64 v[8:9], 2, v[8:9]
	v_add_co_ci_u32_e32 v7, vcc_lo, s7, v7, vcc_lo
	s_delay_alu instid0(VALU_DEP_2) | instskip(NEXT) | instid1(VALU_DEP_3)
	v_add_co_u32 v8, vcc_lo, s3, v8
	v_add_co_ci_u32_e32 v9, vcc_lo, s4, v9, vcc_lo
	v_add_co_u32 v6, vcc_lo, v6, v10
	s_delay_alu instid0(VALU_DEP_4) | instskip(NEXT) | instid1(VALU_DEP_4)
	v_add_co_ci_u32_e32 v7, vcc_lo, v7, v11, vcc_lo
	v_add_co_u32 v8, vcc_lo, v8, v10
	s_delay_alu instid0(VALU_DEP_4) | instskip(SKIP_4) | instid1(VALU_DEP_1)
	v_add_co_ci_u32_e32 v9, vcc_lo, v9, v11, vcc_lo
	global_load_b32 v10, v[6:7], off
	global_load_b32 v8, v[8:9], off
	s_waitcnt vmcnt(0)
	v_add_f32_e32 v8, v10, v8
	v_mul_f32_e64 v8, v8, -v1
	global_store_b32 v[6:7], v8, off
.LBB30_27:
	s_mov_b32 s1, 0
.LBB30_28:
	s_delay_alu instid0(SALU_CYCLE_1)
	s_and_not1_b32 vcc_lo, exec_lo, s1
	s_cbranch_vccnz .LBB30_33
; %bb.29:
	v_lshlrev_b64 v[6:7], 2, v[2:3]
	s_and_not1_b32 vcc_lo, exec_lo, s2
	s_mov_b32 s1, -1
	s_cbranch_vccnz .LBB30_31
; %bb.30:
	v_mad_u64_u32 v[8:9], null, v2, s11, 0
	s_ashr_i32 s1, s11, 31
	s_delay_alu instid0(VALU_DEP_1) | instskip(NEXT) | instid1(VALU_DEP_1)
	v_mov_b32_e32 v3, v9
	v_mad_u64_u32 v[9:10], null, v2, s1, v[3:4]
	s_ashr_i32 s1, s12, 31
	s_delay_alu instid0(VALU_DEP_1) | instskip(NEXT) | instid1(VALU_DEP_1)
	v_lshlrev_b64 v[8:9], 2, v[8:9]
	v_add_co_u32 v3, vcc_lo, s3, v8
	s_delay_alu instid0(VALU_DEP_2) | instskip(NEXT) | instid1(VALU_DEP_2)
	v_add_co_ci_u32_e32 v9, vcc_lo, s4, v9, vcc_lo
	v_add_co_u32 v8, vcc_lo, v3, v4
	s_delay_alu instid0(VALU_DEP_2) | instskip(SKIP_2) | instid1(VALU_DEP_1)
	v_add_co_ci_u32_e32 v9, vcc_lo, v9, v5, vcc_lo
	global_load_b32 v11, v[8:9], off
	v_mad_u64_u32 v[8:9], null, v0, s12, 0
	v_mov_b32_e32 v3, v9
	s_delay_alu instid0(VALU_DEP_1) | instskip(SKIP_1) | instid1(VALU_DEP_1)
	v_mad_u64_u32 v[9:10], null, v0, s1, v[3:4]
	s_mov_b32 s1, 0
	v_lshlrev_b64 v[8:9], 2, v[8:9]
	s_delay_alu instid0(VALU_DEP_1) | instskip(NEXT) | instid1(VALU_DEP_2)
	v_add_co_u32 v3, vcc_lo, s6, v8
	v_add_co_ci_u32_e32 v9, vcc_lo, s7, v9, vcc_lo
	s_delay_alu instid0(VALU_DEP_2) | instskip(NEXT) | instid1(VALU_DEP_2)
	v_add_co_u32 v8, vcc_lo, v3, v6
	v_add_co_ci_u32_e32 v9, vcc_lo, v9, v7, vcc_lo
	s_waitcnt vmcnt(0)
	v_mul_f32_e64 v10, v11, -v1
	global_store_b32 v[8:9], v10, off
.LBB30_31:
	s_and_not1_b32 vcc_lo, exec_lo, s1
	s_cbranch_vccnz .LBB30_33
; %bb.32:
	v_mad_u64_u32 v[8:9], null, v0, s12, 0
	v_mad_u64_u32 v[10:11], null, v2, s11, 0
	s_ashr_i32 s1, s12, 31
	s_delay_alu instid0(VALU_DEP_2) | instskip(NEXT) | instid1(VALU_DEP_2)
	v_mov_b32_e32 v3, v9
	v_mov_b32_e32 v9, v11
	s_delay_alu instid0(VALU_DEP_2)
	v_mad_u64_u32 v[11:12], null, v0, s1, v[3:4]
	s_ashr_i32 s1, s11, 31
	s_delay_alu instid0(VALU_DEP_2) | instid1(SALU_CYCLE_1)
	v_mad_u64_u32 v[12:13], null, v2, s1, v[9:10]
	s_delay_alu instid0(VALU_DEP_2) | instskip(NEXT) | instid1(VALU_DEP_2)
	v_mov_b32_e32 v9, v11
	v_mov_b32_e32 v11, v12
	s_delay_alu instid0(VALU_DEP_2) | instskip(NEXT) | instid1(VALU_DEP_2)
	v_lshlrev_b64 v[2:3], 2, v[8:9]
	v_lshlrev_b64 v[8:9], 2, v[10:11]
	s_delay_alu instid0(VALU_DEP_2) | instskip(NEXT) | instid1(VALU_DEP_3)
	v_add_co_u32 v0, vcc_lo, s6, v2
	v_add_co_ci_u32_e32 v3, vcc_lo, s7, v3, vcc_lo
	s_delay_alu instid0(VALU_DEP_3) | instskip(NEXT) | instid1(VALU_DEP_4)
	v_add_co_u32 v8, vcc_lo, s3, v8
	v_add_co_ci_u32_e32 v9, vcc_lo, s4, v9, vcc_lo
	s_delay_alu instid0(VALU_DEP_4) | instskip(NEXT) | instid1(VALU_DEP_4)
	v_add_co_u32 v2, vcc_lo, v0, v6
	v_add_co_ci_u32_e32 v3, vcc_lo, v3, v7, vcc_lo
	s_delay_alu instid0(VALU_DEP_4) | instskip(NEXT) | instid1(VALU_DEP_4)
	v_add_co_u32 v4, vcc_lo, v8, v4
	v_add_co_ci_u32_e32 v5, vcc_lo, v9, v5, vcc_lo
	global_load_b32 v0, v[2:3], off
	global_load_b32 v4, v[4:5], off
	s_waitcnt vmcnt(0)
	v_add_f32_e32 v0, v0, v4
	s_delay_alu instid0(VALU_DEP_1)
	v_mul_f32_e64 v0, v0, -v1
	global_store_b32 v[2:3], v0, off
.LBB30_33:
	s_or_b32 exec_lo, exec_lo, s0
                                        ; implicit-def: $vgpr0_vgpr1
.LBB30_34:
	s_and_not1_saveexec_b32 s0, s18
	s_cbranch_execz .LBB30_36
; %bb.35:
	s_waitcnt vmcnt(0)
	v_mov_b32_e32 v1, 0
	s_ashr_i32 s0, s12, 31
	s_delay_alu instid0(VALU_DEP_1) | instskip(NEXT) | instid1(VALU_DEP_1)
	v_lshlrev_b64 v[1:2], 2, v[0:1]
	v_add_co_u32 v3, vcc_lo, s13, v1
	s_delay_alu instid0(VALU_DEP_2) | instskip(SKIP_2) | instid1(VALU_DEP_1)
	v_add_co_ci_u32_e32 v4, vcc_lo, s14, v2, vcc_lo
	global_load_b32 v7, v[3:4], off
	v_mad_u64_u32 v[3:4], null, v0, s12, 0
	v_mad_u64_u32 v[5:6], null, v0, s0, v[4:5]
	s_delay_alu instid0(VALU_DEP_1) | instskip(NEXT) | instid1(VALU_DEP_1)
	v_mov_b32_e32 v4, v5
	v_lshlrev_b64 v[3:4], 2, v[3:4]
	s_delay_alu instid0(VALU_DEP_1) | instskip(NEXT) | instid1(VALU_DEP_2)
	v_add_co_u32 v0, vcc_lo, s6, v3
	v_add_co_ci_u32_e32 v3, vcc_lo, s7, v4, vcc_lo
	s_delay_alu instid0(VALU_DEP_2) | instskip(NEXT) | instid1(VALU_DEP_2)
	v_add_co_u32 v0, vcc_lo, v0, v1
	v_add_co_ci_u32_e32 v1, vcc_lo, v3, v2, vcc_lo
	s_waitcnt vmcnt(0)
	global_store_b32 v[0:1], v7, off
.LBB30_36:
	s_nop 0
	s_sendmsg sendmsg(MSG_DEALLOC_VGPRS)
	s_endpgm
	.section	.rodata,"a",@progbits
	.p2align	6, 0x0
	.amdhsa_kernel _ZN9rocsolver6v33100L14set_triangularIfPfTnNSt9enable_ifIXnt18rocblas_is_complexIT_EEiE4typeELi0EEEviiT0_iilPS4_lS8_il15rocblas_direct_15rocblas_storev_b
		.amdhsa_group_segment_fixed_size 0
		.amdhsa_private_segment_fixed_size 0
		.amdhsa_kernarg_size 344
		.amdhsa_user_sgpr_count 13
		.amdhsa_user_sgpr_dispatch_ptr 0
		.amdhsa_user_sgpr_queue_ptr 0
		.amdhsa_user_sgpr_kernarg_segment_ptr 1
		.amdhsa_user_sgpr_dispatch_id 0
		.amdhsa_user_sgpr_private_segment_size 0
		.amdhsa_wavefront_size32 1
		.amdhsa_uses_dynamic_stack 0
		.amdhsa_enable_private_segment 0
		.amdhsa_system_sgpr_workgroup_id_x 1
		.amdhsa_system_sgpr_workgroup_id_y 1
		.amdhsa_system_sgpr_workgroup_id_z 1
		.amdhsa_system_sgpr_workgroup_info 0
		.amdhsa_system_vgpr_workitem_id 1
		.amdhsa_next_free_vgpr 14
		.amdhsa_next_free_sgpr 22
		.amdhsa_reserve_vcc 1
		.amdhsa_float_round_mode_32 0
		.amdhsa_float_round_mode_16_64 0
		.amdhsa_float_denorm_mode_32 3
		.amdhsa_float_denorm_mode_16_64 3
		.amdhsa_dx10_clamp 1
		.amdhsa_ieee_mode 1
		.amdhsa_fp16_overflow 0
		.amdhsa_workgroup_processor_mode 1
		.amdhsa_memory_ordered 1
		.amdhsa_forward_progress 0
		.amdhsa_shared_vgpr_count 0
		.amdhsa_exception_fp_ieee_invalid_op 0
		.amdhsa_exception_fp_denorm_src 0
		.amdhsa_exception_fp_ieee_div_zero 0
		.amdhsa_exception_fp_ieee_overflow 0
		.amdhsa_exception_fp_ieee_underflow 0
		.amdhsa_exception_fp_ieee_inexact 0
		.amdhsa_exception_int_div_zero 0
	.end_amdhsa_kernel
	.section	.text._ZN9rocsolver6v33100L14set_triangularIfPfTnNSt9enable_ifIXnt18rocblas_is_complexIT_EEiE4typeELi0EEEviiT0_iilPS4_lS8_il15rocblas_direct_15rocblas_storev_b,"axG",@progbits,_ZN9rocsolver6v33100L14set_triangularIfPfTnNSt9enable_ifIXnt18rocblas_is_complexIT_EEiE4typeELi0EEEviiT0_iilPS4_lS8_il15rocblas_direct_15rocblas_storev_b,comdat
.Lfunc_end30:
	.size	_ZN9rocsolver6v33100L14set_triangularIfPfTnNSt9enable_ifIXnt18rocblas_is_complexIT_EEiE4typeELi0EEEviiT0_iilPS4_lS8_il15rocblas_direct_15rocblas_storev_b, .Lfunc_end30-_ZN9rocsolver6v33100L14set_triangularIfPfTnNSt9enable_ifIXnt18rocblas_is_complexIT_EEiE4typeELi0EEEviiT0_iilPS4_lS8_il15rocblas_direct_15rocblas_storev_b
                                        ; -- End function
	.section	.AMDGPU.csdata,"",@progbits
; Kernel info:
; codeLenInByte = 2524
; NumSgprs: 24
; NumVgprs: 14
; ScratchSize: 0
; MemoryBound: 0
; FloatMode: 240
; IeeeMode: 1
; LDSByteSize: 0 bytes/workgroup (compile time only)
; SGPRBlocks: 2
; VGPRBlocks: 1
; NumSGPRsForWavesPerEU: 24
; NumVGPRsForWavesPerEU: 14
; Occupancy: 16
; WaveLimiterHint : 0
; COMPUTE_PGM_RSRC2:SCRATCH_EN: 0
; COMPUTE_PGM_RSRC2:USER_SGPR: 13
; COMPUTE_PGM_RSRC2:TRAP_HANDLER: 0
; COMPUTE_PGM_RSRC2:TGID_X_EN: 1
; COMPUTE_PGM_RSRC2:TGID_Y_EN: 1
; COMPUTE_PGM_RSRC2:TGID_Z_EN: 1
; COMPUTE_PGM_RSRC2:TIDIG_COMP_CNT: 1
	.section	.text._ZN9rocsolver6v33100L7set_tauIfEEviPT_l,"axG",@progbits,_ZN9rocsolver6v33100L7set_tauIfEEviPT_l,comdat
	.globl	_ZN9rocsolver6v33100L7set_tauIfEEviPT_l ; -- Begin function _ZN9rocsolver6v33100L7set_tauIfEEviPT_l
	.p2align	8
	.type	_ZN9rocsolver6v33100L7set_tauIfEEviPT_l,@function
_ZN9rocsolver6v33100L7set_tauIfEEviPT_l: ; @_ZN9rocsolver6v33100L7set_tauIfEEviPT_l
; %bb.0:
	s_clause 0x1
	s_load_b32 s2, s[0:1], 0x24
	s_load_b32 s3, s[0:1], 0x0
	s_waitcnt lgkmcnt(0)
	s_and_b32 s2, s2, 0xffff
	s_delay_alu instid0(SALU_CYCLE_1) | instskip(SKIP_1) | instid1(VALU_DEP_1)
	v_mad_u64_u32 v[1:2], null, s14, s2, v[0:1]
	s_mov_b32 s2, exec_lo
	v_cmpx_gt_u32_e64 s3, v1
	s_cbranch_execz .LBB31_2
; %bb.1:
	s_load_b128 s[0:3], s[0:1], 0x8
	v_mov_b32_e32 v2, 0
	s_delay_alu instid0(VALU_DEP_1)
	v_lshlrev_b64 v[0:1], 2, v[1:2]
	s_waitcnt lgkmcnt(0)
	s_mul_i32 s3, s15, s3
	s_mul_hi_u32 s4, s15, s2
	s_mul_i32 s2, s15, s2
	s_add_i32 s3, s4, s3
	s_delay_alu instid0(SALU_CYCLE_1) | instskip(NEXT) | instid1(SALU_CYCLE_1)
	s_lshl_b64 s[2:3], s[2:3], 2
	s_add_u32 s0, s0, s2
	s_addc_u32 s1, s1, s3
	v_add_co_u32 v0, vcc_lo, s0, v0
	v_add_co_ci_u32_e32 v1, vcc_lo, s1, v1, vcc_lo
	global_load_b32 v2, v[0:1], off
	s_waitcnt vmcnt(0)
	v_xor_b32_e32 v2, 0x80000000, v2
	global_store_b32 v[0:1], v2, off
.LBB31_2:
	s_nop 0
	s_sendmsg sendmsg(MSG_DEALLOC_VGPRS)
	s_endpgm
	.section	.rodata,"a",@progbits
	.p2align	6, 0x0
	.amdhsa_kernel _ZN9rocsolver6v33100L7set_tauIfEEviPT_l
		.amdhsa_group_segment_fixed_size 0
		.amdhsa_private_segment_fixed_size 0
		.amdhsa_kernarg_size 280
		.amdhsa_user_sgpr_count 14
		.amdhsa_user_sgpr_dispatch_ptr 0
		.amdhsa_user_sgpr_queue_ptr 0
		.amdhsa_user_sgpr_kernarg_segment_ptr 1
		.amdhsa_user_sgpr_dispatch_id 0
		.amdhsa_user_sgpr_private_segment_size 0
		.amdhsa_wavefront_size32 1
		.amdhsa_uses_dynamic_stack 0
		.amdhsa_enable_private_segment 0
		.amdhsa_system_sgpr_workgroup_id_x 1
		.amdhsa_system_sgpr_workgroup_id_y 1
		.amdhsa_system_sgpr_workgroup_id_z 0
		.amdhsa_system_sgpr_workgroup_info 0
		.amdhsa_system_vgpr_workitem_id 0
		.amdhsa_next_free_vgpr 3
		.amdhsa_next_free_sgpr 16
		.amdhsa_reserve_vcc 1
		.amdhsa_float_round_mode_32 0
		.amdhsa_float_round_mode_16_64 0
		.amdhsa_float_denorm_mode_32 3
		.amdhsa_float_denorm_mode_16_64 3
		.amdhsa_dx10_clamp 1
		.amdhsa_ieee_mode 1
		.amdhsa_fp16_overflow 0
		.amdhsa_workgroup_processor_mode 1
		.amdhsa_memory_ordered 1
		.amdhsa_forward_progress 0
		.amdhsa_shared_vgpr_count 0
		.amdhsa_exception_fp_ieee_invalid_op 0
		.amdhsa_exception_fp_denorm_src 0
		.amdhsa_exception_fp_ieee_div_zero 0
		.amdhsa_exception_fp_ieee_overflow 0
		.amdhsa_exception_fp_ieee_underflow 0
		.amdhsa_exception_fp_ieee_inexact 0
		.amdhsa_exception_int_div_zero 0
	.end_amdhsa_kernel
	.section	.text._ZN9rocsolver6v33100L7set_tauIfEEviPT_l,"axG",@progbits,_ZN9rocsolver6v33100L7set_tauIfEEviPT_l,comdat
.Lfunc_end31:
	.size	_ZN9rocsolver6v33100L7set_tauIfEEviPT_l, .Lfunc_end31-_ZN9rocsolver6v33100L7set_tauIfEEviPT_l
                                        ; -- End function
	.section	.AMDGPU.csdata,"",@progbits
; Kernel info:
; codeLenInByte = 172
; NumSgprs: 18
; NumVgprs: 3
; ScratchSize: 0
; MemoryBound: 0
; FloatMode: 240
; IeeeMode: 1
; LDSByteSize: 0 bytes/workgroup (compile time only)
; SGPRBlocks: 2
; VGPRBlocks: 0
; NumSGPRsForWavesPerEU: 18
; NumVGPRsForWavesPerEU: 3
; Occupancy: 16
; WaveLimiterHint : 0
; COMPUTE_PGM_RSRC2:SCRATCH_EN: 0
; COMPUTE_PGM_RSRC2:USER_SGPR: 14
; COMPUTE_PGM_RSRC2:TRAP_HANDLER: 0
; COMPUTE_PGM_RSRC2:TGID_X_EN: 1
; COMPUTE_PGM_RSRC2:TGID_Y_EN: 1
; COMPUTE_PGM_RSRC2:TGID_Z_EN: 0
; COMPUTE_PGM_RSRC2:TIDIG_COMP_CNT: 0
	.section	.text._ZN9rocsolver6v33100L20larft_kernel_forwardIfPfEEv15rocblas_storev_iiT0_iilPT_lS6_il,"axG",@progbits,_ZN9rocsolver6v33100L20larft_kernel_forwardIfPfEEv15rocblas_storev_iiT0_iilPT_lS6_il,comdat
	.globl	_ZN9rocsolver6v33100L20larft_kernel_forwardIfPfEEv15rocblas_storev_iiT0_iilPT_lS6_il ; -- Begin function _ZN9rocsolver6v33100L20larft_kernel_forwardIfPfEEv15rocblas_storev_iiT0_iilPT_lS6_il
	.p2align	8
	.type	_ZN9rocsolver6v33100L20larft_kernel_forwardIfPfEEv15rocblas_storev_iiT0_iilPT_lS6_il,@function
_ZN9rocsolver6v33100L20larft_kernel_forwardIfPfEEv15rocblas_storev_iiT0_iilPT_lS6_il: ; @_ZN9rocsolver6v33100L20larft_kernel_forwardIfPfEEv15rocblas_storev_iiT0_iilPT_lS6_il
; %bb.0:
	s_clause 0x4
	s_load_b64 s[20:21], s[0:1], 0x48
	s_load_b128 s[16:19], s[0:1], 0x0
	s_load_b32 s13, s[0:1], 0x5c
	s_load_b256 s[4:11], s[0:1], 0x20
	s_load_b32 s3, s[0:1], 0x40
	s_ashr_i32 s12, s15, 31
	v_lshlrev_b32_e32 v6, 2, v0
	s_waitcnt lgkmcnt(0)
	s_mul_i32 s2, s15, s21
	s_mul_hi_u32 s14, s15, s20
	s_mul_i32 s19, s12, s20
	s_add_i32 s2, s14, s2
	s_mul_i32 s20, s15, s20
	s_add_i32 s21, s2, s19
	v_cmp_gt_i32_e64 s2, s18, v0
	s_lshl_b64 s[20:21], s[20:21], 2
	s_and_b32 s14, s13, 0xffff
	s_add_u32 s19, s10, s20
	s_addc_u32 s24, s11, s21
	s_and_saveexec_b32 s10, s2
	s_cbranch_execz .LBB32_5
; %bb.1:
	v_add_nc_u32_e32 v1, 4, v6
	s_lshl_b32 s13, s18, 2
	v_mov_b32_e32 v5, v0
	s_add_i32 s20, s13, 4
	s_add_i32 s21, s3, 1
	v_mul_lo_u32 v3, s18, v1
	v_mad_u64_u32 v[1:2], null, v0, s3, v[0:1]
	s_mov_b32 s11, 0
	s_mul_i32 s20, s20, s14
	s_mul_i32 s21, s21, s14
	s_delay_alu instid0(VALU_DEP_2)
	v_add3_u32 v4, v3, v6, 0
	.p2align	6
.LBB32_2:                               ; =>This Loop Header: Depth=1
                                        ;     Child Loop BB32_3 Depth 2
	s_delay_alu instid0(VALU_DEP_1)
	v_dual_mov_b32 v2, v1 :: v_dual_mov_b32 v7, v4
	v_mov_b32_e32 v8, v5
	s_mov_b32 s22, 0
	.p2align	6
.LBB32_3:                               ;   Parent Loop BB32_2 Depth=1
                                        ; =>  This Inner Loop Header: Depth=2
	s_delay_alu instid0(VALU_DEP_2) | instskip(NEXT) | instid1(VALU_DEP_2)
	v_ashrrev_i32_e32 v3, 31, v2
	v_add_nc_u32_e32 v8, 1, v8
	s_delay_alu instid0(VALU_DEP_2) | instskip(SKIP_1) | instid1(VALU_DEP_2)
	v_lshlrev_b64 v[9:10], 2, v[2:3]
	v_add_nc_u32_e32 v2, s3, v2
	v_add_co_u32 v9, vcc_lo, s19, v9
	s_delay_alu instid0(VALU_DEP_3)
	v_add_co_ci_u32_e32 v10, vcc_lo, s24, v10, vcc_lo
	v_cmp_le_i32_e32 vcc_lo, s18, v8
	global_load_b32 v3, v[9:10], off
	s_or_b32 s22, vcc_lo, s22
	s_waitcnt vmcnt(0)
	ds_store_b32 v7, v3
	v_add_nc_u32_e32 v7, s13, v7
	s_and_not1_b32 exec_lo, exec_lo, s22
	s_cbranch_execnz .LBB32_3
; %bb.4:                                ;   in Loop: Header=BB32_2 Depth=1
	s_or_b32 exec_lo, exec_lo, s22
	v_add_nc_u32_e32 v5, s14, v5
	v_add_nc_u32_e32 v4, s20, v4
	;; [unrolled: 1-line block ×3, first 2 shown]
	s_delay_alu instid0(VALU_DEP_3) | instskip(SKIP_1) | instid1(SALU_CYCLE_1)
	v_cmp_le_i32_e32 vcc_lo, s18, v5
	s_or_b32 s11, vcc_lo, s11
	s_and_not1_b32 exec_lo, exec_lo, s11
	s_cbranch_execnz .LBB32_2
.LBB32_5:
	s_or_b32 exec_lo, exec_lo, s10
	s_cmp_lt_i32 s18, 2
	s_waitcnt lgkmcnt(0)
	s_barrier
	buffer_gl0_inv
	s_cbranch_scc1 .LBB32_30
; %bb.6:
	s_load_b128 s[20:23], s[0:1], 0x10
	s_mul_i32 s1, s15, s9
	s_mul_hi_u32 s10, s15, s8
	s_mul_i32 s11, s12, s8
	s_add_i32 s1, s10, s1
	s_mul_i32 s0, s15, s8
	s_add_i32 s1, s1, s11
	s_mul_i32 s11, s5, s15
	s_lshl_b64 s[0:1], s[0:1], 2
	s_mul_hi_u32 s10, s4, s15
	s_mul_i32 s12, s4, s12
	v_add_nc_u32_e32 v3, 4, v6
	v_add_nc_u32_e32 v9, 0, v6
	s_mov_b32 s9, 0
	s_mov_b32 s8, 1
	s_delay_alu instid0(VALU_DEP_2)
	v_mul_lo_u32 v3, s18, v3
	s_waitcnt lgkmcnt(0)
	s_ashr_i32 s5, s22, 31
	s_add_u32 s25, s6, s0
	s_addc_u32 s26, s7, s1
	s_lshl_b32 s27, s18, 2
	s_mul_i32 s0, s4, s15
	s_add_i32 s15, s27, 0
	s_cmpk_lg_i32 s16, 0xb5
	s_mov_b32 s4, s22
	s_cselect_b32 s16, -1, 0
	s_add_i32 s1, s10, s12
	s_mov_b32 s6, s23
	s_add_i32 s1, s1, s11
	v_mul_lo_u32 v7, v0, s23
	s_lshl_b64 s[0:1], s[0:1], 2
	v_add3_u32 v8, v3, v6, 0
	s_add_u32 s22, s0, 4
	s_addc_u32 s28, s1, 0
	s_lshl_b64 s[10:11], s[4:5], 2
	v_add_co_u32 v1, s4, s0, v6
	s_add_u32 s29, s20, s10
	s_addc_u32 s30, s21, s11
	s_ashr_i32 s7, s23, 31
	v_add_co_ci_u32_e64 v2, null, s1, 0, s4
	s_lshl_b32 s4, s23, 1
	s_lshl_b32 s31, s14, 2
	s_lshl_b64 s[6:7], s[6:7], 2
	s_add_u32 s0, s0, s10
	s_addc_u32 s1, s1, s11
	s_add_u32 s0, s0, s20
	s_addc_u32 s1, s1, s21
	s_add_u32 s20, s0, 8
	s_addc_u32 s21, s1, 0
	s_add_i32 s34, s27, 4
	s_mul_i32 s33, s23, s14
	s_mul_i32 s34, s34, s14
	s_mov_b32 s10, s23
	s_branch .LBB32_8
.LBB32_7:                               ;   in Loop: Header=BB32_8 Depth=1
	s_or_b32 exec_lo, exec_lo, s0
	s_add_i32 s8, s8, 1
	s_add_u32 s22, s22, 4
	s_addc_u32 s28, s28, 0
	s_add_i32 s4, s4, s23
	s_add_u32 s20, s20, 4
	s_addc_u32 s21, s21, 0
	s_add_i32 s10, s10, s23
	s_cmp_eq_u32 s8, s18
	s_waitcnt lgkmcnt(0)
	s_barrier
	buffer_gl0_inv
	s_cbranch_scc1 .LBB32_30
.LBB32_8:                               ; =>This Loop Header: Depth=1
                                        ;     Child Loop BB32_12 Depth 2
                                        ;       Child Loop BB32_14 Depth 3
                                        ;     Child Loop BB32_21 Depth 2
                                        ;       Child Loop BB32_23 Depth 3
                                        ;     Child Loop BB32_27 Depth 2
                                        ;       Child Loop BB32_28 Depth 3
	s_mul_i32 s0, s8, s18
	s_not_b32 s36, s8
	s_lshl_b32 s0, s0, 2
	s_add_i32 s36, s36, s17
	s_add_i32 s35, s15, s0
	v_cmp_gt_u32_e64 s0, s8, v0
	s_and_b32 vcc_lo, exec_lo, s16
	s_mov_b32 s1, -1
	s_cbranch_vccz .LBB32_16
; %bb.9:                                ;   in Loop: Header=BB32_8 Depth=1
	s_delay_alu instid0(VALU_DEP_1)
	s_and_saveexec_b32 s11, s0
	s_cbranch_execz .LBB32_15
; %bb.10:                               ;   in Loop: Header=BB32_8 Depth=1
	s_ashr_i32 s5, s4, 31
	v_dual_mov_b32 v4, v2 :: v_dual_mov_b32 v3, v1
	s_lshl_b64 s[0:1], s[4:5], 2
	v_mov_b32_e32 v5, v0
	s_add_u32 s12, s29, s0
	s_addc_u32 s13, s30, s1
	s_cmp_gt_i32 s36, 0
	s_mov_b32 s38, 0
	s_cselect_b32 s5, -1, 0
	s_lshl_b64 s[0:1], s[8:9], 2
	s_delay_alu instid0(SALU_CYCLE_1)
	s_add_u32 s0, s25, s0
	s_addc_u32 s1, s26, s1
	s_load_b32 s37, s[0:1], 0x0
	s_set_inst_prefetch_distance 0x1
	s_branch .LBB32_12
	.p2align	6
.LBB32_11:                              ;   in Loop: Header=BB32_12 Depth=2
	v_lshlrev_b32_e32 v11, 2, v5
	v_add_nc_u32_e32 v5, s14, v5
	v_add_co_u32 v3, s0, v3, s31
	s_delay_alu instid0(VALU_DEP_1) | instskip(NEXT) | instid1(VALU_DEP_4)
	v_add_co_ci_u32_e64 v4, s0, 0, v4, s0
	v_add_nc_u32_e32 v12, s35, v11
	s_delay_alu instid0(VALU_DEP_4)
	v_cmp_le_u32_e32 vcc_lo, s8, v5
	ds_load_b32 v12, v12
	s_or_b32 s38, vcc_lo, s38
	s_waitcnt lgkmcnt(0)
	v_dual_fmac_f32 v12, s37, v10 :: v_dual_add_nc_u32 v11, 0, v11
	ds_store_b32 v11, v12
	s_and_not1_b32 exec_lo, exec_lo, s38
	s_cbranch_execz .LBB32_15
.LBB32_12:                              ;   Parent Loop BB32_8 Depth=1
                                        ; =>  This Loop Header: Depth=2
                                        ;       Child Loop BB32_14 Depth 3
	v_mov_b32_e32 v10, 0
	s_and_not1_b32 vcc_lo, exec_lo, s5
	s_cbranch_vccnz .LBB32_11
; %bb.13:                               ;   in Loop: Header=BB32_12 Depth=2
	s_mov_b32 s39, 0
	s_mov_b64 s[0:1], s[12:13]
.LBB32_14:                              ;   Parent Loop BB32_8 Depth=1
                                        ;     Parent Loop BB32_12 Depth=2
                                        ; =>    This Inner Loop Header: Depth=3
	s_delay_alu instid0(SALU_CYCLE_1)
	v_add_co_u32 v11, vcc_lo, s0, v3
	v_add_co_ci_u32_e32 v12, vcc_lo, s1, v4, vcc_lo
	s_add_u32 s40, s0, s22
	s_addc_u32 s41, s1, s28
	s_add_i32 s39, s39, 1
	global_load_b32 v11, v[11:12], off
	s_load_b32 s40, s[40:41], 0x0
	s_add_u32 s0, s0, s6
	s_addc_u32 s1, s1, s7
	s_cmp_ge_i32 s39, s36
	s_waitcnt vmcnt(0) lgkmcnt(0)
	v_fmac_f32_e32 v10, s40, v11
	s_cbranch_scc0 .LBB32_14
	s_branch .LBB32_11
.LBB32_15:                              ;   in Loop: Header=BB32_8 Depth=1
	s_set_inst_prefetch_distance 0x2
	s_or_b32 exec_lo, exec_lo, s11
	s_mov_b32 s1, 0
.LBB32_16:                              ;   in Loop: Header=BB32_8 Depth=1
	s_delay_alu instid0(SALU_CYCLE_1)
	s_and_not1_b32 vcc_lo, exec_lo, s1
	s_cbranch_vccnz .LBB32_25
; %bb.17:                               ;   in Loop: Header=BB32_8 Depth=1
	s_mov_b32 s5, exec_lo
	v_cmpx_gt_u32_e64 s8, v0
	s_cbranch_execz .LBB32_24
; %bb.18:                               ;   in Loop: Header=BB32_8 Depth=1
	s_ashr_i32 s11, s10, 31
	v_dual_mov_b32 v3, v7 :: v_dual_mov_b32 v10, v0
	s_lshl_b64 s[0:1], s[10:11], 2
	s_mov_b32 s38, 0
	s_add_u32 s0, s20, s0
	s_addc_u32 s1, s21, s1
	s_cmp_gt_i32 s36, 0
	s_cselect_b32 s11, -1, 0
	s_lshl_b64 s[12:13], s[8:9], 2
	s_delay_alu instid0(SALU_CYCLE_1)
	s_add_u32 s12, s25, s12
	s_addc_u32 s13, s26, s13
	s_load_b32 s37, s[12:13], 0x0
	s_set_inst_prefetch_distance 0x1
	s_branch .LBB32_21
	.p2align	6
.LBB32_19:                              ;   in Loop: Header=BB32_21 Depth=2
	v_mov_b32_e32 v11, 0
.LBB32_20:                              ;   in Loop: Header=BB32_21 Depth=2
	v_lshlrev_b32_e32 v4, 2, v10
	v_add_nc_u32_e32 v10, s14, v10
	v_add_nc_u32_e32 v3, s33, v3
	s_delay_alu instid0(VALU_DEP_3) | instskip(NEXT) | instid1(VALU_DEP_3)
	v_add_nc_u32_e32 v5, s35, v4
	v_cmp_le_u32_e32 vcc_lo, s8, v10
	ds_load_b32 v5, v5
	s_or_b32 s38, vcc_lo, s38
	s_waitcnt lgkmcnt(0)
	v_dual_fmac_f32 v5, s37, v11 :: v_dual_add_nc_u32 v4, 0, v4
	ds_store_b32 v4, v5
	s_and_not1_b32 exec_lo, exec_lo, s38
	s_cbranch_execz .LBB32_24
.LBB32_21:                              ;   Parent Loop BB32_8 Depth=1
                                        ; =>  This Loop Header: Depth=2
                                        ;       Child Loop BB32_23 Depth 3
	s_and_not1_b32 vcc_lo, exec_lo, s11
	s_cbranch_vccnz .LBB32_19
; %bb.22:                               ;   in Loop: Header=BB32_21 Depth=2
	v_ashrrev_i32_e32 v4, 31, v3
	v_mov_b32_e32 v11, 0
	s_mov_b32 s39, 0
	s_mov_b64 s[12:13], s[0:1]
	s_delay_alu instid0(VALU_DEP_2) | instskip(NEXT) | instid1(VALU_DEP_1)
	v_lshlrev_b64 v[4:5], 2, v[3:4]
	v_add_co_u32 v4, vcc_lo, s20, v4
	s_delay_alu instid0(VALU_DEP_2)
	v_add_co_ci_u32_e32 v5, vcc_lo, s21, v5, vcc_lo
.LBB32_23:                              ;   Parent Loop BB32_8 Depth=1
                                        ;     Parent Loop BB32_21 Depth=2
                                        ; =>    This Inner Loop Header: Depth=3
	global_load_b32 v12, v[4:5], off
	s_load_b32 s40, s[12:13], 0x0
	v_add_co_u32 v4, vcc_lo, v4, 4
	s_add_i32 s39, s39, 1
	v_add_co_ci_u32_e32 v5, vcc_lo, 0, v5, vcc_lo
	s_add_u32 s12, s12, 4
	s_addc_u32 s13, s13, 0
	s_cmp_ge_i32 s39, s36
	s_waitcnt vmcnt(0) lgkmcnt(0)
	v_fmac_f32_e32 v11, s40, v12
	s_cbranch_scc0 .LBB32_23
	s_branch .LBB32_20
.LBB32_24:                              ;   in Loop: Header=BB32_8 Depth=1
	s_set_inst_prefetch_distance 0x2
	s_or_b32 exec_lo, exec_lo, s5
.LBB32_25:                              ;   in Loop: Header=BB32_8 Depth=1
	s_delay_alu instid0(SALU_CYCLE_1)
	s_mov_b32 s0, exec_lo
	s_waitcnt lgkmcnt(0)
	s_barrier
	buffer_gl0_inv
	v_cmpx_gt_u32_e64 s8, v0
	s_cbranch_execz .LBB32_7
; %bb.26:                               ;   in Loop: Header=BB32_8 Depth=1
	v_dual_mov_b32 v3, v9 :: v_dual_mov_b32 v4, v8
	v_mov_b32_e32 v5, v0
	s_mov_b32 s1, 0
	.p2align	6
.LBB32_27:                              ;   Parent Loop BB32_8 Depth=1
                                        ; =>  This Loop Header: Depth=2
                                        ;       Child Loop BB32_28 Depth 3
	s_delay_alu instid0(VALU_DEP_2) | instskip(NEXT) | instid1(VALU_DEP_2)
	v_dual_mov_b32 v10, 0 :: v_dual_mov_b32 v11, v3
	v_dual_mov_b32 v12, v4 :: v_dual_mov_b32 v13, v5
	s_mov_b32 s5, 0
.LBB32_28:                              ;   Parent Loop BB32_8 Depth=1
                                        ;     Parent Loop BB32_27 Depth=2
                                        ; =>    This Inner Loop Header: Depth=3
	ds_load_b32 v14, v12
	ds_load_b32 v15, v11
	v_add_nc_u32_e32 v13, 1, v13
	v_add_nc_u32_e32 v12, s27, v12
	;; [unrolled: 1-line block ×3, first 2 shown]
	s_waitcnt lgkmcnt(0)
	v_fmac_f32_e32 v10, v14, v15
	v_cmp_le_u32_e32 vcc_lo, s8, v13
	s_or_b32 s5, vcc_lo, s5
	s_delay_alu instid0(SALU_CYCLE_1)
	s_and_not1_b32 exec_lo, exec_lo, s5
	s_cbranch_execnz .LBB32_28
; %bb.29:                               ;   in Loop: Header=BB32_27 Depth=2
	s_or_b32 exec_lo, exec_lo, s5
	v_lshl_add_u32 v11, v5, 2, s35
	v_add_nc_u32_e32 v5, s14, v5
	v_add_nc_u32_e32 v4, s34, v4
	;; [unrolled: 1-line block ×3, first 2 shown]
	ds_store_b32 v11, v10
	v_cmp_le_u32_e32 vcc_lo, s8, v5
	s_or_b32 s1, vcc_lo, s1
	s_delay_alu instid0(SALU_CYCLE_1)
	s_and_not1_b32 exec_lo, exec_lo, s1
	s_cbranch_execnz .LBB32_27
	s_branch .LBB32_7
.LBB32_30:
	s_and_saveexec_b32 s0, s2
	s_cbranch_execz .LBB32_35
; %bb.31:
	v_add_nc_u32_e32 v1, 4, v6
	s_lshl_b32 s2, s18, 2
	s_add_i32 s1, s3, 1
	s_add_i32 s5, s2, 4
	s_mul_i32 s1, s1, s14
	v_mul_lo_u32 v3, s18, v1
	v_mad_u64_u32 v[1:2], null, v0, s3, v[0:1]
	s_mov_b32 s4, 0
	s_mul_i32 s5, s5, s14
	s_delay_alu instid0(VALU_DEP_2)
	v_add3_u32 v4, v3, v6, 0
	.p2align	6
.LBB32_32:                              ; =>This Loop Header: Depth=1
                                        ;     Child Loop BB32_33 Depth 2
	s_delay_alu instid0(VALU_DEP_1)
	v_dual_mov_b32 v5, v4 :: v_dual_mov_b32 v2, v1
	v_mov_b32_e32 v6, v0
	s_mov_b32 s6, 0
	.p2align	6
.LBB32_33:                              ;   Parent Loop BB32_32 Depth=1
                                        ; =>  This Inner Loop Header: Depth=2
	ds_load_b32 v9, v5
	v_ashrrev_i32_e32 v3, 31, v2
	v_add_nc_u32_e32 v6, 1, v6
	v_add_nc_u32_e32 v5, s2, v5
	s_delay_alu instid0(VALU_DEP_3) | instskip(NEXT) | instid1(VALU_DEP_3)
	v_lshlrev_b64 v[7:8], 2, v[2:3]
	v_cmp_le_i32_e32 vcc_lo, s18, v6
	v_add_nc_u32_e32 v2, s3, v2
	s_or_b32 s6, vcc_lo, s6
	s_delay_alu instid0(VALU_DEP_3) | instskip(NEXT) | instid1(VALU_DEP_1)
	v_add_co_u32 v7, s0, s19, v7
	v_add_co_ci_u32_e64 v8, s0, s24, v8, s0
	s_waitcnt lgkmcnt(0)
	global_store_b32 v[7:8], v9, off
	s_and_not1_b32 exec_lo, exec_lo, s6
	s_cbranch_execnz .LBB32_33
; %bb.34:                               ;   in Loop: Header=BB32_32 Depth=1
	s_or_b32 exec_lo, exec_lo, s6
	v_add_nc_u32_e32 v0, s14, v0
	v_add_nc_u32_e32 v1, s1, v1
	;; [unrolled: 1-line block ×3, first 2 shown]
	s_delay_alu instid0(VALU_DEP_3) | instskip(SKIP_1) | instid1(SALU_CYCLE_1)
	v_cmp_le_i32_e32 vcc_lo, s18, v0
	s_or_b32 s4, vcc_lo, s4
	s_and_not1_b32 exec_lo, exec_lo, s4
	s_cbranch_execnz .LBB32_32
.LBB32_35:
	s_nop 0
	s_sendmsg sendmsg(MSG_DEALLOC_VGPRS)
	s_endpgm
	.section	.rodata,"a",@progbits
	.p2align	6, 0x0
	.amdhsa_kernel _ZN9rocsolver6v33100L20larft_kernel_forwardIfPfEEv15rocblas_storev_iiT0_iilPT_lS6_il
		.amdhsa_group_segment_fixed_size 0
		.amdhsa_private_segment_fixed_size 0
		.amdhsa_kernarg_size 336
		.amdhsa_user_sgpr_count 14
		.amdhsa_user_sgpr_dispatch_ptr 0
		.amdhsa_user_sgpr_queue_ptr 0
		.amdhsa_user_sgpr_kernarg_segment_ptr 1
		.amdhsa_user_sgpr_dispatch_id 0
		.amdhsa_user_sgpr_private_segment_size 0
		.amdhsa_wavefront_size32 1
		.amdhsa_uses_dynamic_stack 0
		.amdhsa_enable_private_segment 0
		.amdhsa_system_sgpr_workgroup_id_x 1
		.amdhsa_system_sgpr_workgroup_id_y 1
		.amdhsa_system_sgpr_workgroup_id_z 0
		.amdhsa_system_sgpr_workgroup_info 0
		.amdhsa_system_vgpr_workitem_id 0
		.amdhsa_next_free_vgpr 16
		.amdhsa_next_free_sgpr 42
		.amdhsa_reserve_vcc 1
		.amdhsa_float_round_mode_32 0
		.amdhsa_float_round_mode_16_64 0
		.amdhsa_float_denorm_mode_32 3
		.amdhsa_float_denorm_mode_16_64 3
		.amdhsa_dx10_clamp 1
		.amdhsa_ieee_mode 1
		.amdhsa_fp16_overflow 0
		.amdhsa_workgroup_processor_mode 1
		.amdhsa_memory_ordered 1
		.amdhsa_forward_progress 0
		.amdhsa_shared_vgpr_count 0
		.amdhsa_exception_fp_ieee_invalid_op 0
		.amdhsa_exception_fp_denorm_src 0
		.amdhsa_exception_fp_ieee_div_zero 0
		.amdhsa_exception_fp_ieee_overflow 0
		.amdhsa_exception_fp_ieee_underflow 0
		.amdhsa_exception_fp_ieee_inexact 0
		.amdhsa_exception_int_div_zero 0
	.end_amdhsa_kernel
	.section	.text._ZN9rocsolver6v33100L20larft_kernel_forwardIfPfEEv15rocblas_storev_iiT0_iilPT_lS6_il,"axG",@progbits,_ZN9rocsolver6v33100L20larft_kernel_forwardIfPfEEv15rocblas_storev_iiT0_iilPT_lS6_il,comdat
.Lfunc_end32:
	.size	_ZN9rocsolver6v33100L20larft_kernel_forwardIfPfEEv15rocblas_storev_iiT0_iilPT_lS6_il, .Lfunc_end32-_ZN9rocsolver6v33100L20larft_kernel_forwardIfPfEEv15rocblas_storev_iiT0_iilPT_lS6_il
                                        ; -- End function
	.section	.AMDGPU.csdata,"",@progbits
; Kernel info:
; codeLenInByte = 1640
; NumSgprs: 44
; NumVgprs: 16
; ScratchSize: 0
; MemoryBound: 0
; FloatMode: 240
; IeeeMode: 1
; LDSByteSize: 0 bytes/workgroup (compile time only)
; SGPRBlocks: 5
; VGPRBlocks: 1
; NumSGPRsForWavesPerEU: 44
; NumVGPRsForWavesPerEU: 16
; Occupancy: 16
; WaveLimiterHint : 0
; COMPUTE_PGM_RSRC2:SCRATCH_EN: 0
; COMPUTE_PGM_RSRC2:USER_SGPR: 14
; COMPUTE_PGM_RSRC2:TRAP_HANDLER: 0
; COMPUTE_PGM_RSRC2:TGID_X_EN: 1
; COMPUTE_PGM_RSRC2:TGID_Y_EN: 1
; COMPUTE_PGM_RSRC2:TGID_Z_EN: 0
; COMPUTE_PGM_RSRC2:TIDIG_COMP_CNT: 0
	.section	.text._ZN9rocsolver6v33100L21larft_kernel_backwardIfPfEEv15rocblas_storev_iiT0_iilPT_lS6_il,"axG",@progbits,_ZN9rocsolver6v33100L21larft_kernel_backwardIfPfEEv15rocblas_storev_iiT0_iilPT_lS6_il,comdat
	.globl	_ZN9rocsolver6v33100L21larft_kernel_backwardIfPfEEv15rocblas_storev_iiT0_iilPT_lS6_il ; -- Begin function _ZN9rocsolver6v33100L21larft_kernel_backwardIfPfEEv15rocblas_storev_iiT0_iilPT_lS6_il
	.p2align	8
	.type	_ZN9rocsolver6v33100L21larft_kernel_backwardIfPfEEv15rocblas_storev_iiT0_iilPT_lS6_il,@function
_ZN9rocsolver6v33100L21larft_kernel_backwardIfPfEEv15rocblas_storev_iiT0_iilPT_lS6_il: ; @_ZN9rocsolver6v33100L21larft_kernel_backwardIfPfEEv15rocblas_storev_iiT0_iilPT_lS6_il
; %bb.0:
	s_clause 0x4
	s_load_b64 s[20:21], s[0:1], 0x48
	s_load_b128 s[16:19], s[0:1], 0x0
	s_load_b32 s13, s[0:1], 0x5c
	s_load_b256 s[4:11], s[0:1], 0x20
	s_load_b32 s3, s[0:1], 0x40
	s_ashr_i32 s12, s15, 31
	v_add_nc_u32_e32 v6, 1, v0
	v_lshlrev_b32_e32 v7, 2, v0
	s_waitcnt lgkmcnt(0)
	s_mul_i32 s2, s15, s21
	s_mul_hi_u32 s14, s15, s20
	s_mul_i32 s19, s12, s20
	s_add_i32 s2, s14, s2
	s_mul_i32 s20, s15, s20
	s_add_i32 s21, s2, s19
	v_cmp_gt_i32_e64 s2, s18, v0
	s_lshl_b64 s[20:21], s[20:21], 2
	s_and_b32 s14, s13, 0xffff
	s_add_u32 s19, s10, s20
	s_addc_u32 s24, s11, s21
	s_and_saveexec_b32 s10, s2
	s_cbranch_execz .LBB33_5
; %bb.1:
	s_lshl_b32 s11, s18, 2
	v_add_nc_u32_e32 v3, 1, v0
	v_add3_u32 v4, 0, s11, v7
	v_mov_b32_e32 v5, v0
	s_mov_b32 s13, 0
	s_lshl_b32 s20, s14, 2
	.p2align	6
.LBB33_2:                               ; =>This Loop Header: Depth=1
                                        ;     Child Loop BB33_3 Depth 2
	s_delay_alu instid0(VALU_DEP_1)
	v_dual_mov_b32 v1, v5 :: v_dual_mov_b32 v8, v4
	s_mov_b32 s21, 0
	s_mov_b32 s22, 0
	.p2align	6
.LBB33_3:                               ;   Parent Loop BB33_2 Depth=1
                                        ; =>  This Inner Loop Header: Depth=2
	s_delay_alu instid0(VALU_DEP_1) | instskip(SKIP_1) | instid1(VALU_DEP_1)
	v_ashrrev_i32_e32 v2, 31, v1
	s_add_i32 s22, s22, 1
	v_lshlrev_b64 v[9:10], 2, v[1:2]
	v_add_nc_u32_e32 v1, s3, v1
	s_delay_alu instid0(VALU_DEP_2) | instskip(NEXT) | instid1(VALU_DEP_3)
	v_add_co_u32 v9, vcc_lo, s19, v9
	v_add_co_ci_u32_e32 v10, vcc_lo, s24, v10, vcc_lo
	v_cmp_eq_u32_e32 vcc_lo, s22, v3
	global_load_b32 v2, v[9:10], off
	s_or_b32 s21, vcc_lo, s21
	s_waitcnt vmcnt(0)
	ds_store_b32 v8, v2
	v_add_nc_u32_e32 v8, s11, v8
	s_and_not1_b32 exec_lo, exec_lo, s21
	s_cbranch_execnz .LBB33_3
; %bb.4:                                ;   in Loop: Header=BB33_2 Depth=1
	s_or_b32 exec_lo, exec_lo, s21
	v_add_nc_u32_e32 v5, s14, v5
	v_add_nc_u32_e32 v3, s14, v3
	;; [unrolled: 1-line block ×3, first 2 shown]
	s_delay_alu instid0(VALU_DEP_3) | instskip(SKIP_1) | instid1(SALU_CYCLE_1)
	v_cmp_le_i32_e32 vcc_lo, s18, v5
	s_or_b32 s13, vcc_lo, s13
	s_and_not1_b32 exec_lo, exec_lo, s13
	s_cbranch_execnz .LBB33_2
.LBB33_5:
	s_or_b32 exec_lo, exec_lo, s10
	s_cmp_lt_i32 s18, 2
	s_waitcnt lgkmcnt(0)
	s_barrier
	buffer_gl0_inv
	s_cbranch_scc1 .LBB33_30
; %bb.6:
	s_load_b128 s[20:23], s[0:1], 0x10
	s_mul_i32 s1, s15, s9
	s_mul_hi_u32 s9, s15, s8
	s_mul_i32 s10, s12, s8
	s_add_i32 s1, s9, s1
	s_mul_i32 s0, s15, s8
	s_add_i32 s1, s1, s10
	s_mul_i32 s10, s5, s15
	s_lshl_b64 s[0:1], s[0:1], 2
	s_mul_i32 s8, s4, s12
	s_mul_hi_u32 s9, s4, s15
	s_waitcnt lgkmcnt(0)
	s_ashr_i32 s5, s22, 31
	s_add_u32 s25, s6, s0
	s_addc_u32 s26, s7, s1
	s_lshl_b32 s27, s18, 2
	s_add_i32 s6, s18, -2
	s_sub_i32 s17, s17, s18
	s_add_i32 s28, s27, 0
	s_cmpk_lg_i32 s16, 0xb5
	s_mul_i32 s0, s4, s15
	s_cselect_b32 s15, -1, 0
	s_add_i32 s1, s9, s8
	s_mov_b32 s4, s22
	s_add_i32 s1, s1, s10
	s_lshl_b64 s[4:5], s[4:5], 2
	s_lshl_b64 s[0:1], s[0:1], 2
	s_mov_b32 s7, 0
	s_add_u32 s8, s0, s4
	s_addc_u32 s9, s1, s5
	s_lshl_b64 s[0:1], s[6:7], 2
	s_mov_b32 s4, s23
	s_add_u32 s5, s8, s0
	s_addc_u32 s10, s9, s1
	s_add_u32 s16, s20, s5
	s_addc_u32 s22, s21, s10
	s_ashr_i32 s5, s23, 31
	v_mul_lo_u32 v8, v0, s23
	s_lshl_b64 s[4:5], s[4:5], 2
	s_add_u32 s20, s20, s8
	s_addc_u32 s21, s21, s9
	s_add_u32 s0, s20, s0
	s_addc_u32 s1, s21, s1
	v_add_co_u32 v1, s0, s0, v7
	s_add_i32 s9, s27, 4
	v_add_co_ci_u32_e64 v2, null, s1, 0, s0
	s_mul_i32 s0, s18, s9
	s_delay_alu instid0(VALU_DEP_2) | instskip(SKIP_1) | instid1(VALU_DEP_2)
	v_add_co_u32 v1, vcc_lo, v1, 4
	s_add_i32 s0, s0, 0
	v_add_co_ci_u32_e32 v2, vcc_lo, 0, v2, vcc_lo
	v_add3_u32 v9, s0, v7, -4
	s_add_i32 s8, s18, -1
	s_lshl_b32 s29, s14, 2
	s_mul_i32 s8, s23, s8
	s_mul_i32 s30, s23, s14
	;; [unrolled: 1-line block ×3, first 2 shown]
	s_xor_b32 s31, s27, -4
	s_branch .LBB33_8
.LBB33_7:                               ;   in Loop: Header=BB33_8 Depth=1
	s_or_b32 exec_lo, exec_lo, s0
	v_add_co_u32 v1, vcc_lo, v1, -4
	s_add_i32 s0, s6, -1
	v_add_co_ci_u32_e32 v2, vcc_lo, -1, v2, vcc_lo
	v_add_nc_u32_e32 v9, s31, v9
	s_add_u32 s16, s16, -4
	s_addc_u32 s22, s22, -1
	s_sub_i32 s8, s8, s23
	s_sub_i32 s10, s10, s23
	s_cmp_lt_i32 s6, 1
	s_mov_b32 s6, s0
	s_waitcnt lgkmcnt(0)
	s_barrier
	buffer_gl0_inv
	s_cbranch_scc1 .LBB33_30
.LBB33_8:                               ; =>This Loop Header: Depth=1
                                        ;     Child Loop BB33_12 Depth 2
                                        ;       Child Loop BB33_14 Depth 3
                                        ;     Child Loop BB33_21 Depth 2
                                        ;       Child Loop BB33_23 Depth 3
	;; [unrolled: 2-line block ×3, first 2 shown]
	s_not_b32 s33, s6
	s_lshl_b32 s0, s6, 2
	s_mul_i32 s1, s6, s18
	s_add_i32 s33, s33, s18
	s_add_i32 s34, s28, s0
	s_lshl_b32 s0, s1, 2
	s_add_i32 s35, s6, s17
	s_add_i32 s34, s34, s0
	v_cmp_gt_i32_e64 s0, s33, v0
	s_and_b32 vcc_lo, exec_lo, s15
	s_mov_b32 s1, -1
	s_cbranch_vccz .LBB33_16
; %bb.9:                                ;   in Loop: Header=BB33_8 Depth=1
	s_delay_alu instid0(VALU_DEP_1)
	s_and_saveexec_b32 s9, s0
	s_cbranch_execz .LBB33_15
; %bb.10:                               ;   in Loop: Header=BB33_8 Depth=1
	s_cmp_gt_i32 s35, 0
	v_dual_mov_b32 v4, v2 :: v_dual_mov_b32 v3, v1
	s_cselect_b32 s11, -1, 0
	s_lshl_b64 s[0:1], s[6:7], 2
	v_mov_b32_e32 v5, v0
	s_add_u32 s0, s25, s0
	s_addc_u32 s1, s26, s1
	s_mov_b32 s13, 0
	s_load_b32 s12, s[0:1], 0x0
	s_add_i32 s36, s34, 4
	s_set_inst_prefetch_distance 0x1
	s_branch .LBB33_12
	.p2align	6
.LBB33_11:                              ;   in Loop: Header=BB33_12 Depth=2
	v_lshlrev_b32_e32 v11, 2, v5
	v_add_nc_u32_e32 v5, s14, v5
	v_add_co_u32 v3, s0, v3, s29
	s_delay_alu instid0(VALU_DEP_1) | instskip(NEXT) | instid1(VALU_DEP_4)
	v_add_co_ci_u32_e64 v4, s0, 0, v4, s0
	v_add_nc_u32_e32 v12, s36, v11
	s_delay_alu instid0(VALU_DEP_4)
	v_cmp_le_i32_e32 vcc_lo, s33, v5
	ds_load_b32 v12, v12
	s_or_b32 s13, vcc_lo, s13
	s_waitcnt lgkmcnt(0)
	v_dual_fmac_f32 v12, s12, v10 :: v_dual_add_nc_u32 v11, 0, v11
	ds_store_b32 v11, v12
	s_and_not1_b32 exec_lo, exec_lo, s13
	s_cbranch_execz .LBB33_15
.LBB33_12:                              ;   Parent Loop BB33_8 Depth=1
                                        ; =>  This Loop Header: Depth=2
                                        ;       Child Loop BB33_14 Depth 3
	v_mov_b32_e32 v10, 0
	s_and_not1_b32 vcc_lo, exec_lo, s11
	s_cbranch_vccnz .LBB33_11
; %bb.13:                               ;   in Loop: Header=BB33_12 Depth=2
	s_mov_b32 s37, 0
	s_mov_b64 s[0:1], 0
.LBB33_14:                              ;   Parent Loop BB33_8 Depth=1
                                        ;     Parent Loop BB33_12 Depth=2
                                        ; =>    This Inner Loop Header: Depth=3
	s_delay_alu instid0(SALU_CYCLE_1)
	v_add_co_u32 v11, vcc_lo, v3, s0
	v_add_co_ci_u32_e32 v12, vcc_lo, s1, v4, vcc_lo
	s_add_u32 s38, s16, s0
	s_addc_u32 s39, s22, s1
	s_add_i32 s37, s37, 1
	global_load_b32 v11, v[11:12], off
	s_load_b32 s38, s[38:39], 0x0
	s_add_u32 s0, s0, s4
	s_addc_u32 s1, s1, s5
	s_cmp_ge_i32 s37, s35
	s_waitcnt vmcnt(0) lgkmcnt(0)
	v_fmac_f32_e32 v10, s38, v11
	s_cbranch_scc0 .LBB33_14
	s_branch .LBB33_11
.LBB33_15:                              ;   in Loop: Header=BB33_8 Depth=1
	s_set_inst_prefetch_distance 0x2
	s_or_b32 exec_lo, exec_lo, s9
	s_mov_b32 s1, 0
.LBB33_16:                              ;   in Loop: Header=BB33_8 Depth=1
	s_delay_alu instid0(SALU_CYCLE_1)
	s_and_not1_b32 vcc_lo, exec_lo, s1
	s_cbranch_vccnz .LBB33_25
; %bb.17:                               ;   in Loop: Header=BB33_8 Depth=1
	s_mov_b32 s36, exec_lo
	v_cmpx_gt_i32_e64 s33, v0
	s_cbranch_execz .LBB33_24
; %bb.18:                               ;   in Loop: Header=BB33_8 Depth=1
	s_ashr_i32 s11, s10, 31
	s_ashr_i32 s9, s8, 31
	s_lshl_b64 s[0:1], s[10:11], 2
	s_lshl_b64 s[12:13], s[8:9], 2
	s_add_u32 s0, s20, s0
	s_addc_u32 s1, s21, s1
	s_cmp_gt_i32 s35, 0
	v_mov_b32_e32 v3, v8
	s_cselect_b32 s9, -1, 0
	s_lshl_b64 s[38:39], s[6:7], 2
	v_mov_b32_e32 v10, v0
	s_add_u32 s38, s25, s38
	s_addc_u32 s39, s26, s39
	s_mov_b32 s37, 0
	s_load_b32 s11, s[38:39], 0x0
	s_add_i32 s38, s34, 4
	s_add_u32 s39, s20, s12
	s_addc_u32 s40, s21, s13
	s_set_inst_prefetch_distance 0x1
	s_branch .LBB33_21
	.p2align	6
.LBB33_19:                              ;   in Loop: Header=BB33_21 Depth=2
	v_mov_b32_e32 v11, 0
.LBB33_20:                              ;   in Loop: Header=BB33_21 Depth=2
	v_lshlrev_b32_e32 v4, 2, v10
	v_add_nc_u32_e32 v10, s14, v10
	v_add_nc_u32_e32 v3, s30, v3
	s_delay_alu instid0(VALU_DEP_3) | instskip(NEXT) | instid1(VALU_DEP_3)
	v_add_nc_u32_e32 v5, s38, v4
	v_cmp_le_i32_e32 vcc_lo, s33, v10
	ds_load_b32 v5, v5
	s_or_b32 s37, vcc_lo, s37
	s_waitcnt lgkmcnt(0)
	v_dual_fmac_f32 v5, s11, v11 :: v_dual_add_nc_u32 v4, 0, v4
	ds_store_b32 v4, v5
	s_and_not1_b32 exec_lo, exec_lo, s37
	s_cbranch_execz .LBB33_24
.LBB33_21:                              ;   Parent Loop BB33_8 Depth=1
                                        ; =>  This Loop Header: Depth=2
                                        ;       Child Loop BB33_23 Depth 3
	s_and_not1_b32 vcc_lo, exec_lo, s9
	s_cbranch_vccnz .LBB33_19
; %bb.22:                               ;   in Loop: Header=BB33_21 Depth=2
	v_ashrrev_i32_e32 v4, 31, v3
	v_mov_b32_e32 v11, 0
	s_mov_b32 s41, 0
	s_mov_b64 s[12:13], s[0:1]
	s_delay_alu instid0(VALU_DEP_2) | instskip(NEXT) | instid1(VALU_DEP_1)
	v_lshlrev_b64 v[4:5], 2, v[3:4]
	v_add_co_u32 v4, vcc_lo, s39, v4
	s_delay_alu instid0(VALU_DEP_2)
	v_add_co_ci_u32_e32 v5, vcc_lo, s40, v5, vcc_lo
.LBB33_23:                              ;   Parent Loop BB33_8 Depth=1
                                        ;     Parent Loop BB33_21 Depth=2
                                        ; =>    This Inner Loop Header: Depth=3
	global_load_b32 v12, v[4:5], off
	s_load_b32 s42, s[12:13], 0x0
	v_add_co_u32 v4, vcc_lo, v4, 4
	s_add_i32 s41, s41, 1
	v_add_co_ci_u32_e32 v5, vcc_lo, 0, v5, vcc_lo
	s_add_u32 s12, s12, 4
	s_addc_u32 s13, s13, 0
	s_cmp_ge_i32 s41, s35
	s_waitcnt vmcnt(0) lgkmcnt(0)
	v_fmac_f32_e32 v11, s42, v12
	s_cbranch_scc0 .LBB33_23
	s_branch .LBB33_20
.LBB33_24:                              ;   in Loop: Header=BB33_8 Depth=1
	s_set_inst_prefetch_distance 0x2
	s_or_b32 exec_lo, exec_lo, s36
.LBB33_25:                              ;   in Loop: Header=BB33_8 Depth=1
	s_delay_alu instid0(SALU_CYCLE_1)
	s_mov_b32 s0, exec_lo
	s_waitcnt lgkmcnt(0)
	s_barrier
	buffer_gl0_inv
	v_cmpx_gt_i32_e64 s33, v0
	s_cbranch_execz .LBB33_7
; %bb.26:                               ;   in Loop: Header=BB33_8 Depth=1
	v_dual_mov_b32 v3, v9 :: v_dual_mov_b32 v4, v0
	s_add_i32 s34, s34, 4
	s_mov_b32 s1, 0
	.p2align	6
.LBB33_27:                              ;   Parent Loop BB33_8 Depth=1
                                        ; =>  This Loop Header: Depth=2
                                        ;       Child Loop BB33_28 Depth 3
	s_delay_alu instid0(VALU_DEP_1)
	v_dual_mov_b32 v5, 0 :: v_dual_mov_b32 v10, v3
	s_mov_b32 s11, -1
	s_mov_b32 s9, 0
	s_mov_b32 s12, 0
.LBB33_28:                              ;   Parent Loop BB33_8 Depth=1
                                        ;     Parent Loop BB33_27 Depth=2
                                        ; =>    This Inner Loop Header: Depth=3
	s_delay_alu instid0(SALU_CYCLE_1)
	v_mov_b32_e32 v11, s12
	s_add_i32 s11, s11, 1
	s_add_i32 s12, s12, 4
	v_cmp_eq_u32_e32 vcc_lo, s11, v4
	ds_load_b32 v12, v10
	ds_load_b32 v11, v11
	v_add_nc_u32_e32 v10, s27, v10
	s_or_b32 s9, vcc_lo, s9
	s_waitcnt lgkmcnt(0)
	v_fmac_f32_e32 v5, v12, v11
	s_and_not1_b32 exec_lo, exec_lo, s9
	s_cbranch_execnz .LBB33_28
; %bb.29:                               ;   in Loop: Header=BB33_27 Depth=2
	s_or_b32 exec_lo, exec_lo, s9
	v_lshl_add_u32 v10, v4, 2, s34
	v_add_nc_u32_e32 v4, s14, v4
	v_add_nc_u32_e32 v3, s29, v3
	ds_store_b32 v10, v5
	v_cmp_le_i32_e32 vcc_lo, s33, v4
	s_or_b32 s1, vcc_lo, s1
	s_delay_alu instid0(SALU_CYCLE_1)
	s_and_not1_b32 exec_lo, exec_lo, s1
	s_cbranch_execnz .LBB33_27
	s_branch .LBB33_7
.LBB33_30:
	s_and_saveexec_b32 s0, s2
	s_cbranch_execz .LBB33_35
; %bb.31:
	s_lshl_b32 s1, s18, 2
	s_mov_b32 s2, 0
	v_add3_u32 v3, 0, s1, v7
	s_lshl_b32 s4, s14, 2
	.p2align	6
.LBB33_32:                              ; =>This Loop Header: Depth=1
                                        ;     Child Loop BB33_33 Depth 2
	s_delay_alu instid0(VALU_DEP_1)
	v_dual_mov_b32 v4, v3 :: v_dual_mov_b32 v1, v0
	s_mov_b32 s5, 0
	s_mov_b32 s6, 0
	.p2align	6
.LBB33_33:                              ;   Parent Loop BB33_32 Depth=1
                                        ; =>  This Inner Loop Header: Depth=2
	ds_load_b32 v5, v4
	v_ashrrev_i32_e32 v2, 31, v1
	s_add_i32 s6, s6, 1
	v_add_nc_u32_e32 v4, s1, v4
	v_cmp_eq_u32_e32 vcc_lo, s6, v6
	s_delay_alu instid0(VALU_DEP_3) | instskip(SKIP_2) | instid1(VALU_DEP_2)
	v_lshlrev_b64 v[7:8], 2, v[1:2]
	v_add_nc_u32_e32 v1, s3, v1
	s_or_b32 s5, vcc_lo, s5
	v_add_co_u32 v7, s0, s19, v7
	s_delay_alu instid0(VALU_DEP_1)
	v_add_co_ci_u32_e64 v8, s0, s24, v8, s0
	s_waitcnt lgkmcnt(0)
	global_store_b32 v[7:8], v5, off
	s_and_not1_b32 exec_lo, exec_lo, s5
	s_cbranch_execnz .LBB33_33
; %bb.34:                               ;   in Loop: Header=BB33_32 Depth=1
	s_or_b32 exec_lo, exec_lo, s5
	v_add_nc_u32_e32 v0, s14, v0
	v_add_nc_u32_e32 v6, s14, v6
	;; [unrolled: 1-line block ×3, first 2 shown]
	s_delay_alu instid0(VALU_DEP_3) | instskip(SKIP_1) | instid1(SALU_CYCLE_1)
	v_cmp_le_i32_e32 vcc_lo, s18, v0
	s_or_b32 s2, vcc_lo, s2
	s_and_not1_b32 exec_lo, exec_lo, s2
	s_cbranch_execnz .LBB33_32
.LBB33_35:
	s_nop 0
	s_sendmsg sendmsg(MSG_DEALLOC_VGPRS)
	s_endpgm
	.section	.rodata,"a",@progbits
	.p2align	6, 0x0
	.amdhsa_kernel _ZN9rocsolver6v33100L21larft_kernel_backwardIfPfEEv15rocblas_storev_iiT0_iilPT_lS6_il
		.amdhsa_group_segment_fixed_size 0
		.amdhsa_private_segment_fixed_size 0
		.amdhsa_kernarg_size 336
		.amdhsa_user_sgpr_count 14
		.amdhsa_user_sgpr_dispatch_ptr 0
		.amdhsa_user_sgpr_queue_ptr 0
		.amdhsa_user_sgpr_kernarg_segment_ptr 1
		.amdhsa_user_sgpr_dispatch_id 0
		.amdhsa_user_sgpr_private_segment_size 0
		.amdhsa_wavefront_size32 1
		.amdhsa_uses_dynamic_stack 0
		.amdhsa_enable_private_segment 0
		.amdhsa_system_sgpr_workgroup_id_x 1
		.amdhsa_system_sgpr_workgroup_id_y 1
		.amdhsa_system_sgpr_workgroup_id_z 0
		.amdhsa_system_sgpr_workgroup_info 0
		.amdhsa_system_vgpr_workitem_id 0
		.amdhsa_next_free_vgpr 13
		.amdhsa_next_free_sgpr 43
		.amdhsa_reserve_vcc 1
		.amdhsa_float_round_mode_32 0
		.amdhsa_float_round_mode_16_64 0
		.amdhsa_float_denorm_mode_32 3
		.amdhsa_float_denorm_mode_16_64 3
		.amdhsa_dx10_clamp 1
		.amdhsa_ieee_mode 1
		.amdhsa_fp16_overflow 0
		.amdhsa_workgroup_processor_mode 1
		.amdhsa_memory_ordered 1
		.amdhsa_forward_progress 0
		.amdhsa_shared_vgpr_count 0
		.amdhsa_exception_fp_ieee_invalid_op 0
		.amdhsa_exception_fp_denorm_src 0
		.amdhsa_exception_fp_ieee_div_zero 0
		.amdhsa_exception_fp_ieee_overflow 0
		.amdhsa_exception_fp_ieee_underflow 0
		.amdhsa_exception_fp_ieee_inexact 0
		.amdhsa_exception_int_div_zero 0
	.end_amdhsa_kernel
	.section	.text._ZN9rocsolver6v33100L21larft_kernel_backwardIfPfEEv15rocblas_storev_iiT0_iilPT_lS6_il,"axG",@progbits,_ZN9rocsolver6v33100L21larft_kernel_backwardIfPfEEv15rocblas_storev_iiT0_iilPT_lS6_il,comdat
.Lfunc_end33:
	.size	_ZN9rocsolver6v33100L21larft_kernel_backwardIfPfEEv15rocblas_storev_iiT0_iilPT_lS6_il, .Lfunc_end33-_ZN9rocsolver6v33100L21larft_kernel_backwardIfPfEEv15rocblas_storev_iiT0_iilPT_lS6_il
                                        ; -- End function
	.section	.AMDGPU.csdata,"",@progbits
; Kernel info:
; codeLenInByte = 1612
; NumSgprs: 45
; NumVgprs: 13
; ScratchSize: 0
; MemoryBound: 0
; FloatMode: 240
; IeeeMode: 1
; LDSByteSize: 0 bytes/workgroup (compile time only)
; SGPRBlocks: 5
; VGPRBlocks: 1
; NumSGPRsForWavesPerEU: 45
; NumVGPRsForWavesPerEU: 13
; Occupancy: 16
; WaveLimiterHint : 0
; COMPUTE_PGM_RSRC2:SCRATCH_EN: 0
; COMPUTE_PGM_RSRC2:USER_SGPR: 14
; COMPUTE_PGM_RSRC2:TRAP_HANDLER: 0
; COMPUTE_PGM_RSRC2:TGID_X_EN: 1
; COMPUTE_PGM_RSRC2:TGID_Y_EN: 1
; COMPUTE_PGM_RSRC2:TGID_Z_EN: 0
; COMPUTE_PGM_RSRC2:TIDIG_COMP_CNT: 0
	.section	.text._ZN9rocsolver6v33100L9copymatA1IfPfEEviiT0_iilPT_,"axG",@progbits,_ZN9rocsolver6v33100L9copymatA1IfPfEEviiT0_iilPT_,comdat
	.globl	_ZN9rocsolver6v33100L9copymatA1IfPfEEviiT0_iilPT_ ; -- Begin function _ZN9rocsolver6v33100L9copymatA1IfPfEEviiT0_iilPT_
	.p2align	8
	.type	_ZN9rocsolver6v33100L9copymatA1IfPfEEviiT0_iilPT_,@function
_ZN9rocsolver6v33100L9copymatA1IfPfEEviiT0_iilPT_: ; @_ZN9rocsolver6v33100L9copymatA1IfPfEEviiT0_iilPT_
; %bb.0:
	s_clause 0x1
	s_load_b32 s2, s[0:1], 0x34
	s_load_b64 s[8:9], s[0:1], 0x0
	v_bfe_u32 v2, v0, 10, 10
	v_and_b32_e32 v3, 0x3ff, v0
	s_waitcnt lgkmcnt(0)
	s_lshr_b32 s3, s2, 16
	s_and_b32 s2, s2, 0xffff
	s_delay_alu instid0(VALU_DEP_1) | instskip(SKIP_1) | instid1(VALU_DEP_2)
	v_mad_u64_u32 v[0:1], null, s14, s3, v[2:3]
	v_mad_u64_u32 v[1:2], null, s13, s2, v[3:4]
	v_cmp_gt_u32_e32 vcc_lo, s8, v0
	s_delay_alu instid0(VALU_DEP_2) | instskip(NEXT) | instid1(VALU_DEP_1)
	v_cmp_gt_u32_e64 s2, s9, v1
	s_and_b32 s2, s2, vcc_lo
	s_delay_alu instid0(SALU_CYCLE_1)
	s_and_saveexec_b32 s3, s2
	s_cbranch_execz .LBB34_2
; %bb.1:
	s_load_b256 s[0:7], s[0:1], 0x8
	s_ashr_i32 s10, s8, 31
	s_ashr_i32 s11, s9, 31
	s_mul_hi_u32 s12, s8, s15
	s_mul_i32 s13, s8, s15
	s_mul_i32 s10, s10, s15
	;; [unrolled: 1-line block ×3, first 2 shown]
	s_mul_hi_u32 s14, s13, s9
	s_add_i32 s10, s12, s10
	s_add_i32 s11, s14, s11
	s_mul_i32 s12, s10, s9
	s_mul_i32 s10, s13, s9
	s_add_i32 s11, s11, s12
	s_delay_alu instid0(SALU_CYCLE_1)
	s_lshl_b64 s[10:11], s[10:11], 2
	s_waitcnt lgkmcnt(0)
	v_mad_u64_u32 v[2:3], null, v1, s3, v[0:1]
	s_add_u32 s9, s6, s10
	s_mul_i32 s5, s15, s5
	s_mul_hi_u32 s10, s15, s4
	v_mov_b32_e32 v3, 0
	s_mul_i32 s4, s15, s4
	s_addc_u32 s3, s7, s11
	s_add_i32 s5, s10, s5
	s_mov_b32 s6, s2
	s_lshl_b64 s[4:5], s[4:5], 2
	s_ashr_i32 s7, s2, 31
	v_lshlrev_b64 v[4:5], 2, v[2:3]
	s_add_u32 s2, s0, s4
	s_addc_u32 s4, s1, s5
	s_lshl_b64 s[0:1], s[6:7], 2
	s_delay_alu instid0(SALU_CYCLE_1)
	s_add_u32 s0, s2, s0
	s_addc_u32 s1, s4, s1
	v_add_co_u32 v4, vcc_lo, s0, v4
	v_add_co_ci_u32_e32 v5, vcc_lo, s1, v5, vcc_lo
	global_load_b32 v2, v[4:5], off
	v_mad_u64_u32 v[4:5], null, v1, s8, v[0:1]
	v_mov_b32_e32 v5, v3
	s_delay_alu instid0(VALU_DEP_1) | instskip(NEXT) | instid1(VALU_DEP_1)
	v_lshlrev_b64 v[0:1], 2, v[4:5]
	v_add_co_u32 v0, vcc_lo, s9, v0
	s_delay_alu instid0(VALU_DEP_2)
	v_add_co_ci_u32_e32 v1, vcc_lo, s3, v1, vcc_lo
	s_waitcnt vmcnt(0)
	global_store_b32 v[0:1], v2, off
.LBB34_2:
	s_nop 0
	s_sendmsg sendmsg(MSG_DEALLOC_VGPRS)
	s_endpgm
	.section	.rodata,"a",@progbits
	.p2align	6, 0x0
	.amdhsa_kernel _ZN9rocsolver6v33100L9copymatA1IfPfEEviiT0_iilPT_
		.amdhsa_group_segment_fixed_size 0
		.amdhsa_private_segment_fixed_size 0
		.amdhsa_kernarg_size 296
		.amdhsa_user_sgpr_count 13
		.amdhsa_user_sgpr_dispatch_ptr 0
		.amdhsa_user_sgpr_queue_ptr 0
		.amdhsa_user_sgpr_kernarg_segment_ptr 1
		.amdhsa_user_sgpr_dispatch_id 0
		.amdhsa_user_sgpr_private_segment_size 0
		.amdhsa_wavefront_size32 1
		.amdhsa_uses_dynamic_stack 0
		.amdhsa_enable_private_segment 0
		.amdhsa_system_sgpr_workgroup_id_x 1
		.amdhsa_system_sgpr_workgroup_id_y 1
		.amdhsa_system_sgpr_workgroup_id_z 1
		.amdhsa_system_sgpr_workgroup_info 0
		.amdhsa_system_vgpr_workitem_id 1
		.amdhsa_next_free_vgpr 6
		.amdhsa_next_free_sgpr 16
		.amdhsa_reserve_vcc 1
		.amdhsa_float_round_mode_32 0
		.amdhsa_float_round_mode_16_64 0
		.amdhsa_float_denorm_mode_32 3
		.amdhsa_float_denorm_mode_16_64 3
		.amdhsa_dx10_clamp 1
		.amdhsa_ieee_mode 1
		.amdhsa_fp16_overflow 0
		.amdhsa_workgroup_processor_mode 1
		.amdhsa_memory_ordered 1
		.amdhsa_forward_progress 0
		.amdhsa_shared_vgpr_count 0
		.amdhsa_exception_fp_ieee_invalid_op 0
		.amdhsa_exception_fp_denorm_src 0
		.amdhsa_exception_fp_ieee_div_zero 0
		.amdhsa_exception_fp_ieee_overflow 0
		.amdhsa_exception_fp_ieee_underflow 0
		.amdhsa_exception_fp_ieee_inexact 0
		.amdhsa_exception_int_div_zero 0
	.end_amdhsa_kernel
	.section	.text._ZN9rocsolver6v33100L9copymatA1IfPfEEviiT0_iilPT_,"axG",@progbits,_ZN9rocsolver6v33100L9copymatA1IfPfEEviiT0_iilPT_,comdat
.Lfunc_end34:
	.size	_ZN9rocsolver6v33100L9copymatA1IfPfEEviiT0_iilPT_, .Lfunc_end34-_ZN9rocsolver6v33100L9copymatA1IfPfEEviiT0_iilPT_
                                        ; -- End function
	.section	.AMDGPU.csdata,"",@progbits
; Kernel info:
; codeLenInByte = 336
; NumSgprs: 18
; NumVgprs: 6
; ScratchSize: 0
; MemoryBound: 0
; FloatMode: 240
; IeeeMode: 1
; LDSByteSize: 0 bytes/workgroup (compile time only)
; SGPRBlocks: 2
; VGPRBlocks: 0
; NumSGPRsForWavesPerEU: 18
; NumVGPRsForWavesPerEU: 6
; Occupancy: 16
; WaveLimiterHint : 0
; COMPUTE_PGM_RSRC2:SCRATCH_EN: 0
; COMPUTE_PGM_RSRC2:USER_SGPR: 13
; COMPUTE_PGM_RSRC2:TRAP_HANDLER: 0
; COMPUTE_PGM_RSRC2:TGID_X_EN: 1
; COMPUTE_PGM_RSRC2:TGID_Y_EN: 1
; COMPUTE_PGM_RSRC2:TGID_Z_EN: 1
; COMPUTE_PGM_RSRC2:TIDIG_COMP_CNT: 1
	.section	.text._ZN9rocsolver6v33100L8addmatA1IfPfEEviiT0_iilPT_,"axG",@progbits,_ZN9rocsolver6v33100L8addmatA1IfPfEEviiT0_iilPT_,comdat
	.globl	_ZN9rocsolver6v33100L8addmatA1IfPfEEviiT0_iilPT_ ; -- Begin function _ZN9rocsolver6v33100L8addmatA1IfPfEEviiT0_iilPT_
	.p2align	8
	.type	_ZN9rocsolver6v33100L8addmatA1IfPfEEviiT0_iilPT_,@function
_ZN9rocsolver6v33100L8addmatA1IfPfEEviiT0_iilPT_: ; @_ZN9rocsolver6v33100L8addmatA1IfPfEEviiT0_iilPT_
; %bb.0:
	s_clause 0x1
	s_load_b32 s2, s[0:1], 0x34
	s_load_b64 s[8:9], s[0:1], 0x0
	v_bfe_u32 v2, v0, 10, 10
	v_and_b32_e32 v3, 0x3ff, v0
	s_waitcnt lgkmcnt(0)
	s_lshr_b32 s3, s2, 16
	s_and_b32 s2, s2, 0xffff
	s_delay_alu instid0(VALU_DEP_1) | instskip(SKIP_1) | instid1(VALU_DEP_2)
	v_mad_u64_u32 v[0:1], null, s14, s3, v[2:3]
	v_mad_u64_u32 v[1:2], null, s13, s2, v[3:4]
	v_cmp_gt_u32_e32 vcc_lo, s8, v0
	s_delay_alu instid0(VALU_DEP_2) | instskip(NEXT) | instid1(VALU_DEP_1)
	v_cmp_gt_u32_e64 s2, s9, v1
	s_and_b32 s2, s2, vcc_lo
	s_delay_alu instid0(SALU_CYCLE_1)
	s_and_saveexec_b32 s3, s2
	s_cbranch_execz .LBB35_2
; %bb.1:
	s_load_b256 s[0:7], s[0:1], 0x8
	s_ashr_i32 s10, s8, 31
	s_ashr_i32 s11, s9, 31
	s_mul_hi_u32 s12, s8, s15
	s_mul_i32 s13, s8, s15
	s_mul_i32 s10, s10, s15
	;; [unrolled: 1-line block ×3, first 2 shown]
	s_mul_hi_u32 s14, s13, s9
	s_add_i32 s10, s12, s10
	s_add_i32 s11, s14, s11
	s_mul_i32 s12, s10, s9
	v_mad_u64_u32 v[2:3], null, v1, s8, v[0:1]
	v_mov_b32_e32 v3, 0
	s_mul_i32 s10, s13, s9
	s_add_i32 s11, s11, s12
	s_delay_alu instid0(SALU_CYCLE_1)
	s_lshl_b64 s[8:9], s[10:11], 2
	s_waitcnt lgkmcnt(0)
	v_mad_u64_u32 v[4:5], null, v1, s3, v[0:1]
	s_add_u32 s8, s6, s8
	s_mul_i32 s5, s15, s5
	s_mul_hi_u32 s6, s15, s4
	v_mov_b32_e32 v5, v3
	s_mul_i32 s4, s15, s4
	s_addc_u32 s9, s7, s9
	s_add_i32 s5, s6, s5
	v_lshlrev_b64 v[0:1], 2, v[2:3]
	s_lshl_b64 s[4:5], s[4:5], 2
	s_mov_b32 s6, s2
	s_ashr_i32 s7, s2, 31
	v_lshlrev_b64 v[2:3], 2, v[4:5]
	s_add_u32 s2, s0, s4
	s_addc_u32 s3, s1, s5
	s_lshl_b64 s[0:1], s[6:7], 2
	v_add_co_u32 v0, vcc_lo, s8, v0
	s_add_u32 s0, s2, s0
	v_add_co_ci_u32_e32 v1, vcc_lo, s9, v1, vcc_lo
	s_addc_u32 s1, s3, s1
	v_add_co_u32 v2, vcc_lo, s0, v2
	v_add_co_ci_u32_e32 v3, vcc_lo, s1, v3, vcc_lo
	global_load_b32 v0, v[0:1], off
	global_load_b32 v1, v[2:3], off
	s_waitcnt vmcnt(0)
	v_sub_f32_e32 v0, v1, v0
	global_store_b32 v[2:3], v0, off
.LBB35_2:
	s_nop 0
	s_sendmsg sendmsg(MSG_DEALLOC_VGPRS)
	s_endpgm
	.section	.rodata,"a",@progbits
	.p2align	6, 0x0
	.amdhsa_kernel _ZN9rocsolver6v33100L8addmatA1IfPfEEviiT0_iilPT_
		.amdhsa_group_segment_fixed_size 0
		.amdhsa_private_segment_fixed_size 0
		.amdhsa_kernarg_size 296
		.amdhsa_user_sgpr_count 13
		.amdhsa_user_sgpr_dispatch_ptr 0
		.amdhsa_user_sgpr_queue_ptr 0
		.amdhsa_user_sgpr_kernarg_segment_ptr 1
		.amdhsa_user_sgpr_dispatch_id 0
		.amdhsa_user_sgpr_private_segment_size 0
		.amdhsa_wavefront_size32 1
		.amdhsa_uses_dynamic_stack 0
		.amdhsa_enable_private_segment 0
		.amdhsa_system_sgpr_workgroup_id_x 1
		.amdhsa_system_sgpr_workgroup_id_y 1
		.amdhsa_system_sgpr_workgroup_id_z 1
		.amdhsa_system_sgpr_workgroup_info 0
		.amdhsa_system_vgpr_workitem_id 1
		.amdhsa_next_free_vgpr 6
		.amdhsa_next_free_sgpr 16
		.amdhsa_reserve_vcc 1
		.amdhsa_float_round_mode_32 0
		.amdhsa_float_round_mode_16_64 0
		.amdhsa_float_denorm_mode_32 3
		.amdhsa_float_denorm_mode_16_64 3
		.amdhsa_dx10_clamp 1
		.amdhsa_ieee_mode 1
		.amdhsa_fp16_overflow 0
		.amdhsa_workgroup_processor_mode 1
		.amdhsa_memory_ordered 1
		.amdhsa_forward_progress 0
		.amdhsa_shared_vgpr_count 0
		.amdhsa_exception_fp_ieee_invalid_op 0
		.amdhsa_exception_fp_denorm_src 0
		.amdhsa_exception_fp_ieee_div_zero 0
		.amdhsa_exception_fp_ieee_overflow 0
		.amdhsa_exception_fp_ieee_underflow 0
		.amdhsa_exception_fp_ieee_inexact 0
		.amdhsa_exception_int_div_zero 0
	.end_amdhsa_kernel
	.section	.text._ZN9rocsolver6v33100L8addmatA1IfPfEEviiT0_iilPT_,"axG",@progbits,_ZN9rocsolver6v33100L8addmatA1IfPfEEviiT0_iilPT_,comdat
.Lfunc_end35:
	.size	_ZN9rocsolver6v33100L8addmatA1IfPfEEviiT0_iilPT_, .Lfunc_end35-_ZN9rocsolver6v33100L8addmatA1IfPfEEviiT0_iilPT_
                                        ; -- End function
	.section	.AMDGPU.csdata,"",@progbits
; Kernel info:
; codeLenInByte = 336
; NumSgprs: 18
; NumVgprs: 6
; ScratchSize: 0
; MemoryBound: 0
; FloatMode: 240
; IeeeMode: 1
; LDSByteSize: 0 bytes/workgroup (compile time only)
; SGPRBlocks: 2
; VGPRBlocks: 0
; NumSGPRsForWavesPerEU: 18
; NumVGPRsForWavesPerEU: 6
; Occupancy: 16
; WaveLimiterHint : 0
; COMPUTE_PGM_RSRC2:SCRATCH_EN: 0
; COMPUTE_PGM_RSRC2:USER_SGPR: 13
; COMPUTE_PGM_RSRC2:TRAP_HANDLER: 0
; COMPUTE_PGM_RSRC2:TGID_X_EN: 1
; COMPUTE_PGM_RSRC2:TGID_Y_EN: 1
; COMPUTE_PGM_RSRC2:TGID_Z_EN: 1
; COMPUTE_PGM_RSRC2:TIDIG_COMP_CNT: 1
	.section	.text._ZN9rocsolver6v33100L15gesvdj_finalizeIffEEviPT0_lPT_ilS5_il,"axG",@progbits,_ZN9rocsolver6v33100L15gesvdj_finalizeIffEEviPT0_lPT_ilS5_il,comdat
	.globl	_ZN9rocsolver6v33100L15gesvdj_finalizeIffEEviPT0_lPT_ilS5_il ; -- Begin function _ZN9rocsolver6v33100L15gesvdj_finalizeIffEEviPT0_lPT_ilS5_il
	.p2align	8
	.type	_ZN9rocsolver6v33100L15gesvdj_finalizeIffEEviPT0_lPT_ilS5_il,@function
_ZN9rocsolver6v33100L15gesvdj_finalizeIffEEviPT0_lPT_ilS5_il: ; @_ZN9rocsolver6v33100L15gesvdj_finalizeIffEEviPT0_lPT_ilS5_il
; %bb.0:
	s_clause 0x1
	s_load_b32 s2, s[0:1], 0x54
	s_load_b32 s8, s[0:1], 0x0
	s_mov_b32 s3, exec_lo
	s_waitcnt lgkmcnt(0)
	s_and_b32 s2, s2, 0xffff
	s_delay_alu instid0(SALU_CYCLE_1) | instskip(SKIP_1) | instid1(VALU_DEP_1)
	v_mad_u64_u32 v[1:2], null, s14, s2, v[0:1]
	s_mov_b32 s2, 0
	v_max_i32_e32 v0, 0, v1
	s_delay_alu instid0(VALU_DEP_1)
	v_cmpx_gt_i32_e64 s8, v0
	s_cbranch_execz .LBB36_7
; %bb.1:
	s_clause 0x5
	s_load_b128 s[16:19], s[0:1], 0x8
	s_load_b128 s[4:7], s[0:1], 0x28
	s_load_b64 s[12:13], s[0:1], 0x40
	s_load_b32 s3, s[0:1], 0x20
	s_load_b32 s9, s[0:1], 0x38
	s_load_b64 s[10:11], s[0:1], 0x18
	s_ashr_i32 s14, s15, 31
	v_mov_b32_e32 v0, 0
	s_waitcnt lgkmcnt(0)
	s_mul_i32 s1, s15, s19
	s_mul_hi_u32 s19, s15, s18
	s_mul_i32 s20, s14, s18
	s_add_i32 s1, s19, s1
	s_mul_i32 s0, s15, s18
	s_add_i32 s1, s1, s20
	s_mul_i32 s21, s15, s5
	s_lshl_b64 s[0:1], s[0:1], 2
	s_mul_hi_u32 s19, s15, s4
	s_mul_i32 s20, s14, s4
	s_mul_i32 s18, s15, s4
	s_add_u32 s4, s16, s0
	s_addc_u32 s5, s17, s1
	s_add_i32 s0, s19, s21
	s_mul_i32 s13, s15, s13
	s_add_i32 s19, s0, s20
	s_mul_hi_u32 s0, s15, s12
	s_lshl_b64 s[16:17], s[18:19], 2
	s_mul_i32 s14, s14, s12
	s_add_u32 s1, s10, s16
	s_addc_u32 s10, s11, s17
	s_add_i32 s0, s0, s13
	s_mul_i32 s12, s15, s12
	s_add_i32 s13, s0, s14
	v_cmp_eq_u32_e64 s0, 0, v1
	s_lshl_b64 s[12:13], s[12:13], 2
	s_delay_alu instid0(SALU_CYCLE_1)
	s_add_u32 s6, s6, s12
	s_addc_u32 s7, s7, s13
	s_add_i32 s11, s3, 1
	s_set_inst_prefetch_distance 0x1
	s_branch .LBB36_3
	.p2align	6
.LBB36_2:                               ;   in Loop: Header=BB36_3 Depth=1
	s_add_i32 s8, s8, -1
	v_add_nc_u32_e32 v1, s9, v1
	s_add_i32 s2, s2, s11
	s_add_u32 s4, s4, 4
	s_addc_u32 s5, s5, 0
	s_cmp_lg_u32 s8, 0
	s_cbranch_scc0 .LBB36_7
.LBB36_3:                               ; =>This Inner Loop Header: Depth=1
	s_ashr_i32 s3, s2, 31
	s_delay_alu instid0(SALU_CYCLE_1) | instskip(NEXT) | instid1(SALU_CYCLE_1)
	s_lshl_b64 s[12:13], s[2:3], 2
	s_add_u32 s12, s1, s12
	s_addc_u32 s13, s10, s13
	global_load_b32 v2, v0, s[12:13]
	s_and_saveexec_b32 s3, s0
	s_cbranch_execz .LBB36_5
; %bb.4:                                ;   in Loop: Header=BB36_3 Depth=1
	s_waitcnt vmcnt(0)
	v_and_b32_e32 v3, 0x7fffffff, v2
	global_store_b32 v0, v3, s[4:5]
.LBB36_5:                               ;   in Loop: Header=BB36_3 Depth=1
	s_or_b32 exec_lo, exec_lo, s3
	s_waitcnt vmcnt(0)
	v_cmp_ngt_f32_e32 vcc_lo, 0, v2
	s_cbranch_vccnz .LBB36_2
; %bb.6:                                ;   in Loop: Header=BB36_3 Depth=1
	v_ashrrev_i32_e32 v2, 31, v1
	s_delay_alu instid0(VALU_DEP_1) | instskip(NEXT) | instid1(VALU_DEP_1)
	v_lshlrev_b64 v[2:3], 2, v[1:2]
	v_add_co_u32 v2, vcc_lo, s6, v2
	s_delay_alu instid0(VALU_DEP_2)
	v_add_co_ci_u32_e32 v3, vcc_lo, s7, v3, vcc_lo
	global_load_b32 v4, v[2:3], off
	s_waitcnt vmcnt(0)
	v_xor_b32_e32 v4, 0x80000000, v4
	global_store_b32 v[2:3], v4, off
	s_branch .LBB36_2
.LBB36_7:
	s_set_inst_prefetch_distance 0x2
	s_nop 0
	s_sendmsg sendmsg(MSG_DEALLOC_VGPRS)
	s_endpgm
	.section	.rodata,"a",@progbits
	.p2align	6, 0x0
	.amdhsa_kernel _ZN9rocsolver6v33100L15gesvdj_finalizeIffEEviPT0_lPT_ilS5_il
		.amdhsa_group_segment_fixed_size 0
		.amdhsa_private_segment_fixed_size 0
		.amdhsa_kernarg_size 328
		.amdhsa_user_sgpr_count 14
		.amdhsa_user_sgpr_dispatch_ptr 0
		.amdhsa_user_sgpr_queue_ptr 0
		.amdhsa_user_sgpr_kernarg_segment_ptr 1
		.amdhsa_user_sgpr_dispatch_id 0
		.amdhsa_user_sgpr_private_segment_size 0
		.amdhsa_wavefront_size32 1
		.amdhsa_uses_dynamic_stack 0
		.amdhsa_enable_private_segment 0
		.amdhsa_system_sgpr_workgroup_id_x 1
		.amdhsa_system_sgpr_workgroup_id_y 1
		.amdhsa_system_sgpr_workgroup_id_z 0
		.amdhsa_system_sgpr_workgroup_info 0
		.amdhsa_system_vgpr_workitem_id 0
		.amdhsa_next_free_vgpr 5
		.amdhsa_next_free_sgpr 22
		.amdhsa_reserve_vcc 1
		.amdhsa_float_round_mode_32 0
		.amdhsa_float_round_mode_16_64 0
		.amdhsa_float_denorm_mode_32 3
		.amdhsa_float_denorm_mode_16_64 3
		.amdhsa_dx10_clamp 1
		.amdhsa_ieee_mode 1
		.amdhsa_fp16_overflow 0
		.amdhsa_workgroup_processor_mode 1
		.amdhsa_memory_ordered 1
		.amdhsa_forward_progress 0
		.amdhsa_shared_vgpr_count 0
		.amdhsa_exception_fp_ieee_invalid_op 0
		.amdhsa_exception_fp_denorm_src 0
		.amdhsa_exception_fp_ieee_div_zero 0
		.amdhsa_exception_fp_ieee_overflow 0
		.amdhsa_exception_fp_ieee_underflow 0
		.amdhsa_exception_fp_ieee_inexact 0
		.amdhsa_exception_int_div_zero 0
	.end_amdhsa_kernel
	.section	.text._ZN9rocsolver6v33100L15gesvdj_finalizeIffEEviPT0_lPT_ilS5_il,"axG",@progbits,_ZN9rocsolver6v33100L15gesvdj_finalizeIffEEviPT0_lPT_ilS5_il,comdat
.Lfunc_end36:
	.size	_ZN9rocsolver6v33100L15gesvdj_finalizeIffEEviPT0_lPT_ilS5_il, .Lfunc_end36-_ZN9rocsolver6v33100L15gesvdj_finalizeIffEEviPT0_lPT_ilS5_il
                                        ; -- End function
	.section	.AMDGPU.csdata,"",@progbits
; Kernel info:
; codeLenInByte = 448
; NumSgprs: 24
; NumVgprs: 5
; ScratchSize: 0
; MemoryBound: 0
; FloatMode: 240
; IeeeMode: 1
; LDSByteSize: 0 bytes/workgroup (compile time only)
; SGPRBlocks: 2
; VGPRBlocks: 0
; NumSGPRsForWavesPerEU: 24
; NumVGPRsForWavesPerEU: 5
; Occupancy: 16
; WaveLimiterHint : 0
; COMPUTE_PGM_RSRC2:SCRATCH_EN: 0
; COMPUTE_PGM_RSRC2:USER_SGPR: 14
; COMPUTE_PGM_RSRC2:TRAP_HANDLER: 0
; COMPUTE_PGM_RSRC2:TGID_X_EN: 1
; COMPUTE_PGM_RSRC2:TGID_Y_EN: 1
; COMPUTE_PGM_RSRC2:TGID_Z_EN: 0
; COMPUTE_PGM_RSRC2:TIDIG_COMP_CNT: 0
	.section	.text._ZN9rocsolver6v33100L16org2r_init_identIfPfEEviiiT0_iil,"axG",@progbits,_ZN9rocsolver6v33100L16org2r_init_identIfPfEEviiiT0_iil,comdat
	.globl	_ZN9rocsolver6v33100L16org2r_init_identIfPfEEviiiT0_iil ; -- Begin function _ZN9rocsolver6v33100L16org2r_init_identIfPfEEviiiT0_iil
	.p2align	8
	.type	_ZN9rocsolver6v33100L16org2r_init_identIfPfEEviiiT0_iil,@function
_ZN9rocsolver6v33100L16org2r_init_identIfPfEEviiiT0_iil: ; @_ZN9rocsolver6v33100L16org2r_init_identIfPfEEviiiT0_iil
; %bb.0:
	s_clause 0x1
	s_load_b32 s2, s[0:1], 0x34
	s_load_b128 s[4:7], s[0:1], 0x0
	v_and_b32_e32 v1, 0x3ff, v0
	v_bfe_u32 v0, v0, 10, 10
	s_waitcnt lgkmcnt(0)
	s_lshr_b32 s3, s2, 16
	s_and_b32 s2, s2, 0xffff
	s_delay_alu instid0(SALU_CYCLE_1) | instskip(SKIP_1) | instid1(VALU_DEP_2)
	v_mad_u64_u32 v[4:5], null, s13, s2, v[1:2]
	v_mad_u64_u32 v[2:3], null, s14, s3, v[0:1]
	v_cmp_gt_u32_e32 vcc_lo, s4, v4
	s_delay_alu instid0(VALU_DEP_2) | instskip(NEXT) | instid1(VALU_DEP_1)
	v_cmp_gt_u32_e64 s2, s5, v2
	s_and_b32 s2, vcc_lo, s2
	s_delay_alu instid0(SALU_CYCLE_1)
	s_and_saveexec_b32 s3, s2
	s_cbranch_execz .LBB37_5
; %bb.1:
	s_load_b64 s[2:3], s[0:1], 0x18
	s_mov_b32 s5, 0
	s_mov_b32 s4, exec_lo
                                        ; implicit-def: $vgpr5
                                        ; implicit-def: $vgpr0
	v_cmpx_ne_u32_e64 v4, v2
	s_xor_b32 s4, exec_lo, s4
	s_cbranch_execnz .LBB37_6
; %bb.2:
	s_and_not1_saveexec_b32 s4, s4
	s_cbranch_execnz .LBB37_13
.LBB37_3:
	s_or_b32 exec_lo, exec_lo, s4
	s_delay_alu instid0(SALU_CYCLE_1)
	s_and_b32 exec_lo, exec_lo, s5
	s_cbranch_execz .LBB37_5
.LBB37_4:
	s_clause 0x1
	s_load_b64 s[4:5], s[0:1], 0x20
	s_load_b64 s[0:1], s[0:1], 0x10
	v_mov_b32_e32 v1, 0
	s_delay_alu instid0(VALU_DEP_1)
	v_lshlrev_b64 v[0:1], 2, v[0:1]
	s_waitcnt lgkmcnt(0)
	s_mul_i32 s3, s15, s5
	s_mul_hi_u32 s5, s15, s4
	s_mul_i32 s4, s15, s4
	s_add_i32 s5, s5, s3
	s_ashr_i32 s3, s2, 31
	s_lshl_b64 s[4:5], s[4:5], 2
	s_delay_alu instid0(SALU_CYCLE_1) | instskip(SKIP_2) | instid1(SALU_CYCLE_1)
	s_add_u32 s4, s0, s4
	s_addc_u32 s5, s1, s5
	s_lshl_b64 s[0:1], s[2:3], 2
	s_add_u32 s0, s4, s0
	s_addc_u32 s1, s5, s1
	v_add_co_u32 v0, vcc_lo, s0, v0
	v_add_co_ci_u32_e32 v1, vcc_lo, s1, v1, vcc_lo
	global_store_b32 v[0:1], v5, off
.LBB37_5:
	s_nop 0
	s_sendmsg sendmsg(MSG_DEALLOC_VGPRS)
	s_endpgm
.LBB37_6:
	s_mov_b32 s8, exec_lo
                                        ; implicit-def: $sgpr7
                                        ; implicit-def: $vgpr0
	v_cmpx_le_u32_e64 v2, v4
	s_xor_b32 s8, exec_lo, s8
	s_cbranch_execz .LBB37_10
; %bb.7:
	v_cmp_le_u32_e32 vcc_lo, s6, v2
                                        ; implicit-def: $sgpr7
                                        ; implicit-def: $vgpr0
	s_and_saveexec_b32 s6, vcc_lo
	s_delay_alu instid0(SALU_CYCLE_1)
	s_xor_b32 s6, exec_lo, s6
	s_cbranch_execz .LBB37_9
; %bb.8:
	s_waitcnt lgkmcnt(0)
	v_mad_u64_u32 v[0:1], null, v2, s3, v[4:5]
	s_mov_b32 s5, exec_lo
	s_mov_b32 s7, 0
.LBB37_9:
	s_or_b32 exec_lo, exec_lo, s6
	s_delay_alu instid0(SALU_CYCLE_1)
	s_and_b32 s5, s5, exec_lo
                                        ; implicit-def: $vgpr4_vgpr5
                                        ; implicit-def: $vgpr2_vgpr3
.LBB37_10:
	s_or_saveexec_b32 s6, s8
	v_mov_b32_e32 v5, s7
	s_xor_b32 exec_lo, exec_lo, s6
	s_cbranch_execz .LBB37_12
; %bb.11:
	s_waitcnt lgkmcnt(0)
	s_delay_alu instid0(VALU_DEP_1)
	v_mad_u64_u32 v[0:1], null, v2, s3, v[4:5]
	v_mov_b32_e32 v5, 0
	s_or_b32 s5, s5, exec_lo
.LBB37_12:
	s_or_b32 exec_lo, exec_lo, s6
	s_delay_alu instid0(SALU_CYCLE_1)
	s_and_b32 s5, s5, exec_lo
                                        ; implicit-def: $vgpr2_vgpr3
	s_and_not1_saveexec_b32 s4, s4
	s_cbranch_execz .LBB37_3
.LBB37_13:
	s_waitcnt lgkmcnt(0)
	v_mad_u64_u32 v[0:1], null, v2, s3, v[2:3]
	v_mov_b32_e32 v5, 1.0
	s_or_b32 s5, s5, exec_lo
	s_or_b32 exec_lo, exec_lo, s4
	s_delay_alu instid0(SALU_CYCLE_1)
	s_and_b32 exec_lo, exec_lo, s5
	s_cbranch_execnz .LBB37_4
	s_branch .LBB37_5
	.section	.rodata,"a",@progbits
	.p2align	6, 0x0
	.amdhsa_kernel _ZN9rocsolver6v33100L16org2r_init_identIfPfEEviiiT0_iil
		.amdhsa_group_segment_fixed_size 0
		.amdhsa_private_segment_fixed_size 0
		.amdhsa_kernarg_size 296
		.amdhsa_user_sgpr_count 13
		.amdhsa_user_sgpr_dispatch_ptr 0
		.amdhsa_user_sgpr_queue_ptr 0
		.amdhsa_user_sgpr_kernarg_segment_ptr 1
		.amdhsa_user_sgpr_dispatch_id 0
		.amdhsa_user_sgpr_private_segment_size 0
		.amdhsa_wavefront_size32 1
		.amdhsa_uses_dynamic_stack 0
		.amdhsa_enable_private_segment 0
		.amdhsa_system_sgpr_workgroup_id_x 1
		.amdhsa_system_sgpr_workgroup_id_y 1
		.amdhsa_system_sgpr_workgroup_id_z 1
		.amdhsa_system_sgpr_workgroup_info 0
		.amdhsa_system_vgpr_workitem_id 1
		.amdhsa_next_free_vgpr 6
		.amdhsa_next_free_sgpr 16
		.amdhsa_reserve_vcc 1
		.amdhsa_float_round_mode_32 0
		.amdhsa_float_round_mode_16_64 0
		.amdhsa_float_denorm_mode_32 3
		.amdhsa_float_denorm_mode_16_64 3
		.amdhsa_dx10_clamp 1
		.amdhsa_ieee_mode 1
		.amdhsa_fp16_overflow 0
		.amdhsa_workgroup_processor_mode 1
		.amdhsa_memory_ordered 1
		.amdhsa_forward_progress 0
		.amdhsa_shared_vgpr_count 0
		.amdhsa_exception_fp_ieee_invalid_op 0
		.amdhsa_exception_fp_denorm_src 0
		.amdhsa_exception_fp_ieee_div_zero 0
		.amdhsa_exception_fp_ieee_overflow 0
		.amdhsa_exception_fp_ieee_underflow 0
		.amdhsa_exception_fp_ieee_inexact 0
		.amdhsa_exception_int_div_zero 0
	.end_amdhsa_kernel
	.section	.text._ZN9rocsolver6v33100L16org2r_init_identIfPfEEviiiT0_iil,"axG",@progbits,_ZN9rocsolver6v33100L16org2r_init_identIfPfEEviiiT0_iil,comdat
.Lfunc_end37:
	.size	_ZN9rocsolver6v33100L16org2r_init_identIfPfEEviiiT0_iil, .Lfunc_end37-_ZN9rocsolver6v33100L16org2r_init_identIfPfEEviiiT0_iil
                                        ; -- End function
	.section	.AMDGPU.csdata,"",@progbits
; Kernel info:
; codeLenInByte = 452
; NumSgprs: 18
; NumVgprs: 6
; ScratchSize: 0
; MemoryBound: 0
; FloatMode: 240
; IeeeMode: 1
; LDSByteSize: 0 bytes/workgroup (compile time only)
; SGPRBlocks: 2
; VGPRBlocks: 0
; NumSGPRsForWavesPerEU: 18
; NumVGPRsForWavesPerEU: 6
; Occupancy: 16
; WaveLimiterHint : 0
; COMPUTE_PGM_RSRC2:SCRATCH_EN: 0
; COMPUTE_PGM_RSRC2:USER_SGPR: 13
; COMPUTE_PGM_RSRC2:TRAP_HANDLER: 0
; COMPUTE_PGM_RSRC2:TGID_X_EN: 1
; COMPUTE_PGM_RSRC2:TGID_Y_EN: 1
; COMPUTE_PGM_RSRC2:TGID_Z_EN: 1
; COMPUTE_PGM_RSRC2:TIDIG_COMP_CNT: 1
	.section	.text._ZN9rocsolver6v33100L12subtract_tauIfPfEEviiT0_iilPT_l,"axG",@progbits,_ZN9rocsolver6v33100L12subtract_tauIfPfEEviiT0_iilPT_l,comdat
	.globl	_ZN9rocsolver6v33100L12subtract_tauIfPfEEviiT0_iilPT_l ; -- Begin function _ZN9rocsolver6v33100L12subtract_tauIfPfEEviiT0_iilPT_l
	.p2align	8
	.type	_ZN9rocsolver6v33100L12subtract_tauIfPfEEviiT0_iilPT_l,@function
_ZN9rocsolver6v33100L12subtract_tauIfPfEEviiT0_iilPT_l: ; @_ZN9rocsolver6v33100L12subtract_tauIfPfEEviiT0_iilPT_l
; %bb.0:
	s_clause 0x3
	s_load_b64 s[8:9], s[0:1], 0x10
	s_load_b128 s[4:7], s[0:1], 0x18
	s_load_b64 s[10:11], s[0:1], 0x28
	s_load_b128 s[0:3], s[0:1], 0x0
	s_waitcnt lgkmcnt(0)
	s_ashr_i32 s13, s8, 31
	s_mov_b32 s12, s8
	s_mul_i32 s5, s15, s5
	s_mul_hi_u32 s8, s15, s4
	s_mul_i32 s4, s15, s4
	s_add_i32 s5, s8, s5
	s_mul_i32 s8, s15, s11
	s_lshl_b64 s[4:5], s[4:5], 2
	s_mul_hi_u32 s11, s15, s10
	s_add_u32 s14, s2, s4
	s_addc_u32 s5, s3, s5
	s_lshl_b64 s[2:3], s[12:13], 2
	s_mul_i32 s4, s15, s10
	s_add_u32 s10, s14, s2
	s_addc_u32 s12, s5, s3
	s_add_i32 s5, s11, s8
	s_mul_i32 s1, s9, s1
	s_lshl_b64 s[2:3], s[4:5], 2
	s_delay_alu instid0(SALU_CYCLE_1) | instskip(SKIP_4) | instid1(SALU_CYCLE_1)
	s_add_u32 s2, s6, s2
	s_addc_u32 s3, s7, s3
	s_add_i32 s0, s1, s0
	s_load_b32 s4, s[2:3], 0x0
	s_ashr_i32 s1, s0, 31
	s_lshl_b64 s[0:1], s[0:1], 2
	s_waitcnt lgkmcnt(0)
	s_xor_b32 s5, s4, 0x80000000
	s_delay_alu instid0(SALU_CYCLE_1)
	v_dual_mov_b32 v0, 0 :: v_dual_mov_b32 v1, s5
	v_sub_f32_e64 v2, 1.0, s4
	s_add_u32 s0, s10, s0
	s_addc_u32 s1, s12, s1
	s_clause 0x1
	global_store_b32 v0, v1, s[2:3]
	global_store_b32 v0, v2, s[0:1]
	s_nop 0
	s_sendmsg sendmsg(MSG_DEALLOC_VGPRS)
	s_endpgm
	.section	.rodata,"a",@progbits
	.p2align	6, 0x0
	.amdhsa_kernel _ZN9rocsolver6v33100L12subtract_tauIfPfEEviiT0_iilPT_l
		.amdhsa_group_segment_fixed_size 0
		.amdhsa_private_segment_fixed_size 0
		.amdhsa_kernarg_size 48
		.amdhsa_user_sgpr_count 15
		.amdhsa_user_sgpr_dispatch_ptr 0
		.amdhsa_user_sgpr_queue_ptr 0
		.amdhsa_user_sgpr_kernarg_segment_ptr 1
		.amdhsa_user_sgpr_dispatch_id 0
		.amdhsa_user_sgpr_private_segment_size 0
		.amdhsa_wavefront_size32 1
		.amdhsa_uses_dynamic_stack 0
		.amdhsa_enable_private_segment 0
		.amdhsa_system_sgpr_workgroup_id_x 1
		.amdhsa_system_sgpr_workgroup_id_y 0
		.amdhsa_system_sgpr_workgroup_id_z 0
		.amdhsa_system_sgpr_workgroup_info 0
		.amdhsa_system_vgpr_workitem_id 0
		.amdhsa_next_free_vgpr 3
		.amdhsa_next_free_sgpr 16
		.amdhsa_reserve_vcc 0
		.amdhsa_float_round_mode_32 0
		.amdhsa_float_round_mode_16_64 0
		.amdhsa_float_denorm_mode_32 3
		.amdhsa_float_denorm_mode_16_64 3
		.amdhsa_dx10_clamp 1
		.amdhsa_ieee_mode 1
		.amdhsa_fp16_overflow 0
		.amdhsa_workgroup_processor_mode 1
		.amdhsa_memory_ordered 1
		.amdhsa_forward_progress 0
		.amdhsa_shared_vgpr_count 0
		.amdhsa_exception_fp_ieee_invalid_op 0
		.amdhsa_exception_fp_denorm_src 0
		.amdhsa_exception_fp_ieee_div_zero 0
		.amdhsa_exception_fp_ieee_overflow 0
		.amdhsa_exception_fp_ieee_underflow 0
		.amdhsa_exception_fp_ieee_inexact 0
		.amdhsa_exception_int_div_zero 0
	.end_amdhsa_kernel
	.section	.text._ZN9rocsolver6v33100L12subtract_tauIfPfEEviiT0_iilPT_l,"axG",@progbits,_ZN9rocsolver6v33100L12subtract_tauIfPfEEviiT0_iilPT_l,comdat
.Lfunc_end38:
	.size	_ZN9rocsolver6v33100L12subtract_tauIfPfEEviiT0_iilPT_l, .Lfunc_end38-_ZN9rocsolver6v33100L12subtract_tauIfPfEEviiT0_iilPT_l
                                        ; -- End function
	.section	.AMDGPU.csdata,"",@progbits
; Kernel info:
; codeLenInByte = 216
; NumSgprs: 16
; NumVgprs: 3
; ScratchSize: 0
; MemoryBound: 0
; FloatMode: 240
; IeeeMode: 1
; LDSByteSize: 0 bytes/workgroup (compile time only)
; SGPRBlocks: 1
; VGPRBlocks: 0
; NumSGPRsForWavesPerEU: 16
; NumVGPRsForWavesPerEU: 3
; Occupancy: 16
; WaveLimiterHint : 0
; COMPUTE_PGM_RSRC2:SCRATCH_EN: 0
; COMPUTE_PGM_RSRC2:USER_SGPR: 15
; COMPUTE_PGM_RSRC2:TRAP_HANDLER: 0
; COMPUTE_PGM_RSRC2:TGID_X_EN: 1
; COMPUTE_PGM_RSRC2:TGID_Y_EN: 0
; COMPUTE_PGM_RSRC2:TGID_Z_EN: 0
; COMPUTE_PGM_RSRC2:TIDIG_COMP_CNT: 0
	.section	.text._ZN9rocsolver6v33100L6restauIfEEviPT_l,"axG",@progbits,_ZN9rocsolver6v33100L6restauIfEEviPT_l,comdat
	.globl	_ZN9rocsolver6v33100L6restauIfEEviPT_l ; -- Begin function _ZN9rocsolver6v33100L6restauIfEEviPT_l
	.p2align	8
	.type	_ZN9rocsolver6v33100L6restauIfEEviPT_l,@function
_ZN9rocsolver6v33100L6restauIfEEviPT_l: ; @_ZN9rocsolver6v33100L6restauIfEEviPT_l
; %bb.0:
	s_clause 0x1
	s_load_b32 s2, s[0:1], 0x24
	s_load_b32 s3, s[0:1], 0x0
	s_waitcnt lgkmcnt(0)
	s_and_b32 s2, s2, 0xffff
	s_delay_alu instid0(SALU_CYCLE_1) | instskip(SKIP_1) | instid1(VALU_DEP_1)
	v_mad_u64_u32 v[1:2], null, s14, s2, v[0:1]
	s_mov_b32 s2, exec_lo
	v_cmpx_gt_u32_e64 s3, v1
	s_cbranch_execz .LBB39_2
; %bb.1:
	s_load_b128 s[0:3], s[0:1], 0x8
	v_mov_b32_e32 v2, 0
	s_delay_alu instid0(VALU_DEP_1)
	v_lshlrev_b64 v[0:1], 2, v[1:2]
	s_waitcnt lgkmcnt(0)
	s_mul_i32 s3, s15, s3
	s_mul_hi_u32 s4, s15, s2
	s_mul_i32 s2, s15, s2
	s_add_i32 s3, s4, s3
	s_delay_alu instid0(SALU_CYCLE_1) | instskip(NEXT) | instid1(SALU_CYCLE_1)
	s_lshl_b64 s[2:3], s[2:3], 2
	s_add_u32 s0, s0, s2
	s_addc_u32 s1, s1, s3
	v_add_co_u32 v0, vcc_lo, s0, v0
	v_add_co_ci_u32_e32 v1, vcc_lo, s1, v1, vcc_lo
	global_load_b32 v2, v[0:1], off
	s_waitcnt vmcnt(0)
	v_xor_b32_e32 v2, 0x80000000, v2
	global_store_b32 v[0:1], v2, off
.LBB39_2:
	s_nop 0
	s_sendmsg sendmsg(MSG_DEALLOC_VGPRS)
	s_endpgm
	.section	.rodata,"a",@progbits
	.p2align	6, 0x0
	.amdhsa_kernel _ZN9rocsolver6v33100L6restauIfEEviPT_l
		.amdhsa_group_segment_fixed_size 0
		.amdhsa_private_segment_fixed_size 0
		.amdhsa_kernarg_size 280
		.amdhsa_user_sgpr_count 14
		.amdhsa_user_sgpr_dispatch_ptr 0
		.amdhsa_user_sgpr_queue_ptr 0
		.amdhsa_user_sgpr_kernarg_segment_ptr 1
		.amdhsa_user_sgpr_dispatch_id 0
		.amdhsa_user_sgpr_private_segment_size 0
		.amdhsa_wavefront_size32 1
		.amdhsa_uses_dynamic_stack 0
		.amdhsa_enable_private_segment 0
		.amdhsa_system_sgpr_workgroup_id_x 1
		.amdhsa_system_sgpr_workgroup_id_y 1
		.amdhsa_system_sgpr_workgroup_id_z 0
		.amdhsa_system_sgpr_workgroup_info 0
		.amdhsa_system_vgpr_workitem_id 0
		.amdhsa_next_free_vgpr 3
		.amdhsa_next_free_sgpr 16
		.amdhsa_reserve_vcc 1
		.amdhsa_float_round_mode_32 0
		.amdhsa_float_round_mode_16_64 0
		.amdhsa_float_denorm_mode_32 3
		.amdhsa_float_denorm_mode_16_64 3
		.amdhsa_dx10_clamp 1
		.amdhsa_ieee_mode 1
		.amdhsa_fp16_overflow 0
		.amdhsa_workgroup_processor_mode 1
		.amdhsa_memory_ordered 1
		.amdhsa_forward_progress 0
		.amdhsa_shared_vgpr_count 0
		.amdhsa_exception_fp_ieee_invalid_op 0
		.amdhsa_exception_fp_denorm_src 0
		.amdhsa_exception_fp_ieee_div_zero 0
		.amdhsa_exception_fp_ieee_overflow 0
		.amdhsa_exception_fp_ieee_underflow 0
		.amdhsa_exception_fp_ieee_inexact 0
		.amdhsa_exception_int_div_zero 0
	.end_amdhsa_kernel
	.section	.text._ZN9rocsolver6v33100L6restauIfEEviPT_l,"axG",@progbits,_ZN9rocsolver6v33100L6restauIfEEviPT_l,comdat
.Lfunc_end39:
	.size	_ZN9rocsolver6v33100L6restauIfEEviPT_l, .Lfunc_end39-_ZN9rocsolver6v33100L6restauIfEEviPT_l
                                        ; -- End function
	.section	.AMDGPU.csdata,"",@progbits
; Kernel info:
; codeLenInByte = 172
; NumSgprs: 18
; NumVgprs: 3
; ScratchSize: 0
; MemoryBound: 0
; FloatMode: 240
; IeeeMode: 1
; LDSByteSize: 0 bytes/workgroup (compile time only)
; SGPRBlocks: 2
; VGPRBlocks: 0
; NumSGPRsForWavesPerEU: 18
; NumVGPRsForWavesPerEU: 3
; Occupancy: 16
; WaveLimiterHint : 0
; COMPUTE_PGM_RSRC2:SCRATCH_EN: 0
; COMPUTE_PGM_RSRC2:USER_SGPR: 14
; COMPUTE_PGM_RSRC2:TRAP_HANDLER: 0
; COMPUTE_PGM_RSRC2:TGID_X_EN: 1
; COMPUTE_PGM_RSRC2:TGID_Y_EN: 1
; COMPUTE_PGM_RSRC2:TGID_Z_EN: 0
; COMPUTE_PGM_RSRC2:TIDIG_COMP_CNT: 0
	.section	.text._ZN9rocsolver6v33100L8set_zeroIfPfEEviiT0_iil13rocblas_fill_,"axG",@progbits,_ZN9rocsolver6v33100L8set_zeroIfPfEEviiT0_iil13rocblas_fill_,comdat
	.globl	_ZN9rocsolver6v33100L8set_zeroIfPfEEviiT0_iil13rocblas_fill_ ; -- Begin function _ZN9rocsolver6v33100L8set_zeroIfPfEEviiT0_iil13rocblas_fill_
	.p2align	8
	.type	_ZN9rocsolver6v33100L8set_zeroIfPfEEviiT0_iil13rocblas_fill_,@function
_ZN9rocsolver6v33100L8set_zeroIfPfEEviiT0_iil13rocblas_fill_: ; @_ZN9rocsolver6v33100L8set_zeroIfPfEEviiT0_iil13rocblas_fill_
; %bb.0:
	s_clause 0x1
	s_load_b32 s4, s[0:1], 0x34
	s_load_b64 s[2:3], s[0:1], 0x0
	v_and_b32_e32 v2, 0x3ff, v0
	v_bfe_u32 v3, v0, 10, 10
	s_waitcnt lgkmcnt(0)
	s_lshr_b32 s5, s4, 16
	s_and_b32 s4, s4, 0xffff
	s_delay_alu instid0(VALU_DEP_1) | instid1(SALU_CYCLE_1)
	v_mad_u64_u32 v[0:1], null, s13, s4, v[2:3]
	v_mad_u64_u32 v[1:2], null, s14, s5, v[3:4]
	s_delay_alu instid0(VALU_DEP_2) | instskip(NEXT) | instid1(VALU_DEP_2)
	v_cmp_gt_u32_e32 vcc_lo, s2, v0
	v_cmp_gt_u32_e64 s2, s3, v1
	s_delay_alu instid0(VALU_DEP_1) | instskip(NEXT) | instid1(SALU_CYCLE_1)
	s_and_b32 s2, vcc_lo, s2
	s_and_saveexec_b32 s3, s2
	s_cbranch_execz .LBB40_12
; %bb.1:
	s_load_b32 s3, s[0:1], 0x20
	s_waitcnt lgkmcnt(0)
	s_cmpk_lt_i32 s3, 0x7a
	s_cbranch_scc1 .LBB40_4
; %bb.2:
	s_cmpk_gt_i32 s3, 0x7a
	s_cbranch_scc0 .LBB40_5
; %bb.3:
	s_cmpk_eq_i32 s3, 0x7b
	s_cselect_b32 s2, -1, 0
	s_cbranch_execz .LBB40_6
	s_branch .LBB40_7
.LBB40_4:
	s_mov_b32 s2, 0
	s_cbranch_execnz .LBB40_8
	s_branch .LBB40_10
.LBB40_5:
	s_mov_b32 s2, 0
.LBB40_6:
	v_cmp_gt_u32_e32 vcc_lo, v1, v0
	s_and_not1_b32 s2, s2, exec_lo
	s_and_b32 s4, vcc_lo, exec_lo
	s_delay_alu instid0(SALU_CYCLE_1)
	s_or_b32 s2, s2, s4
.LBB40_7:
	s_branch .LBB40_10
.LBB40_8:
	s_cmpk_eq_i32 s3, 0x79
	s_cbranch_scc0 .LBB40_10
; %bb.9:
	v_cmp_gt_u32_e32 vcc_lo, v0, v1
	s_and_not1_b32 s2, s2, exec_lo
	s_and_b32 s3, vcc_lo, exec_lo
	s_delay_alu instid0(SALU_CYCLE_1)
	s_or_b32 s2, s2, s3
.LBB40_10:
	s_delay_alu instid0(SALU_CYCLE_1)
	s_and_b32 exec_lo, exec_lo, s2
	s_cbranch_execz .LBB40_12
; %bb.11:
	s_clause 0x1
	s_load_b128 s[4:7], s[0:1], 0x8
	s_load_b64 s[0:1], s[0:1], 0x18
	s_waitcnt lgkmcnt(0)
	v_mad_u64_u32 v[2:3], null, v1, s7, v[0:1]
	s_mul_i32 s1, s15, s1
	s_mul_hi_u32 s2, s15, s0
	v_mov_b32_e32 v3, 0
	s_mul_i32 s0, s15, s0
	s_add_i32 s1, s2, s1
	s_ashr_i32 s3, s6, 31
	s_lshl_b64 s[0:1], s[0:1], 2
	s_mov_b32 s2, s6
	v_lshlrev_b64 v[0:1], 2, v[2:3]
	s_add_u32 s4, s4, s0
	s_addc_u32 s5, s5, s1
	s_lshl_b64 s[0:1], s[2:3], 2
	s_delay_alu instid0(SALU_CYCLE_1)
	s_add_u32 s0, s4, s0
	s_addc_u32 s1, s5, s1
	v_add_co_u32 v0, vcc_lo, s0, v0
	v_add_co_ci_u32_e32 v1, vcc_lo, s1, v1, vcc_lo
	global_store_b32 v[0:1], v3, off
.LBB40_12:
	s_nop 0
	s_sendmsg sendmsg(MSG_DEALLOC_VGPRS)
	s_endpgm
	.section	.rodata,"a",@progbits
	.p2align	6, 0x0
	.amdhsa_kernel _ZN9rocsolver6v33100L8set_zeroIfPfEEviiT0_iil13rocblas_fill_
		.amdhsa_group_segment_fixed_size 0
		.amdhsa_private_segment_fixed_size 0
		.amdhsa_kernarg_size 296
		.amdhsa_user_sgpr_count 13
		.amdhsa_user_sgpr_dispatch_ptr 0
		.amdhsa_user_sgpr_queue_ptr 0
		.amdhsa_user_sgpr_kernarg_segment_ptr 1
		.amdhsa_user_sgpr_dispatch_id 0
		.amdhsa_user_sgpr_private_segment_size 0
		.amdhsa_wavefront_size32 1
		.amdhsa_uses_dynamic_stack 0
		.amdhsa_enable_private_segment 0
		.amdhsa_system_sgpr_workgroup_id_x 1
		.amdhsa_system_sgpr_workgroup_id_y 1
		.amdhsa_system_sgpr_workgroup_id_z 1
		.amdhsa_system_sgpr_workgroup_info 0
		.amdhsa_system_vgpr_workitem_id 1
		.amdhsa_next_free_vgpr 5
		.amdhsa_next_free_sgpr 16
		.amdhsa_reserve_vcc 1
		.amdhsa_float_round_mode_32 0
		.amdhsa_float_round_mode_16_64 0
		.amdhsa_float_denorm_mode_32 3
		.amdhsa_float_denorm_mode_16_64 3
		.amdhsa_dx10_clamp 1
		.amdhsa_ieee_mode 1
		.amdhsa_fp16_overflow 0
		.amdhsa_workgroup_processor_mode 1
		.amdhsa_memory_ordered 1
		.amdhsa_forward_progress 0
		.amdhsa_shared_vgpr_count 0
		.amdhsa_exception_fp_ieee_invalid_op 0
		.amdhsa_exception_fp_denorm_src 0
		.amdhsa_exception_fp_ieee_div_zero 0
		.amdhsa_exception_fp_ieee_overflow 0
		.amdhsa_exception_fp_ieee_underflow 0
		.amdhsa_exception_fp_ieee_inexact 0
		.amdhsa_exception_int_div_zero 0
	.end_amdhsa_kernel
	.section	.text._ZN9rocsolver6v33100L8set_zeroIfPfEEviiT0_iil13rocblas_fill_,"axG",@progbits,_ZN9rocsolver6v33100L8set_zeroIfPfEEviiT0_iil13rocblas_fill_,comdat
.Lfunc_end40:
	.size	_ZN9rocsolver6v33100L8set_zeroIfPfEEviiT0_iil13rocblas_fill_, .Lfunc_end40-_ZN9rocsolver6v33100L8set_zeroIfPfEEviiT0_iil13rocblas_fill_
                                        ; -- End function
	.section	.AMDGPU.csdata,"",@progbits
; Kernel info:
; codeLenInByte = 356
; NumSgprs: 18
; NumVgprs: 5
; ScratchSize: 0
; MemoryBound: 0
; FloatMode: 240
; IeeeMode: 1
; LDSByteSize: 0 bytes/workgroup (compile time only)
; SGPRBlocks: 2
; VGPRBlocks: 0
; NumSGPRsForWavesPerEU: 18
; NumVGPRsForWavesPerEU: 5
; Occupancy: 16
; WaveLimiterHint : 0
; COMPUTE_PGM_RSRC2:SCRATCH_EN: 0
; COMPUTE_PGM_RSRC2:USER_SGPR: 13
; COMPUTE_PGM_RSRC2:TRAP_HANDLER: 0
; COMPUTE_PGM_RSRC2:TGID_X_EN: 1
; COMPUTE_PGM_RSRC2:TGID_Y_EN: 1
; COMPUTE_PGM_RSRC2:TGID_Z_EN: 1
; COMPUTE_PGM_RSRC2:TIDIG_COMP_CNT: 1
	.section	.text._ZN9rocsolver6v33100L6iota_nIdEEvPT_jS2_,"axG",@progbits,_ZN9rocsolver6v33100L6iota_nIdEEvPT_jS2_,comdat
	.globl	_ZN9rocsolver6v33100L6iota_nIdEEvPT_jS2_ ; -- Begin function _ZN9rocsolver6v33100L6iota_nIdEEvPT_jS2_
	.p2align	8
	.type	_ZN9rocsolver6v33100L6iota_nIdEEvPT_jS2_,@function
_ZN9rocsolver6v33100L6iota_nIdEEvPT_jS2_: ; @_ZN9rocsolver6v33100L6iota_nIdEEvPT_jS2_
; %bb.0:
	s_load_b32 s2, s[0:1], 0x8
	s_waitcnt lgkmcnt(0)
	v_cmp_gt_u32_e32 vcc_lo, s2, v0
	s_and_saveexec_b32 s2, vcc_lo
	s_cbranch_execz .LBB41_2
; %bb.1:
	v_cvt_f64_u32_e32 v[1:2], v0
	s_clause 0x1
	s_load_b64 s[2:3], s[0:1], 0x10
	s_load_b64 s[0:1], s[0:1], 0x0
	v_lshlrev_b32_e32 v0, 3, v0
	s_waitcnt lgkmcnt(0)
	s_delay_alu instid0(VALU_DEP_2)
	v_add_f64 v[1:2], v[1:2], s[2:3]
	global_store_b64 v0, v[1:2], s[0:1]
.LBB41_2:
	s_nop 0
	s_sendmsg sendmsg(MSG_DEALLOC_VGPRS)
	s_endpgm
	.section	.rodata,"a",@progbits
	.p2align	6, 0x0
	.amdhsa_kernel _ZN9rocsolver6v33100L6iota_nIdEEvPT_jS2_
		.amdhsa_group_segment_fixed_size 0
		.amdhsa_private_segment_fixed_size 0
		.amdhsa_kernarg_size 24
		.amdhsa_user_sgpr_count 15
		.amdhsa_user_sgpr_dispatch_ptr 0
		.amdhsa_user_sgpr_queue_ptr 0
		.amdhsa_user_sgpr_kernarg_segment_ptr 1
		.amdhsa_user_sgpr_dispatch_id 0
		.amdhsa_user_sgpr_private_segment_size 0
		.amdhsa_wavefront_size32 1
		.amdhsa_uses_dynamic_stack 0
		.amdhsa_enable_private_segment 0
		.amdhsa_system_sgpr_workgroup_id_x 1
		.amdhsa_system_sgpr_workgroup_id_y 0
		.amdhsa_system_sgpr_workgroup_id_z 0
		.amdhsa_system_sgpr_workgroup_info 0
		.amdhsa_system_vgpr_workitem_id 0
		.amdhsa_next_free_vgpr 3
		.amdhsa_next_free_sgpr 4
		.amdhsa_reserve_vcc 1
		.amdhsa_float_round_mode_32 0
		.amdhsa_float_round_mode_16_64 0
		.amdhsa_float_denorm_mode_32 3
		.amdhsa_float_denorm_mode_16_64 3
		.amdhsa_dx10_clamp 1
		.amdhsa_ieee_mode 1
		.amdhsa_fp16_overflow 0
		.amdhsa_workgroup_processor_mode 1
		.amdhsa_memory_ordered 1
		.amdhsa_forward_progress 0
		.amdhsa_shared_vgpr_count 0
		.amdhsa_exception_fp_ieee_invalid_op 0
		.amdhsa_exception_fp_denorm_src 0
		.amdhsa_exception_fp_ieee_div_zero 0
		.amdhsa_exception_fp_ieee_overflow 0
		.amdhsa_exception_fp_ieee_underflow 0
		.amdhsa_exception_fp_ieee_inexact 0
		.amdhsa_exception_int_div_zero 0
	.end_amdhsa_kernel
	.section	.text._ZN9rocsolver6v33100L6iota_nIdEEvPT_jS2_,"axG",@progbits,_ZN9rocsolver6v33100L6iota_nIdEEvPT_jS2_,comdat
.Lfunc_end41:
	.size	_ZN9rocsolver6v33100L6iota_nIdEEvPT_jS2_, .Lfunc_end41-_ZN9rocsolver6v33100L6iota_nIdEEvPT_jS2_
                                        ; -- End function
	.section	.AMDGPU.csdata,"",@progbits
; Kernel info:
; codeLenInByte = 88
; NumSgprs: 6
; NumVgprs: 3
; ScratchSize: 0
; MemoryBound: 0
; FloatMode: 240
; IeeeMode: 1
; LDSByteSize: 0 bytes/workgroup (compile time only)
; SGPRBlocks: 0
; VGPRBlocks: 0
; NumSGPRsForWavesPerEU: 6
; NumVGPRsForWavesPerEU: 3
; Occupancy: 16
; WaveLimiterHint : 0
; COMPUTE_PGM_RSRC2:SCRATCH_EN: 0
; COMPUTE_PGM_RSRC2:USER_SGPR: 15
; COMPUTE_PGM_RSRC2:TRAP_HANDLER: 0
; COMPUTE_PGM_RSRC2:TGID_X_EN: 1
; COMPUTE_PGM_RSRC2:TGID_Y_EN: 0
; COMPUTE_PGM_RSRC2:TGID_Z_EN: 0
; COMPUTE_PGM_RSRC2:TIDIG_COMP_CNT: 0
	.section	.text._ZN9rocsolver6v33100L10reset_infoIdiiEEvPT_T0_T1_S4_,"axG",@progbits,_ZN9rocsolver6v33100L10reset_infoIdiiEEvPT_T0_T1_S4_,comdat
	.globl	_ZN9rocsolver6v33100L10reset_infoIdiiEEvPT_T0_T1_S4_ ; -- Begin function _ZN9rocsolver6v33100L10reset_infoIdiiEEvPT_T0_T1_S4_
	.p2align	8
	.type	_ZN9rocsolver6v33100L10reset_infoIdiiEEvPT_T0_T1_S4_,@function
_ZN9rocsolver6v33100L10reset_infoIdiiEEvPT_T0_T1_S4_: ; @_ZN9rocsolver6v33100L10reset_infoIdiiEEvPT_T0_T1_S4_
; %bb.0:
	s_clause 0x1
	s_load_b32 s2, s[0:1], 0x24
	s_load_b128 s[4:7], s[0:1], 0x8
	s_waitcnt lgkmcnt(0)
	s_and_b32 s2, s2, 0xffff
	s_delay_alu instid0(SALU_CYCLE_1) | instskip(SKIP_1) | instid1(VALU_DEP_1)
	v_mad_u64_u32 v[1:2], null, s15, s2, v[0:1]
	s_mov_b32 s2, exec_lo
	v_cmpx_gt_i32_e64 s4, v1
	s_cbranch_execz .LBB42_2
; %bb.1:
	v_mul_lo_u32 v0, v1, s6
	v_cvt_f64_i32_e32 v[2:3], s5
	s_load_b64 s[0:1], s[0:1], 0x0
	s_delay_alu instid0(VALU_DEP_2) | instskip(NEXT) | instid1(VALU_DEP_1)
	v_cvt_f64_i32_e32 v[4:5], v0
	v_add_f64 v[3:4], v[2:3], v[4:5]
	v_ashrrev_i32_e32 v2, 31, v1
	s_delay_alu instid0(VALU_DEP_1) | instskip(SKIP_1) | instid1(VALU_DEP_1)
	v_lshlrev_b64 v[0:1], 3, v[1:2]
	s_waitcnt lgkmcnt(0)
	v_add_co_u32 v0, vcc_lo, s0, v0
	s_delay_alu instid0(VALU_DEP_2)
	v_add_co_ci_u32_e32 v1, vcc_lo, s1, v1, vcc_lo
	global_store_b64 v[0:1], v[3:4], off
.LBB42_2:
	s_nop 0
	s_sendmsg sendmsg(MSG_DEALLOC_VGPRS)
	s_endpgm
	.section	.rodata,"a",@progbits
	.p2align	6, 0x0
	.amdhsa_kernel _ZN9rocsolver6v33100L10reset_infoIdiiEEvPT_T0_T1_S4_
		.amdhsa_group_segment_fixed_size 0
		.amdhsa_private_segment_fixed_size 0
		.amdhsa_kernarg_size 280
		.amdhsa_user_sgpr_count 15
		.amdhsa_user_sgpr_dispatch_ptr 0
		.amdhsa_user_sgpr_queue_ptr 0
		.amdhsa_user_sgpr_kernarg_segment_ptr 1
		.amdhsa_user_sgpr_dispatch_id 0
		.amdhsa_user_sgpr_private_segment_size 0
		.amdhsa_wavefront_size32 1
		.amdhsa_uses_dynamic_stack 0
		.amdhsa_enable_private_segment 0
		.amdhsa_system_sgpr_workgroup_id_x 1
		.amdhsa_system_sgpr_workgroup_id_y 0
		.amdhsa_system_sgpr_workgroup_id_z 0
		.amdhsa_system_sgpr_workgroup_info 0
		.amdhsa_system_vgpr_workitem_id 0
		.amdhsa_next_free_vgpr 6
		.amdhsa_next_free_sgpr 16
		.amdhsa_reserve_vcc 1
		.amdhsa_float_round_mode_32 0
		.amdhsa_float_round_mode_16_64 0
		.amdhsa_float_denorm_mode_32 3
		.amdhsa_float_denorm_mode_16_64 3
		.amdhsa_dx10_clamp 1
		.amdhsa_ieee_mode 1
		.amdhsa_fp16_overflow 0
		.amdhsa_workgroup_processor_mode 1
		.amdhsa_memory_ordered 1
		.amdhsa_forward_progress 0
		.amdhsa_shared_vgpr_count 0
		.amdhsa_exception_fp_ieee_invalid_op 0
		.amdhsa_exception_fp_denorm_src 0
		.amdhsa_exception_fp_ieee_div_zero 0
		.amdhsa_exception_fp_ieee_overflow 0
		.amdhsa_exception_fp_ieee_underflow 0
		.amdhsa_exception_fp_ieee_inexact 0
		.amdhsa_exception_int_div_zero 0
	.end_amdhsa_kernel
	.section	.text._ZN9rocsolver6v33100L10reset_infoIdiiEEvPT_T0_T1_S4_,"axG",@progbits,_ZN9rocsolver6v33100L10reset_infoIdiiEEvPT_T0_T1_S4_,comdat
.Lfunc_end42:
	.size	_ZN9rocsolver6v33100L10reset_infoIdiiEEvPT_T0_T1_S4_, .Lfunc_end42-_ZN9rocsolver6v33100L10reset_infoIdiiEEvPT_T0_T1_S4_
                                        ; -- End function
	.section	.AMDGPU.csdata,"",@progbits
; Kernel info:
; codeLenInByte = 152
; NumSgprs: 18
; NumVgprs: 6
; ScratchSize: 0
; MemoryBound: 0
; FloatMode: 240
; IeeeMode: 1
; LDSByteSize: 0 bytes/workgroup (compile time only)
; SGPRBlocks: 2
; VGPRBlocks: 0
; NumSGPRsForWavesPerEU: 18
; NumVGPRsForWavesPerEU: 6
; Occupancy: 16
; WaveLimiterHint : 0
; COMPUTE_PGM_RSRC2:SCRATCH_EN: 0
; COMPUTE_PGM_RSRC2:USER_SGPR: 15
; COMPUTE_PGM_RSRC2:TRAP_HANDLER: 0
; COMPUTE_PGM_RSRC2:TGID_X_EN: 1
; COMPUTE_PGM_RSRC2:TGID_Y_EN: 0
; COMPUTE_PGM_RSRC2:TGID_Z_EN: 0
; COMPUTE_PGM_RSRC2:TIDIG_COMP_CNT: 0
	.section	.text._ZN9rocsolver6v33100L16syev_scalar_caseIdPdTnNSt9enable_ifIXnt18rocblas_is_complexIT_EEiE4typeELi0EEEv14rocblas_evect_T0_lPS4_li,"axG",@progbits,_ZN9rocsolver6v33100L16syev_scalar_caseIdPdTnNSt9enable_ifIXnt18rocblas_is_complexIT_EEiE4typeELi0EEEv14rocblas_evect_T0_lPS4_li,comdat
	.globl	_ZN9rocsolver6v33100L16syev_scalar_caseIdPdTnNSt9enable_ifIXnt18rocblas_is_complexIT_EEiE4typeELi0EEEv14rocblas_evect_T0_lPS4_li ; -- Begin function _ZN9rocsolver6v33100L16syev_scalar_caseIdPdTnNSt9enable_ifIXnt18rocblas_is_complexIT_EEiE4typeELi0EEEv14rocblas_evect_T0_lPS4_li
	.p2align	8
	.type	_ZN9rocsolver6v33100L16syev_scalar_caseIdPdTnNSt9enable_ifIXnt18rocblas_is_complexIT_EEiE4typeELi0EEEv14rocblas_evect_T0_lPS4_li,@function
_ZN9rocsolver6v33100L16syev_scalar_caseIdPdTnNSt9enable_ifIXnt18rocblas_is_complexIT_EEiE4typeELi0EEEv14rocblas_evect_T0_lPS4_li: ; @_ZN9rocsolver6v33100L16syev_scalar_caseIdPdTnNSt9enable_ifIXnt18rocblas_is_complexIT_EEiE4typeELi0EEEv14rocblas_evect_T0_lPS4_li
; %bb.0:
	s_clause 0x1
	s_load_b32 s2, s[0:1], 0x3c
	s_load_b32 s3, s[0:1], 0x28
	s_waitcnt lgkmcnt(0)
	s_and_b32 s2, s2, 0xffff
	s_delay_alu instid0(SALU_CYCLE_1) | instskip(SKIP_1) | instid1(VALU_DEP_1)
	v_mad_u64_u32 v[1:2], null, s15, s2, v[0:1]
	s_mov_b32 s2, exec_lo
	v_cmpx_gt_i32_e64 s3, v1
	s_cbranch_execz .LBB43_3
; %bb.1:
	s_load_b256 s[4:11], s[0:1], 0x8
	v_ashrrev_i32_e32 v0, 31, v1
	s_load_b32 s0, s[0:1], 0x0
	s_waitcnt lgkmcnt(0)
	v_mul_lo_u32 v4, v1, s7
	s_delay_alu instid0(VALU_DEP_2)
	v_mul_lo_u32 v5, v0, s6
	v_mad_u64_u32 v[2:3], null, v1, s6, 0
	v_mul_lo_u32 v8, v1, s11
	v_mul_lo_u32 v0, v0, s10
	v_mad_u64_u32 v[6:7], null, v1, s10, 0
	s_cmpk_lg_i32 s0, 0xd3
	s_delay_alu instid0(VALU_DEP_4) | instskip(NEXT) | instid1(VALU_DEP_2)
	v_add3_u32 v3, v3, v4, v5
	v_add3_u32 v7, v7, v8, v0
	s_delay_alu instid0(VALU_DEP_2) | instskip(NEXT) | instid1(VALU_DEP_2)
	v_lshlrev_b64 v[2:3], 3, v[2:3]
	v_lshlrev_b64 v[0:1], 3, v[6:7]
	s_delay_alu instid0(VALU_DEP_2) | instskip(NEXT) | instid1(VALU_DEP_3)
	v_add_co_u32 v2, vcc_lo, s4, v2
	v_add_co_ci_u32_e32 v3, vcc_lo, s5, v3, vcc_lo
	s_delay_alu instid0(VALU_DEP_3) | instskip(NEXT) | instid1(VALU_DEP_4)
	v_add_co_u32 v0, vcc_lo, s8, v0
	v_add_co_ci_u32_e32 v1, vcc_lo, s9, v1, vcc_lo
	global_load_b64 v[4:5], v[2:3], off
	s_waitcnt vmcnt(0)
	global_store_b64 v[0:1], v[4:5], off
	s_cbranch_scc1 .LBB43_3
; %bb.2:
	v_dual_mov_b32 v0, 0 :: v_dual_mov_b32 v1, 0x3ff00000
	global_store_b64 v[2:3], v[0:1], off
.LBB43_3:
	s_nop 0
	s_sendmsg sendmsg(MSG_DEALLOC_VGPRS)
	s_endpgm
	.section	.rodata,"a",@progbits
	.p2align	6, 0x0
	.amdhsa_kernel _ZN9rocsolver6v33100L16syev_scalar_caseIdPdTnNSt9enable_ifIXnt18rocblas_is_complexIT_EEiE4typeELi0EEEv14rocblas_evect_T0_lPS4_li
		.amdhsa_group_segment_fixed_size 0
		.amdhsa_private_segment_fixed_size 0
		.amdhsa_kernarg_size 304
		.amdhsa_user_sgpr_count 15
		.amdhsa_user_sgpr_dispatch_ptr 0
		.amdhsa_user_sgpr_queue_ptr 0
		.amdhsa_user_sgpr_kernarg_segment_ptr 1
		.amdhsa_user_sgpr_dispatch_id 0
		.amdhsa_user_sgpr_private_segment_size 0
		.amdhsa_wavefront_size32 1
		.amdhsa_uses_dynamic_stack 0
		.amdhsa_enable_private_segment 0
		.amdhsa_system_sgpr_workgroup_id_x 1
		.amdhsa_system_sgpr_workgroup_id_y 0
		.amdhsa_system_sgpr_workgroup_id_z 0
		.amdhsa_system_sgpr_workgroup_info 0
		.amdhsa_system_vgpr_workitem_id 0
		.amdhsa_next_free_vgpr 9
		.amdhsa_next_free_sgpr 16
		.amdhsa_reserve_vcc 1
		.amdhsa_float_round_mode_32 0
		.amdhsa_float_round_mode_16_64 0
		.amdhsa_float_denorm_mode_32 3
		.amdhsa_float_denorm_mode_16_64 3
		.amdhsa_dx10_clamp 1
		.amdhsa_ieee_mode 1
		.amdhsa_fp16_overflow 0
		.amdhsa_workgroup_processor_mode 1
		.amdhsa_memory_ordered 1
		.amdhsa_forward_progress 0
		.amdhsa_shared_vgpr_count 0
		.amdhsa_exception_fp_ieee_invalid_op 0
		.amdhsa_exception_fp_denorm_src 0
		.amdhsa_exception_fp_ieee_div_zero 0
		.amdhsa_exception_fp_ieee_overflow 0
		.amdhsa_exception_fp_ieee_underflow 0
		.amdhsa_exception_fp_ieee_inexact 0
		.amdhsa_exception_int_div_zero 0
	.end_amdhsa_kernel
	.section	.text._ZN9rocsolver6v33100L16syev_scalar_caseIdPdTnNSt9enable_ifIXnt18rocblas_is_complexIT_EEiE4typeELi0EEEv14rocblas_evect_T0_lPS4_li,"axG",@progbits,_ZN9rocsolver6v33100L16syev_scalar_caseIdPdTnNSt9enable_ifIXnt18rocblas_is_complexIT_EEiE4typeELi0EEEv14rocblas_evect_T0_lPS4_li,comdat
.Lfunc_end43:
	.size	_ZN9rocsolver6v33100L16syev_scalar_caseIdPdTnNSt9enable_ifIXnt18rocblas_is_complexIT_EEiE4typeELi0EEEv14rocblas_evect_T0_lPS4_li, .Lfunc_end43-_ZN9rocsolver6v33100L16syev_scalar_caseIdPdTnNSt9enable_ifIXnt18rocblas_is_complexIT_EEiE4typeELi0EEEv14rocblas_evect_T0_lPS4_li
                                        ; -- End function
	.section	.AMDGPU.csdata,"",@progbits
; Kernel info:
; codeLenInByte = 268
; NumSgprs: 18
; NumVgprs: 9
; ScratchSize: 0
; MemoryBound: 0
; FloatMode: 240
; IeeeMode: 1
; LDSByteSize: 0 bytes/workgroup (compile time only)
; SGPRBlocks: 2
; VGPRBlocks: 1
; NumSGPRsForWavesPerEU: 18
; NumVGPRsForWavesPerEU: 9
; Occupancy: 16
; WaveLimiterHint : 0
; COMPUTE_PGM_RSRC2:SCRATCH_EN: 0
; COMPUTE_PGM_RSRC2:USER_SGPR: 15
; COMPUTE_PGM_RSRC2:TRAP_HANDLER: 0
; COMPUTE_PGM_RSRC2:TGID_X_EN: 1
; COMPUTE_PGM_RSRC2:TGID_Y_EN: 0
; COMPUTE_PGM_RSRC2:TGID_Z_EN: 0
; COMPUTE_PGM_RSRC2:TIDIG_COMP_CNT: 0
	.section	.text._ZN9rocsolver6v33100L18syevj_small_kernelIddPdEEv14rocblas_esort_14rocblas_evect_13rocblas_fill_iT1_iilT0_S7_PS7_iPiS8_lS9_PT_,"axG",@progbits,_ZN9rocsolver6v33100L18syevj_small_kernelIddPdEEv14rocblas_esort_14rocblas_evect_13rocblas_fill_iT1_iilT0_S7_PS7_iPiS8_lS9_PT_,comdat
	.globl	_ZN9rocsolver6v33100L18syevj_small_kernelIddPdEEv14rocblas_esort_14rocblas_evect_13rocblas_fill_iT1_iilT0_S7_PS7_iPiS8_lS9_PT_ ; -- Begin function _ZN9rocsolver6v33100L18syevj_small_kernelIddPdEEv14rocblas_esort_14rocblas_evect_13rocblas_fill_iT1_iilT0_S7_PS7_iPiS8_lS9_PT_
	.p2align	8
	.type	_ZN9rocsolver6v33100L18syevj_small_kernelIddPdEEv14rocblas_esort_14rocblas_evect_13rocblas_fill_iT1_iilT0_S7_PS7_iPiS8_lS9_PT_,@function
_ZN9rocsolver6v33100L18syevj_small_kernelIddPdEEv14rocblas_esort_14rocblas_evect_13rocblas_fill_iT1_iilT0_S7_PS7_iPiS8_lS9_PT_: ; @_ZN9rocsolver6v33100L18syevj_small_kernelIddPdEEv14rocblas_esort_14rocblas_evect_13rocblas_fill_iT1_iilT0_S7_PS7_iPiS8_lS9_PT_
; %bb.0:
	s_mov_b32 s40, s15
	s_clause 0x2
	s_load_b256 s[8:15], s[0:1], 0x0
	s_load_b256 s[24:31], s[0:1], 0x20
	s_load_b64 s[6:7], s[0:1], 0x68
	s_ashr_i32 s41, s40, 31
	s_waitcnt lgkmcnt(0)
	s_lshr_b32 s4, s11, 31
	s_ashr_i32 s3, s14, 31
	s_add_i32 s4, s11, s4
	s_mov_b32 s2, s14
	s_and_b32 s17, s4, -2
	s_mul_i32 s5, s40, s25
	s_sub_i32 s51, s11, s17
	s_mul_hi_u32 s14, s40, s24
	s_add_i32 s51, s51, s11
	s_mul_i32 s16, s41, s24
	s_add_i32 s5, s14, s5
	s_lshr_b32 s14, s51, 31
	s_mul_i32 s4, s40, s24
	s_add_i32 s5, s5, s16
	s_add_i32 s14, s51, s14
	s_lshl_b64 s[4:5], s[4:5], 3
	s_ashr_i32 s34, s14, 1
	s_mul_i32 s17, s40, s11
	s_add_u32 s14, s12, s4
	s_addc_u32 s16, s13, s5
	s_lshl_b64 s[48:49], s[2:3], 3
	s_mul_i32 s2, s17, s11
	s_add_u32 s24, s14, s48
	s_addc_u32 s25, s16, s49
	s_ashr_i32 s3, s2, 31
	s_load_b256 s[16:23], s[0:1], 0x48
	s_lshl_b64 s[42:43], s[2:3], 3
	s_delay_alu instid0(SALU_CYCLE_1) | instskip(SKIP_2) | instid1(SALU_CYCLE_1)
	s_add_u32 s36, s6, s42
	s_addc_u32 s37, s7, s43
	s_min_i32 s33, s34, 0x100
	s_abs_i32 s2, s33
	s_ashr_i32 s59, s33, 31
	v_cvt_f32_u32_e32 v1, s2
	s_sub_i32 s14, 0, s2
	s_delay_alu instid0(VALU_DEP_1) | instskip(SKIP_2) | instid1(VALU_DEP_1)
	v_rcp_iflag_f32_e32 v1, v1
	s_waitcnt_depctr 0xfff
	v_mul_f32_e32 v1, 0x4f7ffffe, v1
	v_cvt_u32_f32_e32 v1, v1
	s_delay_alu instid0(VALU_DEP_1) | instskip(NEXT) | instid1(VALU_DEP_1)
	v_readfirstlane_b32 s3, v1
	s_mul_i32 s14, s14, s3
	s_delay_alu instid0(SALU_CYCLE_1) | instskip(NEXT) | instid1(SALU_CYCLE_1)
	s_mul_hi_u32 s14, s3, s14
	s_add_i32 s3, s3, s14
	s_delay_alu instid0(SALU_CYCLE_1) | instskip(SKIP_1) | instid1(SALU_CYCLE_1)
	v_mul_hi_u32 v1, v0, s3
	s_lshr_b32 s3, s3, 22
	s_mul_i32 s14, s3, s2
	s_add_i32 s35, s3, 1
	s_sub_i32 s14, 0x400, s14
	s_delay_alu instid0(SALU_CYCLE_1) | instskip(NEXT) | instid1(VALU_DEP_1)
	s_sub_i32 s38, s14, s2
	v_mul_lo_u32 v2, v1, s2
	v_add_nc_u32_e32 v3, 1, v1
	s_cmp_ge_u32 s14, s2
	s_cselect_b32 s3, s35, s3
	s_cselect_b32 s14, s38, s14
	s_add_i32 s35, s3, 1
	s_cmp_ge_u32 s14, s2
	s_delay_alu instid0(VALU_DEP_2) | instskip(NEXT) | instid1(VALU_DEP_1)
	v_sub_nc_u32_e32 v2, v0, v2
	v_subrev_nc_u32_e32 v4, s2, v2
	v_cmp_le_u32_e32 vcc_lo, s2, v2
	s_delay_alu instid0(VALU_DEP_2) | instskip(NEXT) | instid1(VALU_DEP_1)
	v_dual_cndmask_b32 v2, v2, v4 :: v_dual_cndmask_b32 v1, v1, v3
	v_cmp_le_u32_e32 vcc_lo, s2, v2
	s_delay_alu instid0(VALU_DEP_2) | instskip(SKIP_1) | instid1(SALU_CYCLE_1)
	v_add_nc_u32_e32 v3, 1, v1
	s_cselect_b32 s2, s35, s3
	s_xor_b32 s2, s2, s59
	s_delay_alu instid0(VALU_DEP_1) | instskip(SKIP_1) | instid1(SALU_CYCLE_1)
	v_cndmask_b32_e32 v1, v1, v3, vcc_lo
	s_sub_i32 s38, s2, s59
	s_min_i32 s14, s34, s38
	s_delay_alu instid0(VALU_DEP_1) | instskip(SKIP_1) | instid1(SALU_CYCLE_1)
	v_xor_b32_e32 v7, s59, v1
	s_lshl_b32 s50, s14, 3
	s_add_i32 s57, s50, 0
	s_delay_alu instid0(VALU_DEP_1) | instskip(NEXT) | instid1(VALU_DEP_1)
	v_subrev_nc_u32_e32 v1, s59, v7
	v_mul_lo_u32 v28, v1, s33
	s_delay_alu instid0(VALU_DEP_1) | instskip(NEXT) | instid1(VALU_DEP_1)
	v_sub_nc_u32_e32 v26, v0, v28
	v_cmp_eq_u32_e64 s2, 0, v26
	s_delay_alu instid0(VALU_DEP_1)
	s_and_saveexec_b32 s52, s2
	s_cbranch_execz .LBB44_32
; %bb.1:
	v_cmp_gt_i32_e64 s3, s11, v1
	s_cmpk_eq_i32 s10, 0x79
	s_cbranch_scc1 .LBB44_13
; %bb.2:
	v_mov_b32_e32 v2, 0
	v_mov_b32_e32 v3, 0
	s_delay_alu instid0(VALU_DEP_1)
	v_dual_mov_b32 v5, v3 :: v_dual_mov_b32 v4, v2
	s_and_saveexec_b32 s10, s3
	s_cbranch_execz .LBB44_15
; %bb.3:
	s_cmpk_lg_i32 s9, 0xd5
	v_ashrrev_i32_e32 v2, 31, v1
	s_cselect_b32 s53, -1, 0
	s_add_u32 s55, s6, s42
	s_addc_u32 s56, s7, s43
	s_ashr_i32 s35, s34, 31
	s_ashr_i32 s39, s38, 31
	v_lshlrev_b64 v[2:3], 3, v[1:2]
	v_cmp_lt_i64_e64 s44, s[34:35], s[38:39]
	s_mov_b32 s46, s11
	v_mul_lo_u32 v27, s15, v1
	v_mul_lo_u32 v8, s11, v1
	s_mul_i32 s54, s15, s14
	v_add_co_u32 v10, vcc_lo, s55, v2
	s_and_b32 s44, s44, exec_lo
	s_cselect_b32 s45, s35, s39
	s_cselect_b32 s44, s34, s38
	s_ashr_i32 s47, s11, 31
	s_lshl_b64 s[44:45], s[44:45], 3
	s_lshl_b64 s[46:47], s[46:47], 3
	s_add_u32 s4, s4, s48
	s_addc_u32 s5, s5, s49
	s_add_u32 s4, s12, s4
	v_add_co_ci_u32_e32 v11, vcc_lo, s56, v3, vcc_lo
	s_addc_u32 s5, s13, s5
	v_add_co_u32 v12, vcc_lo, s4, v2
	v_add_co_ci_u32_e32 v13, vcc_lo, s5, v3, vcc_lo
	v_dual_mov_b32 v2, 0 :: v_dual_mov_b32 v15, 0x3ff00000
	v_dual_mov_b32 v3, 0 :: v_dual_mov_b32 v14, 0
	v_mov_b32_e32 v6, v1
	s_ashr_i32 s5, s15, 31
	s_mov_b32 s4, s15
	s_delay_alu instid0(VALU_DEP_2)
	v_dual_mov_b32 v5, v3 :: v_dual_mov_b32 v4, v2
	s_mul_i32 s58, s11, s14
	s_lshl_b64 s[12:13], s[4:5], 3
	s_mov_b32 s48, 0
	s_mov_b32 s5, 0
	s_branch .LBB44_6
.LBB44_4:                               ;   in Loop: Header=BB44_6 Depth=1
	s_set_inst_prefetch_distance 0x2
	s_or_b32 exec_lo, exec_lo, s39
.LBB44_5:                               ;   in Loop: Header=BB44_6 Depth=1
	s_delay_alu instid0(SALU_CYCLE_1) | instskip(SKIP_4) | instid1(VALU_DEP_3)
	s_or_b32 exec_lo, exec_lo, s35
	v_fma_f64 v[4:5], v[16:17], v[16:17], v[4:5]
	v_add_nc_u32_e32 v6, s14, v6
	v_add_co_u32 v10, vcc_lo, v10, s44
	v_add_co_ci_u32_e32 v11, vcc_lo, s45, v11, vcc_lo
	v_cmp_le_i32_e32 vcc_lo, s11, v6
	v_add_co_u32 v12, s4, v12, s44
	v_add_nc_u32_e32 v27, s54, v27
	v_add_nc_u32_e32 v8, s58, v8
	v_add_co_ci_u32_e64 v13, s4, s45, v13, s4
	s_or_b32 s5, vcc_lo, s5
	s_delay_alu instid0(SALU_CYCLE_1)
	s_and_not1_b32 exec_lo, exec_lo, s5
	s_cbranch_execz .LBB44_14
.LBB44_6:                               ; =>This Loop Header: Depth=1
                                        ;     Child Loop BB44_11 Depth 2
	v_mad_u64_u32 v[16:17], null, v6, s15, v[6:7]
	v_mad_u64_u32 v[20:21], null, v6, s11, v[6:7]
	s_delay_alu instid0(VALU_DEP_2) | instskip(NEXT) | instid1(VALU_DEP_2)
	v_ashrrev_i32_e32 v17, 31, v16
	v_ashrrev_i32_e32 v21, 31, v20
	s_delay_alu instid0(VALU_DEP_2) | instskip(NEXT) | instid1(VALU_DEP_2)
	v_lshlrev_b64 v[16:17], 3, v[16:17]
	v_lshlrev_b64 v[20:21], 3, v[20:21]
	s_delay_alu instid0(VALU_DEP_2) | instskip(NEXT) | instid1(VALU_DEP_3)
	v_add_co_u32 v18, vcc_lo, s24, v16
	v_add_co_ci_u32_e32 v19, vcc_lo, s25, v17, vcc_lo
	s_delay_alu instid0(VALU_DEP_3) | instskip(NEXT) | instid1(VALU_DEP_4)
	v_add_co_u32 v20, vcc_lo, s36, v20
	v_add_co_ci_u32_e32 v21, vcc_lo, s37, v21, vcc_lo
	global_load_b64 v[16:17], v[18:19], off
	s_and_not1_b32 vcc_lo, exec_lo, s53
	s_waitcnt vmcnt(0)
	global_store_b64 v[20:21], v[16:17], off
	s_cbranch_vccnz .LBB44_8
; %bb.7:                                ;   in Loop: Header=BB44_6 Depth=1
	global_store_b64 v[18:19], v[14:15], off
.LBB44_8:                               ;   in Loop: Header=BB44_6 Depth=1
	s_mov_b32 s35, exec_lo
	v_cmpx_lt_i32_e32 0, v6
	s_cbranch_execz .LBB44_5
; %bb.9:                                ;   in Loop: Header=BB44_6 Depth=1
	v_ashrrev_i32_e32 v9, 31, v8
	v_dual_mov_b32 v19, v13 :: v_dual_mov_b32 v18, v12
	v_dual_mov_b32 v23, v11 :: v_dual_mov_b32 v22, v10
	s_delay_alu instid0(VALU_DEP_3) | instskip(SKIP_2) | instid1(VALU_DEP_1)
	v_lshlrev_b64 v[20:21], 3, v[8:9]
	s_mov_b32 s39, 0
	s_mov_b32 s60, 0
	v_add_co_u32 v20, vcc_lo, s55, v20
	s_delay_alu instid0(VALU_DEP_2)
	v_add_co_ci_u32_e32 v21, vcc_lo, s56, v21, vcc_lo
	s_set_inst_prefetch_distance 0x1
	s_branch .LBB44_11
	.p2align	6
.LBB44_10:                              ;   in Loop: Header=BB44_11 Depth=2
	v_mul_f64 v[24:25], v[24:25], v[24:25]
	v_add_co_u32 v20, vcc_lo, v20, 8
	v_add_co_ci_u32_e32 v21, vcc_lo, 0, v21, vcc_lo
	v_add_co_u32 v22, vcc_lo, v22, s46
	s_add_i32 s60, s60, 1
	v_add_co_ci_u32_e32 v23, vcc_lo, s47, v23, vcc_lo
	v_cmp_ge_i32_e32 vcc_lo, s60, v6
	v_add_co_u32 v18, s4, v18, s12
	s_delay_alu instid0(VALU_DEP_1)
	v_add_co_ci_u32_e64 v19, s4, s13, v19, s4
	s_or_b32 s39, vcc_lo, s39
	v_fma_f64 v[2:3], v[24:25], 2.0, v[2:3]
	s_and_not1_b32 exec_lo, exec_lo, s39
	s_cbranch_execz .LBB44_4
.LBB44_11:                              ;   Parent Loop BB44_6 Depth=1
                                        ; =>  This Inner Loop Header: Depth=2
	global_load_b64 v[24:25], v[18:19], off
	s_and_not1_b32 vcc_lo, exec_lo, s53
	s_waitcnt vmcnt(0)
	global_store_b64 v[22:23], v[24:25], off
	global_store_b64 v[20:21], v[24:25], off
	s_cbranch_vccnz .LBB44_10
; %bb.12:                               ;   in Loop: Header=BB44_11 Depth=2
	s_mov_b32 s49, s48
	v_add_nc_u32_e32 v29, s60, v27
	v_dual_mov_b32 v31, s48 :: v_dual_mov_b32 v32, s49
	s_delay_alu instid0(VALU_DEP_2) | instskip(NEXT) | instid1(VALU_DEP_1)
	v_ashrrev_i32_e32 v30, 31, v29
	v_lshlrev_b64 v[29:30], 3, v[29:30]
	s_delay_alu instid0(VALU_DEP_1) | instskip(NEXT) | instid1(VALU_DEP_2)
	v_add_co_u32 v29, vcc_lo, s24, v29
	v_add_co_ci_u32_e32 v30, vcc_lo, s25, v30, vcc_lo
	global_store_b64 v[18:19], v[31:32], off
	global_store_b64 v[29:30], v[31:32], off
	s_branch .LBB44_10
.LBB44_13:
                                        ; implicit-def: $vgpr2_vgpr3
                                        ; implicit-def: $vgpr4_vgpr5
	s_branch .LBB44_16
.LBB44_14:
	s_or_b32 exec_lo, exec_lo, s5
.LBB44_15:
	s_delay_alu instid0(SALU_CYCLE_1)
	s_or_b32 exec_lo, exec_lo, s10
	s_cbranch_execnz .LBB44_29
.LBB44_16:
	v_mov_b32_e32 v2, 0
	v_mov_b32_e32 v3, 0
	s_delay_alu instid0(VALU_DEP_1)
	v_dual_mov_b32 v5, v3 :: v_dual_mov_b32 v4, v2
	s_and_saveexec_b32 s5, s3
	s_cbranch_execz .LBB44_28
; %bb.17:
	s_cmpk_lg_i32 s9, 0xd5
	v_mul_lo_u32 v24, s15, v1
	s_cselect_b32 s10, -1, 0
	s_add_i32 s4, s11, -1
	s_add_u32 s39, s6, s42
	v_mad_u64_u32 v[2:3], null, s11, s4, v[7:8]
	v_mad_u64_u32 v[4:5], null, s15, s4, v[7:8]
	;; [unrolled: 1-line block ×3, first 2 shown]
	s_mul_i32 s35, s15, s14
	v_mov_b32_e32 v11, 0x3ff00000
	s_delay_alu instid0(VALU_DEP_4)
	v_subrev_nc_u32_e32 v25, s59, v2
	v_mov_b32_e32 v2, 0
	v_dual_mov_b32 v3, 0 :: v_dual_mov_b32 v10, 0
	v_subrev_nc_u32_e32 v27, s59, v4
	v_mov_b32_e32 v6, v1
	s_addc_u32 s44, s7, s43
	s_delay_alu instid0(VALU_DEP_3)
	v_dual_mov_b32 v5, v3 :: v_dual_mov_b32 v4, v2
	s_mul_i32 s45, s11, s14
	s_mov_b32 s12, 0
	s_mov_b32 s46, 0
	s_branch .LBB44_20
.LBB44_18:                              ;   in Loop: Header=BB44_20 Depth=1
	s_or_b32 exec_lo, exec_lo, s48
.LBB44_19:                              ;   in Loop: Header=BB44_20 Depth=1
	s_delay_alu instid0(SALU_CYCLE_1)
	s_or_b32 exec_lo, exec_lo, s47
	v_fma_f64 v[4:5], v[12:13], v[12:13], v[4:5]
	v_add_nc_u32_e32 v6, s14, v6
	v_add_nc_u32_e32 v24, s35, v24
	;; [unrolled: 1-line block ×5, first 2 shown]
	v_cmp_le_i32_e32 vcc_lo, s11, v6
	s_or_b32 s46, vcc_lo, s46
	s_delay_alu instid0(SALU_CYCLE_1)
	s_and_not1_b32 exec_lo, exec_lo, s46
	s_cbranch_execz .LBB44_27
.LBB44_20:                              ; =>This Loop Header: Depth=1
                                        ;     Child Loop BB44_25 Depth 2
	v_mad_u64_u32 v[12:13], null, v6, s15, v[6:7]
	v_mad_u64_u32 v[16:17], null, v6, s11, v[6:7]
	s_delay_alu instid0(VALU_DEP_2) | instskip(NEXT) | instid1(VALU_DEP_2)
	v_ashrrev_i32_e32 v13, 31, v12
	v_ashrrev_i32_e32 v17, 31, v16
	s_delay_alu instid0(VALU_DEP_2) | instskip(NEXT) | instid1(VALU_DEP_2)
	v_lshlrev_b64 v[12:13], 3, v[12:13]
	v_lshlrev_b64 v[16:17], 3, v[16:17]
	s_delay_alu instid0(VALU_DEP_2) | instskip(NEXT) | instid1(VALU_DEP_3)
	v_add_co_u32 v14, vcc_lo, s24, v12
	v_add_co_ci_u32_e32 v15, vcc_lo, s25, v13, vcc_lo
	s_delay_alu instid0(VALU_DEP_3) | instskip(NEXT) | instid1(VALU_DEP_4)
	v_add_co_u32 v16, vcc_lo, s36, v16
	v_add_co_ci_u32_e32 v17, vcc_lo, s37, v17, vcc_lo
	global_load_b64 v[12:13], v[14:15], off
	s_and_not1_b32 vcc_lo, exec_lo, s10
	s_waitcnt vmcnt(0)
	global_store_b64 v[16:17], v[12:13], off
	s_cbranch_vccnz .LBB44_22
; %bb.21:                               ;   in Loop: Header=BB44_20 Depth=1
	global_store_b64 v[14:15], v[10:11], off
.LBB44_22:                              ;   in Loop: Header=BB44_20 Depth=1
	s_mov_b32 s47, exec_lo
	v_cmpx_gt_i32_e64 s4, v6
	s_cbranch_execz .LBB44_19
; %bb.23:                               ;   in Loop: Header=BB44_20 Depth=1
	v_ashrrev_i32_e32 v9, 31, v8
	v_mov_b32_e32 v14, v27
	v_mov_b32_e32 v18, v25
	s_mov_b32 s48, 0
	s_mov_b32 s49, s4
	v_lshlrev_b64 v[16:17], 3, v[8:9]
	s_delay_alu instid0(VALU_DEP_1) | instskip(NEXT) | instid1(VALU_DEP_2)
	v_add_co_u32 v16, vcc_lo, s39, v16
	v_add_co_ci_u32_e32 v17, vcc_lo, s44, v17, vcc_lo
	s_branch .LBB44_25
.LBB44_24:                              ;   in Loop: Header=BB44_25 Depth=2
	v_mul_f64 v[19:20], v[22:23], v[22:23]
	s_add_i32 s49, s49, -1
	v_add_co_u32 v16, s3, v16, -8
	v_cmp_le_i32_e32 vcc_lo, s49, v6
	v_add_co_ci_u32_e64 v17, s3, -1, v17, s3
	v_subrev_nc_u32_e32 v18, s11, v18
	v_subrev_nc_u32_e32 v14, s15, v14
	s_or_b32 s48, vcc_lo, s48
	v_fma_f64 v[2:3], v[19:20], 2.0, v[2:3]
	s_and_not1_b32 exec_lo, exec_lo, s48
	s_cbranch_execz .LBB44_18
.LBB44_25:                              ;   Parent Loop BB44_20 Depth=1
                                        ; =>  This Inner Loop Header: Depth=2
	v_ashrrev_i32_e32 v15, 31, v14
	v_ashrrev_i32_e32 v19, 31, v18
	s_delay_alu instid0(VALU_DEP_2) | instskip(NEXT) | instid1(VALU_DEP_2)
	v_lshlrev_b64 v[20:21], 3, v[14:15]
	v_lshlrev_b64 v[29:30], 3, v[18:19]
	s_delay_alu instid0(VALU_DEP_2) | instskip(NEXT) | instid1(VALU_DEP_3)
	v_add_co_u32 v20, vcc_lo, s24, v20
	v_add_co_ci_u32_e32 v21, vcc_lo, s25, v21, vcc_lo
	s_delay_alu instid0(VALU_DEP_3) | instskip(NEXT) | instid1(VALU_DEP_4)
	v_add_co_u32 v29, vcc_lo, s36, v29
	v_add_co_ci_u32_e32 v30, vcc_lo, s37, v30, vcc_lo
	global_load_b64 v[22:23], v[20:21], off
	s_and_not1_b32 vcc_lo, exec_lo, s10
	s_waitcnt vmcnt(0)
	global_store_b64 v[29:30], v[22:23], off
	global_store_b64 v[16:17], v[22:23], off
	s_cbranch_vccnz .LBB44_24
; %bb.26:                               ;   in Loop: Header=BB44_25 Depth=2
	s_mov_b32 s13, s12
	s_delay_alu instid0(SALU_CYCLE_1) | instskip(SKIP_1) | instid1(VALU_DEP_2)
	v_dual_mov_b32 v32, s13 :: v_dual_add_nc_u32 v29, s49, v24
	v_mov_b32_e32 v31, s12
	v_ashrrev_i32_e32 v30, 31, v29
	s_delay_alu instid0(VALU_DEP_1) | instskip(NEXT) | instid1(VALU_DEP_1)
	v_lshlrev_b64 v[29:30], 3, v[29:30]
	v_add_co_u32 v29, vcc_lo, s24, v29
	s_delay_alu instid0(VALU_DEP_2)
	v_add_co_ci_u32_e32 v30, vcc_lo, s25, v30, vcc_lo
	s_clause 0x1
	global_store_b64 v[20:21], v[31:32], off
	global_store_b64 v[29:30], v[31:32], off
	s_branch .LBB44_24
.LBB44_27:
	s_or_b32 exec_lo, exec_lo, s46
.LBB44_28:
	s_delay_alu instid0(SALU_CYCLE_1)
	s_or_b32 exec_lo, exec_lo, s5
.LBB44_29:
	v_lshlrev_b32_e32 v6, 3, v1
	v_cmp_gt_i32_e32 vcc_lo, s34, v1
	s_mov_b32 s3, 0
	s_delay_alu instid0(VALU_DEP_2)
	v_add_nc_u32_e32 v8, 0, v6
	v_add_nc_u32_e32 v6, s57, v6
	ds_store_b64 v8, v[2:3]
	ds_store_b64 v6, v[4:5]
	s_and_b32 exec_lo, exec_lo, vcc_lo
	s_cbranch_execz .LBB44_32
; %bb.30:
	v_lshlrev_b32_e32 v2, 2, v7
	s_lshl_b32 s4, s59, 2
	v_lshlrev_b32_e32 v3, 1, v7
	s_lshl_b32 s5, s14, 2
	s_lshl_b32 s10, s14, 1
	v_lshl_add_u32 v2, s14, 4, v2
	s_delay_alu instid0(VALU_DEP_1) | instskip(SKIP_1) | instid1(SALU_CYCLE_1)
	v_subrev_nc_u32_e32 v4, s4, v2
	s_lshl_b32 s4, s59, 1
	v_subrev_nc_u32_e32 v2, s4, v3
	s_lshl_b32 s4, s34, 2
	s_delay_alu instid0(VALU_DEP_2)
	v_dual_mov_b32 v4, v1 :: v_dual_add_nc_u32 v3, 0, v4
.LBB44_31:                              ; =>This Inner Loop Header: Depth=1
	s_delay_alu instid0(VALU_DEP_1)
	v_add_nc_u32_e32 v4, s14, v4
	ds_store_b32 v3, v2
	v_add_nc_u32_e32 v5, 1, v2
	v_add_nc_u32_e32 v6, s4, v3
	v_add_nc_u32_e32 v3, s5, v3
	v_cmp_le_i32_e32 vcc_lo, s34, v4
	v_add_nc_u32_e32 v2, s10, v2
	ds_store_b32 v6, v5
	s_or_b32 s3, vcc_lo, s3
	s_delay_alu instid0(SALU_CYCLE_1)
	s_and_not1_b32 exec_lo, exec_lo, s3
	s_cbranch_execnz .LBB44_31
.LBB44_32:
	s_or_b32 exec_lo, exec_lo, s52
	v_mov_b32_e32 v16, 0
	v_mov_b32_e32 v17, 0
	s_delay_alu instid0(VALU_DEP_2)
	v_mov_b32_e32 v2, v16
	s_cmp_gt_i32 s14, 0
	s_mov_b32 s3, 0
	s_cselect_b32 s10, -1, 0
	v_mov_b32_e32 v3, v17
	s_cmp_lt_i32 s14, 1
	s_waitcnt lgkmcnt(0)
	s_waitcnt_vscnt null, 0x0
	s_barrier
	buffer_gl0_inv
	s_cbranch_scc1 .LBB44_40
; %bb.33:
	v_mov_b32_e32 v2, 0
	v_mov_b32_e32 v3, 0
	s_cmp_lt_u32 s14, 8
	s_cbranch_scc1 .LBB44_37
; %bb.34:
	v_mov_b32_e32 v16, 0
	v_mov_b32_e32 v17, 0
	s_delay_alu instid0(VALU_DEP_2)
	v_mov_b32_e32 v2, v16
	s_and_b32 s3, s14, 0x7ffffff8
	s_mov_b32 s4, 0
	s_mov_b32 s5, 0
	v_mov_b32_e32 v3, v17
.LBB44_35:                              ; =>This Inner Loop Header: Depth=1
	s_add_i32 s12, s5, s50
	s_delay_alu instid0(SALU_CYCLE_1)
	v_dual_mov_b32 v6, s5 :: v_dual_mov_b32 v27, s12
	s_add_i32 s4, s4, 8
	s_add_i32 s5, s5, 64
	s_cmp_lg_u32 s3, s4
	ds_load_2addr_b64 v[8:11], v6 offset1:1
	ds_load_2addr_b64 v[12:15], v27 offset1:1
	ds_load_2addr_b64 v[18:21], v6 offset0:2 offset1:3
	ds_load_2addr_b64 v[22:25], v27 offset0:2 offset1:3
	s_waitcnt lgkmcnt(3)
	v_add_f64 v[4:5], v[16:17], v[8:9]
	s_waitcnt lgkmcnt(2)
	v_add_f64 v[2:3], v[2:3], v[12:13]
	s_delay_alu instid0(VALU_DEP_2) | instskip(NEXT) | instid1(VALU_DEP_2)
	v_add_f64 v[4:5], v[4:5], v[10:11]
	v_add_f64 v[2:3], v[2:3], v[14:15]
	s_waitcnt lgkmcnt(1)
	s_delay_alu instid0(VALU_DEP_2) | instskip(SKIP_1) | instid1(VALU_DEP_2)
	v_add_f64 v[4:5], v[4:5], v[18:19]
	s_waitcnt lgkmcnt(0)
	v_add_f64 v[2:3], v[2:3], v[22:23]
	s_delay_alu instid0(VALU_DEP_2) | instskip(NEXT) | instid1(VALU_DEP_2)
	v_add_f64 v[20:21], v[4:5], v[20:21]
	v_add_f64 v[22:23], v[2:3], v[24:25]
	ds_load_2addr_b64 v[2:5], v6 offset0:4 offset1:5
	ds_load_2addr_b64 v[8:11], v27 offset0:4 offset1:5
	;; [unrolled: 1-line block ×4, first 2 shown]
	s_waitcnt lgkmcnt(3)
	v_add_f64 v[2:3], v[20:21], v[2:3]
	s_waitcnt lgkmcnt(2)
	v_add_f64 v[8:9], v[22:23], v[8:9]
	s_delay_alu instid0(VALU_DEP_2) | instskip(NEXT) | instid1(VALU_DEP_2)
	v_add_f64 v[2:3], v[2:3], v[4:5]
	v_add_f64 v[4:5], v[8:9], v[10:11]
	s_waitcnt lgkmcnt(1)
	s_delay_alu instid0(VALU_DEP_2) | instskip(SKIP_1) | instid1(VALU_DEP_2)
	v_add_f64 v[2:3], v[2:3], v[12:13]
	s_waitcnt lgkmcnt(0)
	v_add_f64 v[4:5], v[4:5], v[16:17]
	s_delay_alu instid0(VALU_DEP_2) | instskip(NEXT) | instid1(VALU_DEP_2)
	v_add_f64 v[16:17], v[2:3], v[14:15]
	v_add_f64 v[2:3], v[4:5], v[18:19]
	s_cbranch_scc1 .LBB44_35
; %bb.36:
	s_and_b32 s4, s14, 7
	s_delay_alu instid0(SALU_CYCLE_1)
	s_cmp_eq_u32 s4, 0
	s_cbranch_scc0 .LBB44_38
	s_branch .LBB44_40
.LBB44_37:
	s_delay_alu instid0(VALU_DEP_1) | instskip(SKIP_1) | instid1(SALU_CYCLE_1)
	v_dual_mov_b32 v17, v3 :: v_dual_mov_b32 v16, v2
	s_and_b32 s4, s14, 7
	s_cmp_eq_u32 s4, 0
	s_cbranch_scc1 .LBB44_40
.LBB44_38:
	s_lshl_b32 s3, s3, 3
	s_delay_alu instid0(SALU_CYCLE_1)
	s_add_i32 s3, s3, 0
.LBB44_39:                              ; =>This Inner Loop Header: Depth=1
	s_delay_alu instid0(SALU_CYCLE_1)
	s_add_i32 s5, s3, s50
	v_mov_b32_e32 v4, s3
	v_mov_b32_e32 v6, s5
	s_add_i32 s4, s4, -1
	s_add_i32 s3, s3, 8
	s_cmp_lg_u32 s4, 0
	ds_load_b64 v[4:5], v4
	ds_load_b64 v[8:9], v6
	s_waitcnt lgkmcnt(1)
	v_add_f64 v[16:17], v[16:17], v[4:5]
	s_waitcnt lgkmcnt(0)
	v_add_f64 v[2:3], v[2:3], v[8:9]
	s_cbranch_scc1 .LBB44_39
.LBB44_40:
	s_delay_alu instid0(VALU_DEP_1) | instskip(SKIP_4) | instid1(VALU_DEP_1)
	v_add_f64 v[2:3], v[2:3], v[16:17]
	s_load_b32 s46, s[0:1], 0x40
	s_waitcnt lgkmcnt(0)
	s_cmp_gt_i32 s46, 0
	s_cselect_b32 s0, -1, 0
	v_mul_f64 v[2:3], v[2:3], s[26:27]
	s_delay_alu instid0(VALU_DEP_1) | instskip(SKIP_1) | instid1(VALU_DEP_1)
	v_mul_f64 v[3:4], v[2:3], s[26:27]
	s_mov_b32 s27, 0
	v_cmp_gt_f64_e32 vcc_lo, v[16:17], v[3:4]
	s_and_b32 s0, s0, vcc_lo
	s_delay_alu instid0(SALU_CYCLE_1)
	s_and_not1_b32 vcc_lo, exec_lo, s0
	s_cbranch_vccnz .LBB44_119
; %bb.41:
	v_div_scale_f64 v[5:6], null, s[28:29], s[28:29], 0x100000
	s_mov_b32 s0, 0
	s_mov_b32 s1, 0x100000
	s_add_i32 s5, s34, -1
	v_div_scale_f64 v[12:13], vcc_lo, s[0:1], s[28:29], s[0:1]
	s_abs_i32 s0, s14
	s_abs_i32 s12, s5
	v_cvt_f32_u32_e32 v2, s0
	s_sub_i32 s4, 0, s0
	s_add_i32 s47, s57, s50
	s_lshl_b32 s3, s34, 2
                                        ; implicit-def: $vgpr14_vgpr15
	s_delay_alu instid0(VALU_DEP_1) | instskip(SKIP_2) | instid1(SALU_CYCLE_1)
	v_rcp_iflag_f32_e32 v2, v2
	s_add_i32 s48, s47, s3
	s_xor_b32 s3, s5, s14
	s_ashr_i32 s3, s3, 31
	s_waitcnt_depctr 0xfff
	v_mul_f32_e32 v2, 0x4f7ffffe, v2
	v_rcp_f64_e32 v[8:9], v[5:6]
	s_waitcnt_depctr 0xfff
	v_fma_f64 v[10:11], -v[5:6], v[8:9], 1.0
	s_delay_alu instid0(VALU_DEP_1) | instskip(NEXT) | instid1(VALU_DEP_1)
	v_fma_f64 v[8:9], v[8:9], v[10:11], v[8:9]
	v_fma_f64 v[10:11], -v[5:6], v[8:9], 1.0
	s_delay_alu instid0(VALU_DEP_1) | instskip(NEXT) | instid1(VALU_DEP_1)
	v_fma_f64 v[8:9], v[8:9], v[10:11], v[8:9]
	v_mul_f64 v[10:11], v[12:13], v[8:9]
	s_delay_alu instid0(VALU_DEP_1) | instskip(NEXT) | instid1(VALU_DEP_1)
	v_fma_f64 v[5:6], -v[5:6], v[10:11], v[12:13]
                                        ; implicit-def: $vgpr12_vgpr13
	v_div_fmas_f64 v[5:6], v[5:6], v[8:9], v[10:11]
	v_lshlrev_b32_e32 v9, 1, v0
	v_cvt_u32_f32_e32 v2, v2
	v_lshlrev_b32_e32 v10, 1, v28
	s_delay_alu instid0(VALU_DEP_2) | instskip(SKIP_1) | instid1(VALU_DEP_2)
	v_readfirstlane_b32 s1, v2
	v_lshlrev_b32_e32 v2, 3, v1
	s_mul_i32 s4, s4, s1
	s_delay_alu instid0(VALU_DEP_1) | instskip(SKIP_1) | instid1(SALU_CYCLE_1)
	v_add_nc_u32_e32 v27, s57, v2
	s_mul_hi_u32 s4, s1, s4
	s_add_i32 s1, s1, s4
	s_delay_alu instid0(SALU_CYCLE_1) | instskip(NEXT) | instid1(SALU_CYCLE_1)
	s_mul_hi_u32 s1, s12, s1
	s_mul_i32 s4, s1, s0
	s_add_i32 s5, s1, 1
	s_sub_i32 s4, s12, s4
	s_delay_alu instid0(SALU_CYCLE_1)
	s_sub_i32 s12, s4, s0
	s_cmp_ge_u32 s4, s0
	s_cselect_b32 s1, s5, s1
	s_cselect_b32 s4, s12, s4
	s_add_i32 s5, s1, 1
	s_cmp_ge_u32 s4, s0
	s_mov_b32 s12, 0
	s_cselect_b32 s0, s5, s1
	s_add_i32 s49, s51, -1
	s_xor_b32 s0, s0, s3
	v_cmp_gt_i32_e64 s1, s11, v1
	s_sub_i32 s50, s0, s3
	s_cmp_gt_i32 s51, 1
	v_div_fixup_f64 v[5:6], v[5:6], s[28:29], 0x100000
	s_cselect_b32 s51, -1, 0
	s_cmp_gt_i32 s50, -1
	v_cmp_gt_i32_e64 s0, s34, v26
	s_cselect_b32 s52, -1, 0
	s_add_i32 s53, s11, 1
	s_cmpk_lg_i32 s9, 0xd5
	v_add_nc_u32_e32 v26, 0, v2
	s_cselect_b32 s54, -1, 0
	s_max_i32 s55, s49, 1
	s_and_b32 s56, s14, 7
	s_cmp_gt_u32 s14, 7
	v_sub_nc_u32_e32 v2, s59, v7
	s_cselect_b32 s57, -1, 0
	s_and_b32 s58, s14, 0x7ffffff8
	s_cmp_lg_u32 s56, 0
	s_mul_i32 s3, s11, s33
	s_cselect_b32 s59, -1, 0
	s_lshl_b32 s26, s33, 1
	v_mad_u64_u32 v[7:8], null, s33, v2, v[0:1]
	v_sub_nc_u32_e32 v0, v9, v10
	v_ashrrev_i32_e32 v2, 31, v1
	s_ashr_i32 s27, s26, 31
	s_lshl_b32 s60, s3, 1
	s_lshl_b64 s[28:29], s[26:27], 3
	s_add_u32 s3, s6, s42
	v_or_b32_e32 v28, 1, v0
	v_lshlrev_b64 v[8:9], 3, v[1:2]
	s_addc_u32 s4, s7, s43
	s_ashr_i32 s35, s34, 31
	s_ashr_i32 s39, s38, 31
	v_mul_lo_u32 v29, s11, v28
	v_cmp_lt_i64_e64 s5, s[34:35], s[38:39]
	v_mul_lo_u32 v30, s11, v0
	v_add_co_u32 v8, vcc_lo, s3, v8
	v_add_co_ci_u32_e32 v9, vcc_lo, s4, v9, vcc_lo
	s_delay_alu instid0(VALU_DEP_4)
	s_and_b32 s3, s5, exec_lo
	s_cselect_b32 s5, s35, s39
	s_cselect_b32 s4, s34, s38
	s_ashr_i32 s7, s11, 31
	s_mov_b32 s6, s11
	s_lshl_b64 s[42:43], s[4:5], 3
	s_lshl_b64 s[44:45], s[6:7], 3
	s_mov_b32 s27, 0
                                        ; implicit-def: $vgpr10_vgpr11
	s_branch .LBB44_43
.LBB44_42:                              ;   in Loop: Header=BB44_43 Depth=1
	s_delay_alu instid0(VALU_DEP_1) | instskip(SKIP_1) | instid1(SALU_CYCLE_1)
	v_cmp_gt_f64_e32 vcc_lo, v[16:17], v[3:4]
	s_add_i32 s27, s27, 1
	s_cmp_lt_i32 s27, s46
	s_cselect_b32 s3, -1, 0
	s_delay_alu instid0(SALU_CYCLE_1) | instskip(NEXT) | instid1(SALU_CYCLE_1)
	s_and_b32 s3, s3, vcc_lo
	s_and_b32 vcc_lo, exec_lo, s3
	s_cbranch_vccz .LBB44_119
.LBB44_43:                              ; =>This Loop Header: Depth=1
                                        ;     Child Loop BB44_46 Depth 2
                                        ;       Child Loop BB44_48 Depth 3
                                        ;         Child Loop BB44_73 Depth 4
                                        ;         Child Loop BB44_83 Depth 4
                                        ;     Child Loop BB44_105 Depth 2
                                        ;       Child Loop BB44_107 Depth 3
                                        ;     Child Loop BB44_114 Depth 2
                                        ;     Child Loop BB44_118 Depth 2
	s_and_not1_b32 vcc_lo, exec_lo, s51
	s_cbranch_vccnz .LBB44_101
; %bb.44:                               ;   in Loop: Header=BB44_43 Depth=1
	s_mov_b32 s35, 0
	s_branch .LBB44_46
.LBB44_45:                              ;   in Loop: Header=BB44_46 Depth=2
	s_add_i32 s35, s35, 1
	s_delay_alu instid0(SALU_CYCLE_1)
	s_cmp_eq_u32 s35, s55
	s_cbranch_scc1 .LBB44_101
.LBB44_46:                              ;   Parent Loop BB44_43 Depth=1
                                        ; =>  This Loop Header: Depth=2
                                        ;       Child Loop BB44_48 Depth 3
                                        ;         Child Loop BB44_73 Depth 4
                                        ;         Child Loop BB44_83 Depth 4
	s_and_not1_b32 vcc_lo, exec_lo, s52
	s_cbranch_vccnz .LBB44_45
; %bb.47:                               ;   in Loop: Header=BB44_46 Depth=2
	s_mov_b32 s39, 0
.LBB44_48:                              ;   Parent Loop BB44_43 Depth=1
                                        ;     Parent Loop BB44_46 Depth=2
                                        ; =>    This Loop Header: Depth=3
                                        ;         Child Loop BB44_73 Depth 4
                                        ;         Child Loop BB44_83 Depth 4
	s_delay_alu instid0(SALU_CYCLE_1) | instskip(SKIP_1) | instid1(VALU_DEP_2)
	v_mad_u64_u32 v[16:17], null, s39, s14, v[1:2]
	v_mov_b32_e32 v17, s11
	v_cmp_gt_i32_e64 s3, s34, v16
	s_delay_alu instid0(VALU_DEP_1)
	s_and_saveexec_b32 s4, s3
	s_cbranch_execz .LBB44_50
; %bb.49:                               ;   in Loop: Header=BB44_48 Depth=3
	v_lshl_add_u32 v2, v16, 2, s47
	ds_load_b32 v17, v2
.LBB44_50:                              ;   in Loop: Header=BB44_48 Depth=3
	s_or_b32 exec_lo, exec_lo, s4
	v_mov_b32_e32 v2, s11
	v_lshl_add_u32 v31, v16, 2, s48
	s_and_saveexec_b32 s4, s3
	s_cbranch_execz .LBB44_52
; %bb.51:                               ;   in Loop: Header=BB44_48 Depth=3
	ds_load_b32 v2, v31
.LBB44_52:                              ;   in Loop: Header=BB44_48 Depth=3
	s_or_b32 exec_lo, exec_lo, s4
	s_waitcnt lgkmcnt(0)
	v_cmp_gt_i32_e64 s4, s11, v17
	v_cmp_gt_i32_e64 s5, s11, v2
	s_delay_alu instid0(VALU_DEP_2)
	s_and_b32 s6, s2, s4
	s_delay_alu instid0(VALU_DEP_1) | instid1(SALU_CYCLE_1)
	s_and_b32 s13, s6, s5
	s_delay_alu instid0(SALU_CYCLE_1)
	s_and_saveexec_b32 s7, s13
	s_cbranch_execz .LBB44_68
; %bb.53:                               ;   in Loop: Header=BB44_48 Depth=3
	v_mul_lo_u32 v20, v2, s11
	v_mov_b32_e32 v14, 0
	s_delay_alu instid0(VALU_DEP_2) | instskip(NEXT) | instid1(VALU_DEP_1)
	v_dual_mov_b32 v15, 0 :: v_dual_add_nc_u32 v12, v20, v17
	v_ashrrev_i32_e32 v13, 31, v12
	s_delay_alu instid0(VALU_DEP_1) | instskip(NEXT) | instid1(VALU_DEP_1)
	v_lshlrev_b64 v[12:13], 3, v[12:13]
	v_add_co_u32 v12, vcc_lo, s36, v12
	s_delay_alu instid0(VALU_DEP_2) | instskip(SKIP_3) | instid1(VALU_DEP_1)
	v_add_co_ci_u32_e32 v13, vcc_lo, s37, v13, vcc_lo
	global_load_b64 v[18:19], v[12:13], off
	s_waitcnt vmcnt(0)
	v_mul_f64 v[12:13], v[18:19], v[18:19]
	v_cmp_nlt_f64_e32 vcc_lo, v[12:13], v[5:6]
	v_mov_b32_e32 v12, 0
	v_mov_b32_e32 v13, 0x3ff00000
	s_and_saveexec_b32 s61, vcc_lo
	s_cbranch_execz .LBB44_67
; %bb.54:                               ;   in Loop: Header=BB44_48 Depth=3
	v_add_nc_u32_e32 v12, v20, v2
	v_mul_lo_u32 v14, v17, s53
	s_delay_alu instid0(VALU_DEP_2) | instskip(NEXT) | instid1(VALU_DEP_2)
	v_ashrrev_i32_e32 v13, 31, v12
	v_ashrrev_i32_e32 v15, 31, v14
	s_delay_alu instid0(VALU_DEP_2) | instskip(NEXT) | instid1(VALU_DEP_2)
	v_lshlrev_b64 v[12:13], 3, v[12:13]
	v_lshlrev_b64 v[14:15], 3, v[14:15]
	s_delay_alu instid0(VALU_DEP_2) | instskip(NEXT) | instid1(VALU_DEP_3)
	v_add_co_u32 v12, vcc_lo, s36, v12
	v_add_co_ci_u32_e32 v13, vcc_lo, s37, v13, vcc_lo
	s_delay_alu instid0(VALU_DEP_3) | instskip(NEXT) | instid1(VALU_DEP_4)
	v_add_co_u32 v14, vcc_lo, s36, v14
	v_add_co_ci_u32_e32 v15, vcc_lo, s37, v15, vcc_lo
	s_clause 0x1
	global_load_b64 v[12:13], v[12:13], off
	global_load_b64 v[20:21], v[14:15], off
	v_add_f64 v[14:15], |v[18:19]|, |v[18:19]|
	s_delay_alu instid0(VALU_DEP_1) | instskip(SKIP_2) | instid1(VALU_DEP_1)
	v_cmp_class_f64_e64 s62, v[14:15], 0x204
	s_waitcnt vmcnt(0)
	v_add_f64 v[20:21], v[12:13], -v[20:21]
	v_max_f64 v[12:13], |v[20:21]|, |v[14:15]|
	v_cmp_ngt_f64_e64 s6, 0, v[20:21]
	v_cmp_class_f64_e64 s63, v[20:21], 0x204
	s_delay_alu instid0(VALU_DEP_3) | instskip(NEXT) | instid1(VALU_DEP_1)
	v_frexp_exp_i32_f64_e32 v22, v[12:13]
	v_sub_nc_u32_e32 v23, 0, v22
	s_delay_alu instid0(VALU_DEP_1) | instskip(SKIP_1) | instid1(VALU_DEP_2)
	v_ldexp_f64 v[12:13], |v[14:15]|, v23
	v_ldexp_f64 v[23:24], |v[20:21]|, v23
	v_mul_f64 v[12:13], v[12:13], v[12:13]
	s_delay_alu instid0(VALU_DEP_1) | instskip(NEXT) | instid1(VALU_DEP_1)
	v_fma_f64 v[12:13], v[23:24], v[23:24], v[12:13]
	v_rsq_f64_e32 v[23:24], v[12:13]
	v_cmp_eq_f64_e32 vcc_lo, 0, v[12:13]
	s_waitcnt_depctr 0xfff
	v_mul_f64 v[32:33], v[12:13], v[23:24]
	v_mul_f64 v[23:24], v[23:24], 0.5
	s_delay_alu instid0(VALU_DEP_1) | instskip(NEXT) | instid1(VALU_DEP_1)
	v_fma_f64 v[34:35], -v[23:24], v[32:33], 0.5
	v_fma_f64 v[32:33], v[32:33], v[34:35], v[32:33]
	v_fma_f64 v[23:24], v[23:24], v[34:35], v[23:24]
	s_delay_alu instid0(VALU_DEP_2) | instskip(NEXT) | instid1(VALU_DEP_1)
	v_fma_f64 v[34:35], -v[32:33], v[32:33], v[12:13]
	v_fma_f64 v[23:24], v[34:35], v[23:24], v[32:33]
	s_delay_alu instid0(VALU_DEP_1) | instskip(SKIP_1) | instid1(SALU_CYCLE_1)
	v_dual_cndmask_b32 v13, v24, v13 :: v_dual_cndmask_b32 v12, v23, v12
                                        ; implicit-def: $vgpr24_vgpr25
	s_and_saveexec_b32 s64, s6
	s_xor_b32 s6, exec_lo, s64
; %bb.55:                               ;   in Loop: Header=BB44_48 Depth=3
	s_delay_alu instid0(VALU_DEP_1) | instskip(SKIP_2) | instid1(VALU_DEP_2)
	v_ldexp_f64 v[12:13], v[12:13], v22
	v_cmp_o_f64_e32 vcc_lo, v[20:21], v[14:15]
	s_or_b32 s64, s62, s63
                                        ; implicit-def: $vgpr22
	v_cndmask_b32_e32 v12, 0, v12, vcc_lo
	s_delay_alu instid0(VALU_DEP_3) | instskip(NEXT) | instid1(VALU_DEP_2)
	v_cndmask_b32_e32 v13, 0x7ff80000, v13, vcc_lo
	v_cndmask_b32_e64 v24, v12, 0, s64
	s_delay_alu instid0(VALU_DEP_2)
	v_cndmask_b32_e64 v25, v13, 0x7ff00000, s64
                                        ; implicit-def: $vgpr12_vgpr13
; %bb.56:                               ;   in Loop: Header=BB44_48 Depth=3
	s_and_not1_saveexec_b32 s6, s6
; %bb.57:                               ;   in Loop: Header=BB44_48 Depth=3
	v_ldexp_f64 v[12:13], -v[12:13], v22
	v_cmp_o_f64_e32 vcc_lo, v[14:15], v[14:15]
	s_or_b32 s62, s62, s63
	s_delay_alu instid0(VALU_DEP_2) | instskip(NEXT) | instid1(VALU_DEP_3)
	v_cndmask_b32_e32 v12, 0, v12, vcc_lo
	v_cndmask_b32_e32 v13, 0xfff80000, v13, vcc_lo
	s_delay_alu instid0(VALU_DEP_2) | instskip(NEXT) | instid1(VALU_DEP_2)
	v_cndmask_b32_e64 v24, v12, 0, s62
	v_cndmask_b32_e64 v25, v13, 0xfff00000, s62
; %bb.58:                               ;   in Loop: Header=BB44_48 Depth=3
	s_or_b32 exec_lo, exec_lo, s6
	v_mov_b32_e32 v12, 0
	v_dual_mov_b32 v13, 0x3ff00000 :: v_dual_mov_b32 v22, 0
	v_mov_b32_e32 v23, 0
	s_mov_b32 s6, exec_lo
	v_cmpx_neq_f64_e32 0, v[14:15]
	s_cbranch_execz .LBB44_66
; %bb.59:                               ;   in Loop: Header=BB44_48 Depth=3
	v_add_f64 v[20:21], v[20:21], v[24:25]
	v_mov_b32_e32 v22, 0
	v_dual_mov_b32 v23, 0x3ff00000 :: v_dual_mov_b32 v12, 0
	v_mov_b32_e32 v13, 0
	s_mov_b32 s62, exec_lo
	s_delay_alu instid0(VALU_DEP_4)
	v_cmpx_neq_f64_e32 0, v[20:21]
	s_cbranch_execz .LBB44_65
; %bb.60:                               ;   in Loop: Header=BB44_48 Depth=3
	v_cmp_ngt_f64_e64 s63, |v[14:15]|, |v[20:21]|
                                        ; implicit-def: $vgpr22_vgpr23
                                        ; implicit-def: $vgpr12_vgpr13
	s_delay_alu instid0(VALU_DEP_1) | instskip(NEXT) | instid1(SALU_CYCLE_1)
	s_and_saveexec_b32 s64, s63
	s_xor_b32 s63, exec_lo, s64
	s_cbranch_execz .LBB44_62
; %bb.61:                               ;   in Loop: Header=BB44_48 Depth=3
	v_div_scale_f64 v[12:13], null, v[20:21], v[20:21], -v[14:15]
	v_div_scale_f64 v[32:33], vcc_lo, -v[14:15], v[20:21], -v[14:15]
	s_delay_alu instid0(VALU_DEP_2) | instskip(SKIP_2) | instid1(VALU_DEP_1)
	v_rcp_f64_e32 v[22:23], v[12:13]
	s_waitcnt_depctr 0xfff
	v_fma_f64 v[24:25], -v[12:13], v[22:23], 1.0
	v_fma_f64 v[22:23], v[22:23], v[24:25], v[22:23]
	s_delay_alu instid0(VALU_DEP_1) | instskip(NEXT) | instid1(VALU_DEP_1)
	v_fma_f64 v[24:25], -v[12:13], v[22:23], 1.0
	v_fma_f64 v[22:23], v[22:23], v[24:25], v[22:23]
	s_delay_alu instid0(VALU_DEP_1) | instskip(NEXT) | instid1(VALU_DEP_1)
	v_mul_f64 v[24:25], v[32:33], v[22:23]
	v_fma_f64 v[12:13], -v[12:13], v[24:25], v[32:33]
	s_delay_alu instid0(VALU_DEP_1) | instskip(NEXT) | instid1(VALU_DEP_1)
	v_div_fmas_f64 v[12:13], v[12:13], v[22:23], v[24:25]
	v_div_fixup_f64 v[14:15], v[12:13], v[20:21], -v[14:15]
	s_delay_alu instid0(VALU_DEP_1) | instskip(NEXT) | instid1(VALU_DEP_1)
	v_fma_f64 v[12:13], v[14:15], v[14:15], 1.0
	v_cmp_gt_f64_e32 vcc_lo, 0x10000000, v[12:13]
	v_cndmask_b32_e64 v20, 0, 1, vcc_lo
	s_delay_alu instid0(VALU_DEP_1) | instskip(NEXT) | instid1(VALU_DEP_1)
	v_lshlrev_b32_e32 v20, 8, v20
	v_ldexp_f64 v[12:13], v[12:13], v20
	s_delay_alu instid0(VALU_DEP_1) | instskip(SKIP_3) | instid1(VALU_DEP_1)
	v_rsq_f64_e32 v[20:21], v[12:13]
	s_waitcnt_depctr 0xfff
	v_mul_f64 v[22:23], v[12:13], v[20:21]
	v_mul_f64 v[20:21], v[20:21], 0.5
	v_fma_f64 v[24:25], -v[20:21], v[22:23], 0.5
	s_delay_alu instid0(VALU_DEP_1) | instskip(SKIP_1) | instid1(VALU_DEP_2)
	v_fma_f64 v[22:23], v[22:23], v[24:25], v[22:23]
	v_fma_f64 v[20:21], v[20:21], v[24:25], v[20:21]
	v_fma_f64 v[24:25], -v[22:23], v[22:23], v[12:13]
	s_delay_alu instid0(VALU_DEP_1) | instskip(NEXT) | instid1(VALU_DEP_1)
	v_fma_f64 v[22:23], v[24:25], v[20:21], v[22:23]
	v_fma_f64 v[24:25], -v[22:23], v[22:23], v[12:13]
	s_delay_alu instid0(VALU_DEP_1) | instskip(SKIP_2) | instid1(VALU_DEP_2)
	v_fma_f64 v[20:21], v[24:25], v[20:21], v[22:23]
	v_cndmask_b32_e64 v22, 0, 0xffffff80, vcc_lo
	v_cmp_class_f64_e64 vcc_lo, v[12:13], 0x260
	v_ldexp_f64 v[20:21], v[20:21], v22
	s_delay_alu instid0(VALU_DEP_1) | instskip(NEXT) | instid1(VALU_DEP_1)
	v_dual_cndmask_b32 v13, v21, v13 :: v_dual_cndmask_b32 v12, v20, v12
	v_div_scale_f64 v[20:21], null, v[12:13], v[12:13], 1.0
	s_delay_alu instid0(VALU_DEP_1) | instskip(SKIP_2) | instid1(VALU_DEP_1)
	v_rcp_f64_e32 v[22:23], v[20:21]
	s_waitcnt_depctr 0xfff
	v_fma_f64 v[24:25], -v[20:21], v[22:23], 1.0
	v_fma_f64 v[22:23], v[22:23], v[24:25], v[22:23]
	s_delay_alu instid0(VALU_DEP_1) | instskip(NEXT) | instid1(VALU_DEP_1)
	v_fma_f64 v[24:25], -v[20:21], v[22:23], 1.0
	v_fma_f64 v[22:23], v[22:23], v[24:25], v[22:23]
	v_div_scale_f64 v[24:25], vcc_lo, 1.0, v[12:13], 1.0
	s_delay_alu instid0(VALU_DEP_1) | instskip(NEXT) | instid1(VALU_DEP_1)
	v_mul_f64 v[32:33], v[24:25], v[22:23]
	v_fma_f64 v[20:21], -v[20:21], v[32:33], v[24:25]
	s_delay_alu instid0(VALU_DEP_1) | instskip(NEXT) | instid1(VALU_DEP_1)
	v_div_fmas_f64 v[20:21], v[20:21], v[22:23], v[32:33]
	v_div_fixup_f64 v[12:13], v[20:21], v[12:13], 1.0
                                        ; implicit-def: $vgpr20_vgpr21
	s_delay_alu instid0(VALU_DEP_1)
	v_mul_f64 v[22:23], v[14:15], v[12:13]
                                        ; implicit-def: $vgpr14_vgpr15
.LBB44_62:                              ;   in Loop: Header=BB44_48 Depth=3
	s_and_not1_saveexec_b32 s63, s63
	s_cbranch_execz .LBB44_64
; %bb.63:                               ;   in Loop: Header=BB44_48 Depth=3
	v_div_scale_f64 v[12:13], null, v[14:15], v[14:15], -v[20:21]
	v_div_scale_f64 v[32:33], vcc_lo, -v[20:21], v[14:15], -v[20:21]
	s_delay_alu instid0(VALU_DEP_2) | instskip(SKIP_2) | instid1(VALU_DEP_1)
	v_rcp_f64_e32 v[22:23], v[12:13]
	s_waitcnt_depctr 0xfff
	v_fma_f64 v[24:25], -v[12:13], v[22:23], 1.0
	v_fma_f64 v[22:23], v[22:23], v[24:25], v[22:23]
	s_delay_alu instid0(VALU_DEP_1) | instskip(NEXT) | instid1(VALU_DEP_1)
	v_fma_f64 v[24:25], -v[12:13], v[22:23], 1.0
	v_fma_f64 v[22:23], v[22:23], v[24:25], v[22:23]
	s_delay_alu instid0(VALU_DEP_1) | instskip(NEXT) | instid1(VALU_DEP_1)
	v_mul_f64 v[24:25], v[32:33], v[22:23]
	v_fma_f64 v[12:13], -v[12:13], v[24:25], v[32:33]
	s_delay_alu instid0(VALU_DEP_1) | instskip(NEXT) | instid1(VALU_DEP_1)
	v_div_fmas_f64 v[12:13], v[12:13], v[22:23], v[24:25]
	v_div_fixup_f64 v[12:13], v[12:13], v[14:15], -v[20:21]
	s_delay_alu instid0(VALU_DEP_1) | instskip(NEXT) | instid1(VALU_DEP_1)
	v_fma_f64 v[14:15], v[12:13], v[12:13], 1.0
	v_cmp_gt_f64_e32 vcc_lo, 0x10000000, v[14:15]
	v_cndmask_b32_e64 v20, 0, 1, vcc_lo
	s_delay_alu instid0(VALU_DEP_1) | instskip(NEXT) | instid1(VALU_DEP_1)
	v_lshlrev_b32_e32 v20, 8, v20
	v_ldexp_f64 v[14:15], v[14:15], v20
	s_delay_alu instid0(VALU_DEP_1) | instskip(SKIP_3) | instid1(VALU_DEP_1)
	v_rsq_f64_e32 v[20:21], v[14:15]
	s_waitcnt_depctr 0xfff
	v_mul_f64 v[22:23], v[14:15], v[20:21]
	v_mul_f64 v[20:21], v[20:21], 0.5
	v_fma_f64 v[24:25], -v[20:21], v[22:23], 0.5
	s_delay_alu instid0(VALU_DEP_1) | instskip(SKIP_1) | instid1(VALU_DEP_2)
	v_fma_f64 v[22:23], v[22:23], v[24:25], v[22:23]
	v_fma_f64 v[20:21], v[20:21], v[24:25], v[20:21]
	v_fma_f64 v[24:25], -v[22:23], v[22:23], v[14:15]
	s_delay_alu instid0(VALU_DEP_1) | instskip(NEXT) | instid1(VALU_DEP_1)
	v_fma_f64 v[22:23], v[24:25], v[20:21], v[22:23]
	v_fma_f64 v[24:25], -v[22:23], v[22:23], v[14:15]
	s_delay_alu instid0(VALU_DEP_1) | instskip(SKIP_2) | instid1(VALU_DEP_2)
	v_fma_f64 v[20:21], v[24:25], v[20:21], v[22:23]
	v_cndmask_b32_e64 v22, 0, 0xffffff80, vcc_lo
	v_cmp_class_f64_e64 vcc_lo, v[14:15], 0x260
	v_ldexp_f64 v[20:21], v[20:21], v22
	s_delay_alu instid0(VALU_DEP_1) | instskip(NEXT) | instid1(VALU_DEP_1)
	v_dual_cndmask_b32 v15, v21, v15 :: v_dual_cndmask_b32 v14, v20, v14
	v_div_scale_f64 v[20:21], null, v[14:15], v[14:15], 1.0
	s_delay_alu instid0(VALU_DEP_1) | instskip(SKIP_2) | instid1(VALU_DEP_1)
	v_rcp_f64_e32 v[22:23], v[20:21]
	s_waitcnt_depctr 0xfff
	v_fma_f64 v[24:25], -v[20:21], v[22:23], 1.0
	v_fma_f64 v[22:23], v[22:23], v[24:25], v[22:23]
	s_delay_alu instid0(VALU_DEP_1) | instskip(NEXT) | instid1(VALU_DEP_1)
	v_fma_f64 v[24:25], -v[20:21], v[22:23], 1.0
	v_fma_f64 v[22:23], v[22:23], v[24:25], v[22:23]
	v_div_scale_f64 v[24:25], vcc_lo, 1.0, v[14:15], 1.0
	s_delay_alu instid0(VALU_DEP_1) | instskip(NEXT) | instid1(VALU_DEP_1)
	v_mul_f64 v[32:33], v[24:25], v[22:23]
	v_fma_f64 v[20:21], -v[20:21], v[32:33], v[24:25]
	s_delay_alu instid0(VALU_DEP_1) | instskip(NEXT) | instid1(VALU_DEP_1)
	v_div_fmas_f64 v[20:21], v[20:21], v[22:23], v[32:33]
	v_div_fixup_f64 v[22:23], v[20:21], v[14:15], 1.0
	s_delay_alu instid0(VALU_DEP_1)
	v_mul_f64 v[12:13], v[12:13], v[22:23]
.LBB44_64:                              ;   in Loop: Header=BB44_48 Depth=3
	s_or_b32 exec_lo, exec_lo, s63
.LBB44_65:                              ;   in Loop: Header=BB44_48 Depth=3
	s_delay_alu instid0(SALU_CYCLE_1)
	s_or_b32 exec_lo, exec_lo, s62
.LBB44_66:                              ;   in Loop: Header=BB44_48 Depth=3
	s_delay_alu instid0(SALU_CYCLE_1) | instskip(NEXT) | instid1(VALU_DEP_1)
	s_or_b32 exec_lo, exec_lo, s6
	v_mul_f64 v[14:15], v[18:19], v[22:23]
	v_dual_mov_b32 v20, v18 :: v_dual_and_b32 v21, 0x7fffffff, v19
	s_delay_alu instid0(VALU_DEP_1) | instskip(SKIP_1) | instid1(VALU_DEP_2)
	v_div_scale_f64 v[22:23], null, v[20:21], v[20:21], v[14:15]
	v_div_scale_f64 v[20:21], vcc_lo, v[14:15], v[20:21], v[14:15]
	v_rcp_f64_e32 v[24:25], v[22:23]
	s_waitcnt_depctr 0xfff
	v_fma_f64 v[32:33], -v[22:23], v[24:25], 1.0
	s_delay_alu instid0(VALU_DEP_1) | instskip(NEXT) | instid1(VALU_DEP_1)
	v_fma_f64 v[24:25], v[24:25], v[32:33], v[24:25]
	v_fma_f64 v[32:33], -v[22:23], v[24:25], 1.0
	s_delay_alu instid0(VALU_DEP_1) | instskip(NEXT) | instid1(VALU_DEP_1)
	v_fma_f64 v[24:25], v[24:25], v[32:33], v[24:25]
	v_mul_f64 v[32:33], v[20:21], v[24:25]
	s_delay_alu instid0(VALU_DEP_1) | instskip(NEXT) | instid1(VALU_DEP_1)
	v_fma_f64 v[20:21], -v[22:23], v[32:33], v[20:21]
	v_div_fmas_f64 v[20:21], v[20:21], v[24:25], v[32:33]
	s_delay_alu instid0(VALU_DEP_1)
	v_div_fixup_f64 v[14:15], v[20:21], |v[18:19]|, v[14:15]
.LBB44_67:                              ;   in Loop: Header=BB44_48 Depth=3
	s_or_b32 exec_lo, exec_lo, s61
	ds_store_b64 v26, v[12:13]
	ds_store_b64 v27, v[14:15]
.LBB44_68:                              ;   in Loop: Header=BB44_48 Depth=3
	s_or_b32 exec_lo, exec_lo, s7
	s_and_b32 s4, s4, s5
	s_mov_b32 s6, 0
	s_waitcnt lgkmcnt(0)
	s_barrier
	buffer_gl0_inv
	s_and_saveexec_b32 s5, s4
	s_cbranch_execz .LBB44_80
; %bb.69:                               ;   in Loop: Header=BB44_48 Depth=3
	ds_load_b64 v[12:13], v26
	ds_load_b64 v[14:15], v27
	s_mov_b32 s4, 0
	s_and_saveexec_b32 s61, s0
	s_cbranch_execz .LBB44_79
; %bb.70:                               ;   in Loop: Header=BB44_48 Depth=3
	v_mad_u64_u32 v[10:11], null, v2, s11, v[0:1]
	v_mad_u64_u32 v[18:19], null, v17, s11, v[0:1]
	v_mul_lo_u32 v24, v17, s15
	v_mul_lo_u32 v25, v2, s15
	v_dual_mov_b32 v32, v0 :: v_dual_mov_b32 v33, v7
	v_ashrrev_i32_e32 v11, 31, v10
	s_mov_b32 s62, 0
	v_ashrrev_i32_e32 v19, 31, v18
	s_mov_b64 s[6:7], s[36:37]
	s_delay_alu instid0(VALU_DEP_2) | instskip(NEXT) | instid1(VALU_DEP_2)
	v_lshlrev_b64 v[10:11], 3, v[10:11]
	v_lshlrev_b64 v[18:19], 3, v[18:19]
	s_branch .LBB44_73
.LBB44_71:                              ;   in Loop: Header=BB44_73 Depth=4
	s_or_b32 exec_lo, exec_lo, s63
.LBB44_72:                              ;   in Loop: Header=BB44_73 Depth=4
	v_add_nc_u32_e32 v33, s33, v33
	v_add_nc_u32_e32 v32, s26, v32
	s_add_u32 s6, s6, s28
	s_addc_u32 s7, s7, s29
	s_delay_alu instid0(VALU_DEP_2) | instskip(SKIP_1) | instid1(SALU_CYCLE_1)
	v_cmp_le_i32_e32 vcc_lo, s34, v33
	s_or_b32 s62, vcc_lo, s62
	s_and_not1_b32 exec_lo, exec_lo, s62
	s_cbranch_execz .LBB44_78
.LBB44_73:                              ;   Parent Loop BB44_43 Depth=1
                                        ;     Parent Loop BB44_46 Depth=2
                                        ;       Parent Loop BB44_48 Depth=3
                                        ; =>      This Inner Loop Header: Depth=4
	s_delay_alu instid0(VALU_DEP_2) | instskip(NEXT) | instid1(VALU_DEP_3)
	v_add_co_u32 v20, vcc_lo, s6, v10
	v_add_co_ci_u32_e32 v21, vcc_lo, s7, v11, vcc_lo
	s_delay_alu instid0(VALU_DEP_3) | instskip(NEXT) | instid1(VALU_DEP_4)
	v_add_co_u32 v22, vcc_lo, s6, v18
	v_add_co_ci_u32_e32 v23, vcc_lo, s7, v19, vcc_lo
	s_clause 0x1
	global_load_b64 v[34:35], v[20:21], off
	global_load_b64 v[36:37], v[22:23], off
	s_waitcnt vmcnt(1) lgkmcnt(0)
	v_mul_f64 v[38:39], v[14:15], v[34:35]
	s_waitcnt vmcnt(0)
	v_mul_f64 v[40:41], v[14:15], v[36:37]
	s_delay_alu instid0(VALU_DEP_2) | instskip(NEXT) | instid1(VALU_DEP_2)
	v_fma_f64 v[36:37], v[12:13], v[36:37], v[38:39]
	v_fma_f64 v[34:35], v[12:13], v[34:35], -v[40:41]
	v_add_nc_u32_e32 v38, 1, v32
	s_clause 0x1
	global_store_b64 v[22:23], v[36:37], off
	global_store_b64 v[20:21], v[34:35], off
	v_cmp_gt_i32_e64 s4, s11, v38
	s_delay_alu instid0(VALU_DEP_1)
	s_and_saveexec_b32 s63, s4
	s_cbranch_execz .LBB44_75
; %bb.74:                               ;   in Loop: Header=BB44_73 Depth=4
	s_clause 0x1
	global_load_b64 v[34:35], v[20:21], off offset:8
	global_load_b64 v[36:37], v[22:23], off offset:8
	s_waitcnt vmcnt(1)
	v_mul_f64 v[38:39], v[14:15], v[34:35]
	s_waitcnt vmcnt(0)
	v_mul_f64 v[40:41], v[14:15], v[36:37]
	s_delay_alu instid0(VALU_DEP_2) | instskip(NEXT) | instid1(VALU_DEP_2)
	v_fma_f64 v[36:37], v[12:13], v[36:37], v[38:39]
	v_fma_f64 v[34:35], v[12:13], v[34:35], -v[40:41]
	s_clause 0x1
	global_store_b64 v[22:23], v[36:37], off offset:8
	global_store_b64 v[20:21], v[34:35], off offset:8
.LBB44_75:                              ;   in Loop: Header=BB44_73 Depth=4
	s_or_b32 exec_lo, exec_lo, s63
	s_delay_alu instid0(SALU_CYCLE_1)
	s_and_not1_b32 vcc_lo, exec_lo, s54
	s_cbranch_vccnz .LBB44_72
; %bb.76:                               ;   in Loop: Header=BB44_73 Depth=4
	v_add_nc_u32_e32 v20, v25, v32
	v_add_nc_u32_e32 v22, v24, v32
	s_delay_alu instid0(VALU_DEP_2) | instskip(NEXT) | instid1(VALU_DEP_2)
	v_ashrrev_i32_e32 v21, 31, v20
	v_ashrrev_i32_e32 v23, 31, v22
	s_delay_alu instid0(VALU_DEP_2) | instskip(NEXT) | instid1(VALU_DEP_2)
	v_lshlrev_b64 v[20:21], 3, v[20:21]
	v_lshlrev_b64 v[22:23], 3, v[22:23]
	s_delay_alu instid0(VALU_DEP_2) | instskip(NEXT) | instid1(VALU_DEP_3)
	v_add_co_u32 v20, vcc_lo, s24, v20
	v_add_co_ci_u32_e32 v21, vcc_lo, s25, v21, vcc_lo
	s_delay_alu instid0(VALU_DEP_3) | instskip(NEXT) | instid1(VALU_DEP_4)
	v_add_co_u32 v22, vcc_lo, s24, v22
	v_add_co_ci_u32_e32 v23, vcc_lo, s25, v23, vcc_lo
	s_clause 0x1
	global_load_b64 v[34:35], v[20:21], off
	global_load_b64 v[36:37], v[22:23], off
	s_waitcnt vmcnt(1)
	v_mul_f64 v[38:39], v[14:15], v[34:35]
	s_waitcnt vmcnt(0)
	v_mul_f64 v[40:41], v[14:15], v[36:37]
	s_delay_alu instid0(VALU_DEP_2) | instskip(NEXT) | instid1(VALU_DEP_2)
	v_fma_f64 v[36:37], v[12:13], v[36:37], v[38:39]
	v_fma_f64 v[34:35], v[12:13], v[34:35], -v[40:41]
	s_clause 0x1
	global_store_b64 v[22:23], v[36:37], off
	global_store_b64 v[20:21], v[34:35], off
	s_and_saveexec_b32 s63, s4
	s_cbranch_execz .LBB44_71
; %bb.77:                               ;   in Loop: Header=BB44_73 Depth=4
	s_clause 0x1
	global_load_b64 v[34:35], v[20:21], off offset:8
	global_load_b64 v[36:37], v[22:23], off offset:8
	s_waitcnt vmcnt(1)
	v_mul_f64 v[38:39], v[14:15], v[34:35]
	s_waitcnt vmcnt(0)
	v_mul_f64 v[40:41], v[14:15], v[36:37]
	s_delay_alu instid0(VALU_DEP_2) | instskip(NEXT) | instid1(VALU_DEP_2)
	v_fma_f64 v[36:37], v[12:13], v[36:37], v[38:39]
	v_fma_f64 v[34:35], v[12:13], v[34:35], -v[40:41]
	s_clause 0x1
	global_store_b64 v[22:23], v[36:37], off offset:8
	global_store_b64 v[20:21], v[34:35], off offset:8
	s_branch .LBB44_71
.LBB44_78:                              ;   in Loop: Header=BB44_48 Depth=3
	s_or_b32 exec_lo, exec_lo, s62
	s_delay_alu instid0(SALU_CYCLE_1)
	s_mov_b32 s4, exec_lo
.LBB44_79:                              ;   in Loop: Header=BB44_48 Depth=3
	s_or_b32 exec_lo, exec_lo, s61
	s_waitcnt lgkmcnt(0)
	v_dual_mov_b32 v10, v14 :: v_dual_mov_b32 v11, v15
	s_and_b32 s6, s4, exec_lo
.LBB44_80:                              ;   in Loop: Header=BB44_48 Depth=3
	s_or_b32 exec_lo, exec_lo, s5
	s_waitcnt_vscnt null, 0x0
	s_barrier
	buffer_gl0_inv
	s_and_saveexec_b32 s4, s6
	s_cbranch_execz .LBB44_85
; %bb.81:                               ;   in Loop: Header=BB44_48 Depth=3
	v_dual_mov_b32 v23, v7 :: v_dual_add_nc_u32 v18, v29, v17
	v_dual_mov_b32 v22, v28 :: v_dual_add_nc_u32 v19, v29, v2
	v_add_nc_u32_e32 v20, v30, v2
	v_add_nc_u32_e32 v21, v30, v17
	s_mov_b32 s5, 0
	s_mov_b32 s6, 0
	s_branch .LBB44_83
.LBB44_82:                              ;   in Loop: Header=BB44_83 Depth=4
	s_or_b32 exec_lo, exec_lo, s7
	v_add_nc_u32_e32 v23, s33, v23
	v_add_nc_u32_e32 v22, s26, v22
	s_add_i32 s6, s6, s60
	s_delay_alu instid0(VALU_DEP_2) | instskip(SKIP_1) | instid1(SALU_CYCLE_1)
	v_cmp_le_i32_e32 vcc_lo, s34, v23
	s_or_b32 s5, vcc_lo, s5
	s_and_not1_b32 exec_lo, exec_lo, s5
	s_cbranch_execz .LBB44_85
.LBB44_83:                              ;   Parent Loop BB44_43 Depth=1
                                        ;     Parent Loop BB44_46 Depth=2
                                        ;       Parent Loop BB44_48 Depth=3
                                        ; =>      This Inner Loop Header: Depth=4
	v_add_nc_u32_e32 v24, s6, v20
	v_add_nc_u32_e32 v32, s6, v21
	s_mov_b32 s7, exec_lo
	s_delay_alu instid0(VALU_DEP_2) | instskip(NEXT) | instid1(VALU_DEP_2)
	v_ashrrev_i32_e32 v25, 31, v24
	v_ashrrev_i32_e32 v33, 31, v32
	s_delay_alu instid0(VALU_DEP_2) | instskip(NEXT) | instid1(VALU_DEP_2)
	v_lshlrev_b64 v[24:25], 3, v[24:25]
	v_lshlrev_b64 v[32:33], 3, v[32:33]
	s_delay_alu instid0(VALU_DEP_2) | instskip(NEXT) | instid1(VALU_DEP_3)
	v_add_co_u32 v24, vcc_lo, s36, v24
	v_add_co_ci_u32_e32 v25, vcc_lo, s37, v25, vcc_lo
	s_delay_alu instid0(VALU_DEP_3) | instskip(NEXT) | instid1(VALU_DEP_4)
	v_add_co_u32 v32, vcc_lo, s36, v32
	v_add_co_ci_u32_e32 v33, vcc_lo, s37, v33, vcc_lo
	s_clause 0x1
	global_load_b64 v[34:35], v[24:25], off
	global_load_b64 v[36:37], v[32:33], off
	s_waitcnt vmcnt(1)
	v_mul_f64 v[38:39], v[14:15], v[34:35]
	s_waitcnt vmcnt(0)
	v_mul_f64 v[40:41], v[10:11], v[36:37]
	s_delay_alu instid0(VALU_DEP_2) | instskip(NEXT) | instid1(VALU_DEP_2)
	v_fma_f64 v[36:37], v[12:13], v[36:37], v[38:39]
	v_fma_f64 v[34:35], v[12:13], v[34:35], -v[40:41]
	s_clause 0x1
	global_store_b64 v[32:33], v[36:37], off
	global_store_b64 v[24:25], v[34:35], off
	v_cmpx_gt_i32_e64 s11, v22
	s_cbranch_execz .LBB44_82
; %bb.84:                               ;   in Loop: Header=BB44_83 Depth=4
	v_add_nc_u32_e32 v24, s6, v19
	v_add_nc_u32_e32 v32, s6, v18
	s_delay_alu instid0(VALU_DEP_2) | instskip(NEXT) | instid1(VALU_DEP_2)
	v_ashrrev_i32_e32 v25, 31, v24
	v_ashrrev_i32_e32 v33, 31, v32
	s_delay_alu instid0(VALU_DEP_2) | instskip(NEXT) | instid1(VALU_DEP_2)
	v_lshlrev_b64 v[24:25], 3, v[24:25]
	v_lshlrev_b64 v[32:33], 3, v[32:33]
	s_delay_alu instid0(VALU_DEP_2) | instskip(NEXT) | instid1(VALU_DEP_3)
	v_add_co_u32 v24, vcc_lo, s36, v24
	v_add_co_ci_u32_e32 v25, vcc_lo, s37, v25, vcc_lo
	s_delay_alu instid0(VALU_DEP_3) | instskip(NEXT) | instid1(VALU_DEP_4)
	v_add_co_u32 v32, vcc_lo, s36, v32
	v_add_co_ci_u32_e32 v33, vcc_lo, s37, v33, vcc_lo
	s_clause 0x1
	global_load_b64 v[34:35], v[24:25], off
	global_load_b64 v[36:37], v[32:33], off
	s_waitcnt vmcnt(1)
	v_mul_f64 v[38:39], v[14:15], v[34:35]
	s_waitcnt vmcnt(0)
	v_mul_f64 v[40:41], v[10:11], v[36:37]
	s_delay_alu instid0(VALU_DEP_2) | instskip(NEXT) | instid1(VALU_DEP_2)
	v_fma_f64 v[36:37], v[12:13], v[36:37], v[38:39]
	v_fma_f64 v[34:35], v[12:13], v[34:35], -v[40:41]
	s_clause 0x1
	global_store_b64 v[32:33], v[36:37], off
	global_store_b64 v[24:25], v[34:35], off
	s_branch .LBB44_82
.LBB44_85:                              ;   in Loop: Header=BB44_48 Depth=3
	s_or_b32 exec_lo, exec_lo, s4
	s_waitcnt_vscnt null, 0x0
	s_barrier
	buffer_gl0_inv
	s_and_saveexec_b32 s4, s13
	s_cbranch_execz .LBB44_87
; %bb.86:                               ;   in Loop: Header=BB44_48 Depth=3
	v_mad_u64_u32 v[18:19], null, v2, s11, v[17:18]
	v_mad_u64_u32 v[20:21], null, v17, s11, v[2:3]
	s_mov_b32 s13, s12
	s_delay_alu instid0(SALU_CYCLE_1) | instskip(NEXT) | instid1(VALU_DEP_3)
	v_dual_mov_b32 v23, s13 :: v_dual_mov_b32 v22, s12
	v_ashrrev_i32_e32 v19, 31, v18
	s_delay_alu instid0(VALU_DEP_3) | instskip(NEXT) | instid1(VALU_DEP_2)
	v_ashrrev_i32_e32 v21, 31, v20
	v_lshlrev_b64 v[18:19], 3, v[18:19]
	s_delay_alu instid0(VALU_DEP_2) | instskip(NEXT) | instid1(VALU_DEP_2)
	v_lshlrev_b64 v[20:21], 3, v[20:21]
	v_add_co_u32 v18, vcc_lo, s36, v18
	s_delay_alu instid0(VALU_DEP_3) | instskip(NEXT) | instid1(VALU_DEP_3)
	v_add_co_ci_u32_e32 v19, vcc_lo, s37, v19, vcc_lo
	v_add_co_u32 v20, vcc_lo, s36, v20
	s_delay_alu instid0(VALU_DEP_4)
	v_add_co_ci_u32_e32 v21, vcc_lo, s37, v21, vcc_lo
	s_clause 0x1
	global_store_b64 v[18:19], v[22:23], off
	global_store_b64 v[20:21], v[22:23], off
.LBB44_87:                              ;   in Loop: Header=BB44_48 Depth=3
	s_or_b32 exec_lo, exec_lo, s4
	s_and_b32 s3, s2, s3
	s_waitcnt_vscnt null, 0x0
	s_barrier
	buffer_gl0_inv
	s_and_saveexec_b32 s4, s3
	s_cbranch_execz .LBB44_99
; %bb.88:                               ;   in Loop: Header=BB44_48 Depth=3
	s_mov_b32 s5, exec_lo
	v_cmpx_lt_i32_e32 0, v17
	s_cbranch_execz .LBB44_94
; %bb.89:                               ;   in Loop: Header=BB44_48 Depth=3
	v_cmp_ne_u32_e32 vcc_lo, 2, v17
	v_cmp_ne_u32_e64 s3, s49, v17
                                        ; implicit-def: $vgpr18
	s_delay_alu instid0(VALU_DEP_1) | instskip(NEXT) | instid1(SALU_CYCLE_1)
	s_and_b32 s3, vcc_lo, s3
	s_and_saveexec_b32 s6, s3
	s_delay_alu instid0(SALU_CYCLE_1)
	s_xor_b32 s3, exec_lo, s6
; %bb.90:                               ;   in Loop: Header=BB44_48 Depth=3
	v_and_b32_e32 v18, 1, v17
	s_delay_alu instid0(VALU_DEP_1) | instskip(SKIP_1) | instid1(VALU_DEP_1)
	v_cmp_eq_u32_e32 vcc_lo, 0, v18
	v_cndmask_b32_e64 v18, 2, -2, vcc_lo
	v_add_nc_u32_e32 v18, v18, v17
                                        ; implicit-def: $vgpr17
; %bb.91:                               ;   in Loop: Header=BB44_48 Depth=3
	s_and_not1_saveexec_b32 s3, s3
; %bb.92:                               ;   in Loop: Header=BB44_48 Depth=3
	v_add_nc_u32_e32 v18, -1, v17
; %bb.93:                               ;   in Loop: Header=BB44_48 Depth=3
	s_or_b32 exec_lo, exec_lo, s3
	v_lshl_add_u32 v16, v16, 2, s47
	ds_store_b32 v16, v18
.LBB44_94:                              ;   in Loop: Header=BB44_48 Depth=3
	s_or_b32 exec_lo, exec_lo, s5
	v_cmp_ne_u32_e32 vcc_lo, 2, v2
	v_cmp_ne_u32_e64 s3, s49, v2
                                        ; implicit-def: $vgpr16
	s_delay_alu instid0(VALU_DEP_1) | instskip(NEXT) | instid1(SALU_CYCLE_1)
	s_and_b32 s3, vcc_lo, s3
	s_and_saveexec_b32 s5, s3
	s_delay_alu instid0(SALU_CYCLE_1)
	s_xor_b32 s3, exec_lo, s5
; %bb.95:                               ;   in Loop: Header=BB44_48 Depth=3
	v_and_b32_e32 v16, 1, v2
	s_delay_alu instid0(VALU_DEP_1) | instskip(SKIP_1) | instid1(VALU_DEP_1)
	v_cmp_eq_u32_e32 vcc_lo, 0, v16
	v_cndmask_b32_e64 v16, 2, -2, vcc_lo
	v_add_nc_u32_e32 v16, v16, v2
                                        ; implicit-def: $vgpr2
; %bb.96:                               ;   in Loop: Header=BB44_48 Depth=3
	s_and_not1_saveexec_b32 s3, s3
; %bb.97:                               ;   in Loop: Header=BB44_48 Depth=3
	v_add_nc_u32_e32 v16, -1, v2
; %bb.98:                               ;   in Loop: Header=BB44_48 Depth=3
	s_or_b32 exec_lo, exec_lo, s3
	ds_store_b32 v31, v16
.LBB44_99:                              ;   in Loop: Header=BB44_48 Depth=3
	s_or_b32 exec_lo, exec_lo, s4
	s_add_i32 s3, s39, 1
	s_cmp_eq_u32 s39, s50
	s_waitcnt lgkmcnt(0)
	s_barrier
	buffer_gl0_inv
	s_cbranch_scc1 .LBB44_45
; %bb.100:                              ;   in Loop: Header=BB44_48 Depth=3
	s_mov_b32 s39, s3
	s_branch .LBB44_48
.LBB44_101:                             ;   in Loop: Header=BB44_43 Depth=1
	s_and_saveexec_b32 s4, s2
	s_cbranch_execz .LBB44_111
; %bb.102:                              ;   in Loop: Header=BB44_43 Depth=1
	v_mov_b32_e32 v16, 0
	v_mov_b32_e32 v17, 0
	s_and_saveexec_b32 s5, s1
	s_cbranch_execz .LBB44_110
; %bb.103:                              ;   in Loop: Header=BB44_43 Depth=1
	v_dual_mov_b32 v16, 0 :: v_dual_mov_b32 v19, v9
	v_dual_mov_b32 v17, 0 :: v_dual_mov_b32 v18, v8
	v_mov_b32_e32 v2, v1
	s_mov_b32 s6, 0
	s_set_inst_prefetch_distance 0x1
	s_branch .LBB44_105
	.p2align	6
.LBB44_104:                             ;   in Loop: Header=BB44_105 Depth=2
	s_or_b32 exec_lo, exec_lo, s7
	v_add_nc_u32_e32 v2, s14, v2
	v_add_co_u32 v18, s3, v18, s42
	s_delay_alu instid0(VALU_DEP_1) | instskip(NEXT) | instid1(VALU_DEP_3)
	v_add_co_ci_u32_e64 v19, s3, s43, v19, s3
	v_cmp_le_i32_e32 vcc_lo, s11, v2
	s_or_b32 s6, vcc_lo, s6
	s_delay_alu instid0(SALU_CYCLE_1)
	s_and_not1_b32 exec_lo, exec_lo, s6
	s_cbranch_execz .LBB44_109
.LBB44_105:                             ;   Parent Loop BB44_43 Depth=1
                                        ; =>  This Loop Header: Depth=2
                                        ;       Child Loop BB44_107 Depth 3
	s_mov_b32 s7, exec_lo
	v_cmpx_lt_i32_e32 0, v2
	s_cbranch_execz .LBB44_104
; %bb.106:                              ;   in Loop: Header=BB44_105 Depth=2
	v_dual_mov_b32 v21, v19 :: v_dual_mov_b32 v20, v18
	s_mov_b32 s13, 0
	s_mov_b32 s35, 0
.LBB44_107:                             ;   Parent Loop BB44_43 Depth=1
                                        ;     Parent Loop BB44_105 Depth=2
                                        ; =>    This Inner Loop Header: Depth=3
	global_load_b64 v[22:23], v[20:21], off
	s_add_i32 s35, s35, 1
	v_add_co_u32 v20, s3, v20, s44
	v_cmp_ge_i32_e32 vcc_lo, s35, v2
	v_add_co_ci_u32_e64 v21, s3, s45, v21, s3
	s_or_b32 s13, vcc_lo, s13
	s_waitcnt vmcnt(0)
	v_mul_f64 v[22:23], v[22:23], v[22:23]
	s_delay_alu instid0(VALU_DEP_1)
	v_fma_f64 v[16:17], v[22:23], 2.0, v[16:17]
	s_and_not1_b32 exec_lo, exec_lo, s13
	s_cbranch_execnz .LBB44_107
; %bb.108:                              ;   in Loop: Header=BB44_105 Depth=2
	s_or_b32 exec_lo, exec_lo, s13
	s_branch .LBB44_104
.LBB44_109:                             ;   in Loop: Header=BB44_43 Depth=1
	s_set_inst_prefetch_distance 0x2
	s_or_b32 exec_lo, exec_lo, s6
.LBB44_110:                             ;   in Loop: Header=BB44_43 Depth=1
	s_delay_alu instid0(SALU_CYCLE_1)
	s_or_b32 exec_lo, exec_lo, s5
	ds_store_b64 v26, v[16:17]
.LBB44_111:                             ;   in Loop: Header=BB44_43 Depth=1
	s_or_b32 exec_lo, exec_lo, s4
	v_mov_b32_e32 v16, 0
	v_mov_b32_e32 v17, 0
	s_and_not1_b32 vcc_lo, exec_lo, s10
	s_waitcnt lgkmcnt(0)
	s_barrier
	buffer_gl0_inv
	s_cbranch_vccnz .LBB44_42
; %bb.112:                              ;   in Loop: Header=BB44_43 Depth=1
	s_mov_b32 s3, 0
	s_and_not1_b32 vcc_lo, exec_lo, s57
	s_cbranch_vccnz .LBB44_116
; %bb.113:                              ;   in Loop: Header=BB44_43 Depth=1
	s_mov_b32 s4, 0
	.p2align	6
.LBB44_114:                             ;   Parent Loop BB44_43 Depth=1
                                        ; =>  This Inner Loop Header: Depth=2
	s_delay_alu instid0(SALU_CYCLE_1)
	v_mov_b32_e32 v2, s4
	s_add_i32 s3, s3, 8
	s_add_i32 s4, s4, 64
	s_cmp_lg_u32 s58, s3
	ds_load_2addr_b64 v[18:21], v2 offset1:1
	ds_load_2addr_b64 v[22:25], v2 offset0:2 offset1:3
	s_waitcnt lgkmcnt(1)
	v_add_f64 v[16:17], v[16:17], v[18:19]
	s_delay_alu instid0(VALU_DEP_1) | instskip(SKIP_1) | instid1(VALU_DEP_1)
	v_add_f64 v[16:17], v[16:17], v[20:21]
	s_waitcnt lgkmcnt(0)
	v_add_f64 v[16:17], v[16:17], v[22:23]
	s_delay_alu instid0(VALU_DEP_1) | instskip(SKIP_4) | instid1(VALU_DEP_1)
	v_add_f64 v[24:25], v[16:17], v[24:25]
	ds_load_2addr_b64 v[16:19], v2 offset0:4 offset1:5
	ds_load_2addr_b64 v[20:23], v2 offset0:6 offset1:7
	s_waitcnt lgkmcnt(1)
	v_add_f64 v[16:17], v[24:25], v[16:17]
	v_add_f64 v[16:17], v[16:17], v[18:19]
	s_waitcnt lgkmcnt(0)
	s_delay_alu instid0(VALU_DEP_1) | instskip(NEXT) | instid1(VALU_DEP_1)
	v_add_f64 v[16:17], v[16:17], v[20:21]
	v_add_f64 v[16:17], v[16:17], v[22:23]
	s_cbranch_scc1 .LBB44_114
; %bb.115:                              ;   in Loop: Header=BB44_43 Depth=1
	s_mov_b32 s3, s58
.LBB44_116:                             ;   in Loop: Header=BB44_43 Depth=1
	s_and_not1_b32 vcc_lo, exec_lo, s59
	s_cbranch_vccnz .LBB44_42
; %bb.117:                              ;   in Loop: Header=BB44_43 Depth=1
	s_lshl_b32 s3, s3, 3
	s_mov_b32 s4, s56
	s_add_i32 s3, s3, 0
.LBB44_118:                             ;   Parent Loop BB44_43 Depth=1
                                        ; =>  This Inner Loop Header: Depth=2
	s_delay_alu instid0(SALU_CYCLE_1)
	v_mov_b32_e32 v2, s3
	s_add_i32 s4, s4, -1
	s_add_i32 s3, s3, 8
	s_cmp_lg_u32 s4, 0
	ds_load_b64 v[18:19], v2
	s_waitcnt lgkmcnt(0)
	v_add_f64 v[16:17], v[16:17], v[18:19]
	s_cbranch_scc1 .LBB44_118
	s_branch .LBB44_42
.LBB44_119:
	s_mul_i32 s0, s40, s21
	s_mul_hi_u32 s1, s40, s20
	s_mul_i32 s3, s41, s20
	s_add_i32 s0, s1, s0
	s_mul_i32 s4, s40, s20
	s_add_i32 s5, s0, s3
	s_and_saveexec_b32 s1, s2
	s_cbranch_execz .LBB44_125
; %bb.120:
	s_mov_b32 s0, exec_lo
	v_cmpx_eq_u32_e32 0, v1
	s_cbranch_execz .LBB44_122
; %bb.121:
	v_cmp_gt_f64_e32 vcc_lo, 0x10000000, v[16:17]
	s_lshl_b64 s[6:7], s[40:41], 3
	s_delay_alu instid0(SALU_CYCLE_1) | instskip(SKIP_2) | instid1(SALU_CYCLE_1)
	s_add_u32 s6, s30, s6
	s_addc_u32 s7, s31, s7
	s_lshl_b64 s[12:13], s[40:41], 2
	s_add_u32 s16, s16, s12
	s_addc_u32 s17, s17, s13
	s_add_u32 s12, s22, s12
	s_addc_u32 s13, s23, s13
	s_cmp_gt_i32 s27, s46
	s_cselect_b32 s3, -1, 0
	s_min_i32 s10, s27, s46
	v_cndmask_b32_e64 v0, 0, 1, vcc_lo
	s_and_b32 s20, vcc_lo, exec_lo
	s_cselect_b32 s20, 0xffffff80, 0
	s_delay_alu instid0(VALU_DEP_1) | instskip(NEXT) | instid1(VALU_DEP_1)
	v_lshlrev_b32_e32 v0, 8, v0
	v_ldexp_f64 v[2:3], v[16:17], v0
	v_mov_b32_e32 v0, 0
	s_delay_alu instid0(VALU_DEP_2) | instskip(SKIP_4) | instid1(VALU_DEP_1)
	v_rsq_f64_e32 v[4:5], v[2:3]
	v_cmp_class_f64_e64 vcc_lo, v[2:3], 0x260
	s_waitcnt_depctr 0xfff
	v_mul_f64 v[6:7], v[2:3], v[4:5]
	v_mul_f64 v[4:5], v[4:5], 0.5
	v_fma_f64 v[8:9], -v[4:5], v[6:7], 0.5
	s_delay_alu instid0(VALU_DEP_1) | instskip(SKIP_1) | instid1(VALU_DEP_2)
	v_fma_f64 v[6:7], v[6:7], v[8:9], v[6:7]
	v_fma_f64 v[4:5], v[4:5], v[8:9], v[4:5]
	v_fma_f64 v[8:9], -v[6:7], v[6:7], v[2:3]
	s_delay_alu instid0(VALU_DEP_1) | instskip(NEXT) | instid1(VALU_DEP_1)
	v_fma_f64 v[6:7], v[8:9], v[4:5], v[6:7]
	v_fma_f64 v[8:9], -v[6:7], v[6:7], v[2:3]
	s_delay_alu instid0(VALU_DEP_1) | instskip(NEXT) | instid1(VALU_DEP_1)
	v_fma_f64 v[4:5], v[8:9], v[4:5], v[6:7]
	v_ldexp_f64 v[4:5], v[4:5], s20
	s_delay_alu instid0(VALU_DEP_1)
	v_dual_cndmask_b32 v3, v5, v3 :: v_dual_cndmask_b32 v2, v4, v2
	v_mov_b32_e32 v4, s10
	v_cndmask_b32_e64 v5, 0, 1, s3
	s_clause 0x2
	global_store_b64 v0, v[2:3], s[6:7]
	global_store_b32 v0, v4, s[16:17]
	global_store_b32 v0, v5, s[12:13]
.LBB44_122:
	s_or_b32 exec_lo, exec_lo, s0
	v_cmp_gt_i32_e32 vcc_lo, s11, v1
	s_and_b32 exec_lo, exec_lo, vcc_lo
	s_cbranch_execz .LBB44_125
; %bb.123:
	v_ashrrev_i32_e32 v2, 31, v1
	s_lshl_b64 s[6:7], s[4:5], 3
	s_add_i32 s0, s11, 1
	s_add_u32 s3, s18, s6
	s_addc_u32 s6, s19, s7
	v_lshlrev_b64 v[2:3], 3, v[1:2]
	s_ashr_i32 s35, s34, 31
	s_ashr_i32 s39, s38, 31
	v_mov_b32_e32 v0, v1
	v_cmp_lt_i64_e64 s7, s[34:35], s[38:39]
	s_mov_b32 s10, 0
	v_add_co_u32 v2, vcc_lo, s3, v2
	v_add_co_ci_u32_e32 v3, vcc_lo, s6, v3, vcc_lo
	s_delay_alu instid0(VALU_DEP_3) | instskip(NEXT) | instid1(VALU_DEP_2)
	s_and_b32 s3, s7, exec_lo
	v_mad_u64_u32 v[4:5], null, v1, s11, v[1:2]
	s_cselect_b32 s7, s35, s39
	s_cselect_b32 s6, s34, s38
	s_mul_i32 s3, s14, s0
	s_lshl_b64 s[6:7], s[6:7], 3
	.p2align	6
.LBB44_124:                             ; =>This Inner Loop Header: Depth=1
	s_delay_alu instid0(VALU_DEP_1) | instskip(SKIP_1) | instid1(VALU_DEP_2)
	v_ashrrev_i32_e32 v5, 31, v4
	v_add_nc_u32_e32 v0, s14, v0
	v_lshlrev_b64 v[5:6], 3, v[4:5]
	v_add_nc_u32_e32 v4, s3, v4
	s_delay_alu instid0(VALU_DEP_2) | instskip(NEXT) | instid1(VALU_DEP_3)
	v_add_co_u32 v5, vcc_lo, s36, v5
	v_add_co_ci_u32_e32 v6, vcc_lo, s37, v6, vcc_lo
	v_cmp_le_i32_e32 vcc_lo, s11, v0
	global_load_b64 v[5:6], v[5:6], off
	s_or_b32 s10, vcc_lo, s10
	s_waitcnt vmcnt(0)
	global_store_b64 v[2:3], v[5:6], off
	v_add_co_u32 v2, s0, v2, s6
	s_delay_alu instid0(VALU_DEP_1)
	v_add_co_ci_u32_e64 v3, s0, s7, v3, s0
	s_and_not1_b32 exec_lo, exec_lo, s10
	s_cbranch_execnz .LBB44_124
.LBB44_125:
	s_or_b32 exec_lo, exec_lo, s1
	s_cmpk_eq_i32 s8, 0xfb
	s_waitcnt_vscnt null, 0x0
	s_cselect_b32 s0, -1, 0
	s_cmp_lt_i32 s11, 2
	s_barrier
	s_cselect_b32 s1, -1, 0
	buffer_gl0_inv
	s_or_b32 s0, s0, s1
	s_delay_alu instid0(SALU_CYCLE_1)
	s_and_b32 vcc_lo, exec_lo, s0
	s_cbranch_vccnz .LBB44_136
; %bb.126:
	s_lshl_b64 s[4:5], s[4:5], 3
	v_cmp_gt_i32_e32 vcc_lo, s11, v1
	s_add_u32 s1, s4, s18
	s_addc_u32 s3, s5, s19
	s_cmpk_lg_i32 s9, 0xd5
	v_mov_b32_e32 v0, 0
	s_cselect_b32 s0, -1, 0
	s_add_i32 s10, s11, -2
	s_and_b32 s20, s0, vcc_lo
	s_add_u32 s4, s1, 8
	s_addc_u32 s5, s3, 0
	s_ashr_i32 s35, s34, 31
	s_ashr_i32 s39, s38, 31
	v_cmp_eq_u32_e32 vcc_lo, 0, v1
	v_cmp_lt_i64_e64 s0, s[34:35], s[38:39]
	v_mov_b32_e32 v2, v1
	s_mov_b32 s7, 0
	s_delay_alu instid0(SALU_CYCLE_1) | instskip(NEXT) | instid1(VALU_DEP_2)
	s_mov_b32 s6, s7
	s_and_b32 s0, s0, exec_lo
	s_cselect_b32 s9, s35, s39
	s_cselect_b32 s8, s34, s38
	s_delay_alu instid0(SALU_CYCLE_1)
	s_lshl_b64 s[8:9], s[8:9], 3
	s_branch .LBB44_128
.LBB44_127:                             ;   in Loop: Header=BB44_128 Depth=1
	s_or_b32 exec_lo, exec_lo, s18
	v_add_nc_u32_e32 v2, s15, v2
	s_add_u32 s4, s4, 8
	s_addc_u32 s5, s5, 0
	s_cmp_lg_u32 s6, s10
	s_mov_b32 s6, s21
	s_waitcnt_vscnt null, 0x0
	s_barrier
	buffer_gl0_inv
	s_cbranch_scc0 .LBB44_136
.LBB44_128:                             ; =>This Loop Header: Depth=1
                                        ;     Child Loop BB44_129 Depth 2
                                        ;     Child Loop BB44_135 Depth 2
	s_lshl_b64 s[12:13], s[6:7], 3
	s_mov_b64 s[18:19], s[4:5]
	s_add_u32 s16, s1, s12
	s_addc_u32 s17, s3, s13
	s_add_i32 s21, s6, 1
	global_load_b64 v[3:4], v0, s[16:17]
	s_mov_b32 s12, s6
	s_mov_b32 s13, s21
.LBB44_129:                             ;   Parent Loop BB44_128 Depth=1
                                        ; =>  This Inner Loop Header: Depth=2
	global_load_b64 v[5:6], v0, s[18:19]
	s_waitcnt vmcnt(0)
	v_cmp_lt_f64_e64 s0, v[5:6], v[3:4]
	s_delay_alu instid0(VALU_DEP_1)
	s_and_b32 s22, s0, exec_lo
	v_cndmask_b32_e64 v4, v4, v6, s0
	v_cndmask_b32_e64 v3, v3, v5, s0
	s_cselect_b32 s12, s13, s12
	s_add_i32 s13, s13, 1
	s_add_u32 s18, s18, 8
	s_addc_u32 s19, s19, 0
	s_cmp_lt_i32 s13, s11
	s_cbranch_scc1 .LBB44_129
; %bb.130:                              ;   in Loop: Header=BB44_128 Depth=1
	s_cmp_lg_u32 s12, s6
	s_cselect_b32 s0, -1, 0
	s_barrier
	s_and_b32 s0, s2, s0
	buffer_gl0_inv
	s_and_saveexec_b32 s18, s0
	s_cbranch_execz .LBB44_127
; %bb.131:                              ;   in Loop: Header=BB44_128 Depth=1
	s_and_saveexec_b32 s0, vcc_lo
	s_cbranch_execz .LBB44_133
; %bb.132:                              ;   in Loop: Header=BB44_128 Depth=1
	global_load_b64 v[5:6], v0, s[16:17]
	s_ashr_i32 s13, s12, 31
	s_delay_alu instid0(SALU_CYCLE_1) | instskip(NEXT) | instid1(SALU_CYCLE_1)
	s_lshl_b64 s[22:23], s[12:13], 3
	s_add_u32 s22, s1, s22
	s_addc_u32 s23, s3, s23
	s_waitcnt vmcnt(0)
	s_clause 0x1
	global_store_b64 v0, v[5:6], s[22:23]
	global_store_b64 v0, v[3:4], s[16:17]
.LBB44_133:                             ;   in Loop: Header=BB44_128 Depth=1
	s_or_b32 exec_lo, exec_lo, s0
	s_delay_alu instid0(SALU_CYCLE_1)
	s_and_b32 exec_lo, exec_lo, s20
	s_cbranch_execz .LBB44_127
; %bb.134:                              ;   in Loop: Header=BB44_128 Depth=1
	v_mad_u64_u32 v[5:6], null, s12, s15, v[1:2]
	v_ashrrev_i32_e32 v3, 31, v2
	v_mov_b32_e32 v7, v1
	s_mov_b32 s16, 0
	s_mov_b64 s[12:13], s[24:25]
	s_delay_alu instid0(VALU_DEP_2) | instskip(NEXT) | instid1(VALU_DEP_4)
	v_lshlrev_b64 v[3:4], 3, v[2:3]
	v_ashrrev_i32_e32 v6, 31, v5
	s_delay_alu instid0(VALU_DEP_1)
	v_lshlrev_b64 v[5:6], 3, v[5:6]
	.p2align	6
.LBB44_135:                             ;   Parent Loop BB44_128 Depth=1
                                        ; =>  This Inner Loop Header: Depth=2
	s_delay_alu instid0(VALU_DEP_3) | instskip(NEXT) | instid1(VALU_DEP_1)
	v_add_co_u32 v8, s0, s12, v3
	v_add_co_ci_u32_e64 v9, s0, s13, v4, s0
	s_delay_alu instid0(VALU_DEP_3) | instskip(NEXT) | instid1(VALU_DEP_1)
	v_add_co_u32 v10, s0, s12, v5
	v_add_co_ci_u32_e64 v11, s0, s13, v6, s0
	v_add_nc_u32_e32 v7, s14, v7
	s_clause 0x1
	global_load_b64 v[12:13], v[8:9], off
	global_load_b64 v[14:15], v[10:11], off
	s_add_u32 s12, s12, s8
	s_addc_u32 s13, s13, s9
	v_cmp_le_i32_e64 s0, s11, v7
	s_waitcnt vmcnt(1)
	global_store_b64 v[10:11], v[12:13], off
	s_waitcnt vmcnt(0)
	global_store_b64 v[8:9], v[14:15], off
	s_or_b32 s16, s0, s16
	s_delay_alu instid0(SALU_CYCLE_1)
	s_and_not1_b32 exec_lo, exec_lo, s16
	s_cbranch_execnz .LBB44_135
	s_branch .LBB44_127
.LBB44_136:
	s_endpgm
	.section	.rodata,"a",@progbits
	.p2align	6, 0x0
	.amdhsa_kernel _ZN9rocsolver6v33100L18syevj_small_kernelIddPdEEv14rocblas_esort_14rocblas_evect_13rocblas_fill_iT1_iilT0_S7_PS7_iPiS8_lS9_PT_
		.amdhsa_group_segment_fixed_size 0
		.amdhsa_private_segment_fixed_size 0
		.amdhsa_kernarg_size 112
		.amdhsa_user_sgpr_count 14
		.amdhsa_user_sgpr_dispatch_ptr 0
		.amdhsa_user_sgpr_queue_ptr 0
		.amdhsa_user_sgpr_kernarg_segment_ptr 1
		.amdhsa_user_sgpr_dispatch_id 0
		.amdhsa_user_sgpr_private_segment_size 0
		.amdhsa_wavefront_size32 1
		.amdhsa_uses_dynamic_stack 0
		.amdhsa_enable_private_segment 0
		.amdhsa_system_sgpr_workgroup_id_x 1
		.amdhsa_system_sgpr_workgroup_id_y 0
		.amdhsa_system_sgpr_workgroup_id_z 1
		.amdhsa_system_sgpr_workgroup_info 0
		.amdhsa_system_vgpr_workitem_id 0
		.amdhsa_next_free_vgpr 42
		.amdhsa_next_free_sgpr 65
		.amdhsa_reserve_vcc 1
		.amdhsa_float_round_mode_32 0
		.amdhsa_float_round_mode_16_64 0
		.amdhsa_float_denorm_mode_32 3
		.amdhsa_float_denorm_mode_16_64 3
		.amdhsa_dx10_clamp 1
		.amdhsa_ieee_mode 1
		.amdhsa_fp16_overflow 0
		.amdhsa_workgroup_processor_mode 1
		.amdhsa_memory_ordered 1
		.amdhsa_forward_progress 0
		.amdhsa_shared_vgpr_count 0
		.amdhsa_exception_fp_ieee_invalid_op 0
		.amdhsa_exception_fp_denorm_src 0
		.amdhsa_exception_fp_ieee_div_zero 0
		.amdhsa_exception_fp_ieee_overflow 0
		.amdhsa_exception_fp_ieee_underflow 0
		.amdhsa_exception_fp_ieee_inexact 0
		.amdhsa_exception_int_div_zero 0
	.end_amdhsa_kernel
	.section	.text._ZN9rocsolver6v33100L18syevj_small_kernelIddPdEEv14rocblas_esort_14rocblas_evect_13rocblas_fill_iT1_iilT0_S7_PS7_iPiS8_lS9_PT_,"axG",@progbits,_ZN9rocsolver6v33100L18syevj_small_kernelIddPdEEv14rocblas_esort_14rocblas_evect_13rocblas_fill_iT1_iilT0_S7_PS7_iPiS8_lS9_PT_,comdat
.Lfunc_end44:
	.size	_ZN9rocsolver6v33100L18syevj_small_kernelIddPdEEv14rocblas_esort_14rocblas_evect_13rocblas_fill_iT1_iilT0_S7_PS7_iPiS8_lS9_PT_, .Lfunc_end44-_ZN9rocsolver6v33100L18syevj_small_kernelIddPdEEv14rocblas_esort_14rocblas_evect_13rocblas_fill_iT1_iilT0_S7_PS7_iPiS8_lS9_PT_
                                        ; -- End function
	.section	.AMDGPU.csdata,"",@progbits
; Kernel info:
; codeLenInByte = 8044
; NumSgprs: 67
; NumVgprs: 42
; ScratchSize: 0
; MemoryBound: 0
; FloatMode: 240
; IeeeMode: 1
; LDSByteSize: 0 bytes/workgroup (compile time only)
; SGPRBlocks: 8
; VGPRBlocks: 5
; NumSGPRsForWavesPerEU: 67
; NumVGPRsForWavesPerEU: 42
; Occupancy: 16
; WaveLimiterHint : 0
; COMPUTE_PGM_RSRC2:SCRATCH_EN: 0
; COMPUTE_PGM_RSRC2:USER_SGPR: 14
; COMPUTE_PGM_RSRC2:TRAP_HANDLER: 0
; COMPUTE_PGM_RSRC2:TGID_X_EN: 1
; COMPUTE_PGM_RSRC2:TGID_Y_EN: 0
; COMPUTE_PGM_RSRC2:TGID_Z_EN: 1
; COMPUTE_PGM_RSRC2:TIDIG_COMP_CNT: 0
	.section	.text._ZN9rocsolver6v33100L10syevj_initIddPdEEv14rocblas_evect_13rocblas_fill_iiT1_iilT0_PS6_PT_S7_PiSA_SA_,"axG",@progbits,_ZN9rocsolver6v33100L10syevj_initIddPdEEv14rocblas_evect_13rocblas_fill_iiT1_iilT0_PS6_PT_S7_PiSA_SA_,comdat
	.globl	_ZN9rocsolver6v33100L10syevj_initIddPdEEv14rocblas_evect_13rocblas_fill_iiT1_iilT0_PS6_PT_S7_PiSA_SA_ ; -- Begin function _ZN9rocsolver6v33100L10syevj_initIddPdEEv14rocblas_evect_13rocblas_fill_iiT1_iilT0_PS6_PT_S7_PiSA_SA_
	.p2align	8
	.type	_ZN9rocsolver6v33100L10syevj_initIddPdEEv14rocblas_evect_13rocblas_fill_iiT1_iilT0_PS6_PT_S7_PiSA_SA_,@function
_ZN9rocsolver6v33100L10syevj_initIddPdEEv14rocblas_evect_13rocblas_fill_iiT1_iilT0_PS6_PT_S7_PiSA_SA_: ; @_ZN9rocsolver6v33100L10syevj_initIddPdEEv14rocblas_evect_13rocblas_fill_iiT1_iilT0_PS6_PT_S7_PiSA_SA_
; %bb.0:
	s_mov_b32 s24, s15
	s_clause 0x2
	s_load_b32 s26, s[0:1], 0x6c
	s_load_b256 s[16:23], s[0:1], 0x0
	s_load_b512 s[0:15], s[0:1], 0x20
	s_ashr_i32 s25, s24, 31
	s_waitcnt lgkmcnt(0)
	s_and_b32 s33, s26, 0xffff
	s_ashr_i32 s27, s22, 31
	s_mul_i32 s1, s24, s1
	s_mul_hi_u32 s26, s24, s0
	s_mul_i32 s28, s25, s0
	s_add_i32 s1, s26, s1
	s_mul_i32 s0, s24, s0
	s_add_i32 s1, s1, s28
	s_mov_b32 s26, s22
	s_lshl_b64 s[30:31], s[0:1], 3
	s_mul_i32 s0, s24, s19
	s_add_u32 s1, s20, s30
	s_addc_u32 s28, s21, s31
	s_lshl_b64 s[34:35], s[26:27], 3
	s_mul_i32 s0, s0, s19
	s_add_u32 s22, s1, s34
	s_addc_u32 s36, s28, s35
	s_ashr_i32 s1, s0, 31
	s_delay_alu instid0(SALU_CYCLE_1)
	s_lshl_b64 s[26:27], s[0:1], 3
	v_cmp_gt_i32_e64 s0, s19, v0
	s_add_u32 s37, s6, s26
	s_addc_u32 s38, s7, s27
	s_cmpk_eq_i32 s17, 0x79
	s_cbranch_scc1 .LBB45_12
; %bb.1:
	v_mov_b32_e32 v1, 0
	v_mov_b32_e32 v2, 0
	s_delay_alu instid0(VALU_DEP_1)
	v_dual_mov_b32 v4, v2 :: v_dual_mov_b32 v3, v1
	s_and_saveexec_b32 s17, s0
	s_cbranch_execz .LBB45_14
; %bb.2:
	s_add_i32 s39, s19, 1
	v_dual_mov_b32 v12, 0x3ff00000 :: v_dual_lshlrev_b32 v1, 3, v0
	s_cmpk_lg_i32 s16, 0xd5
	s_mov_b32 s28, s19
	s_cselect_b32 s40, -1, 0
	s_add_u32 s42, s6, s26
	s_addc_u32 s43, s7, s27
	s_ashr_i32 s29, s19, 31
	v_add_co_u32 v7, s1, s42, v1
	s_lshl_b32 s45, s33, 3
	s_lshl_b64 s[28:29], s[28:29], 3
	v_add_co_ci_u32_e64 v8, null, s43, 0, s1
	s_add_u32 s1, s30, s34
	s_addc_u32 s30, s31, s35
	s_add_u32 s1, s20, s1
	v_mul_lo_u32 v24, v0, s23
	v_add_co_u32 v9, s1, s1, v1
	v_mov_b32_e32 v1, 0
	v_dual_mov_b32 v2, 0 :: v_dual_mov_b32 v11, 0
	v_mul_lo_u32 v5, v0, s19
	s_addc_u32 s20, s21, s30
	v_mov_b32_e32 v13, v0
	v_add_co_ci_u32_e64 v10, null, s20, 0, s1
	v_dual_mov_b32 v4, v2 :: v_dual_mov_b32 v3, v1
	s_ashr_i32 s31, s23, 31
	s_mov_b32 s30, s23
	s_mul_i32 s41, s23, s33
	s_mul_i32 s44, s19, s33
	s_mov_b32 s20, 0
	s_lshl_b64 s[30:31], s[30:31], 3
	s_mov_b32 s34, 0
	s_branch .LBB45_5
.LBB45_3:                               ;   in Loop: Header=BB45_5 Depth=1
	s_set_inst_prefetch_distance 0x2
	s_or_b32 exec_lo, exec_lo, s46
.LBB45_4:                               ;   in Loop: Header=BB45_5 Depth=1
	s_delay_alu instid0(SALU_CYCLE_1) | instskip(SKIP_4) | instid1(VALU_DEP_3)
	s_or_b32 exec_lo, exec_lo, s35
	v_fma_f64 v[1:2], v[14:15], v[14:15], v[1:2]
	v_add_nc_u32_e32 v13, s33, v13
	v_add_co_u32 v7, vcc_lo, v7, s45
	v_add_co_ci_u32_e32 v8, vcc_lo, 0, v8, vcc_lo
	v_cmp_le_i32_e32 vcc_lo, s19, v13
	v_add_co_u32 v9, s1, v9, s45
	v_add_nc_u32_e32 v24, s41, v24
	v_add_nc_u32_e32 v5, s44, v5
	v_add_co_ci_u32_e64 v10, s1, 0, v10, s1
	s_or_b32 s34, vcc_lo, s34
	s_delay_alu instid0(SALU_CYCLE_1)
	s_and_not1_b32 exec_lo, exec_lo, s34
	s_cbranch_execz .LBB45_13
.LBB45_5:                               ; =>This Loop Header: Depth=1
                                        ;     Child Loop BB45_10 Depth 2
	v_mad_u64_u32 v[14:15], null, v13, s23, v[13:14]
	v_mul_lo_u32 v18, v13, s39
	s_delay_alu instid0(VALU_DEP_2) | instskip(NEXT) | instid1(VALU_DEP_2)
	v_ashrrev_i32_e32 v15, 31, v14
	v_ashrrev_i32_e32 v19, 31, v18
	s_delay_alu instid0(VALU_DEP_2) | instskip(NEXT) | instid1(VALU_DEP_2)
	v_lshlrev_b64 v[14:15], 3, v[14:15]
	v_lshlrev_b64 v[18:19], 3, v[18:19]
	s_delay_alu instid0(VALU_DEP_2) | instskip(NEXT) | instid1(VALU_DEP_3)
	v_add_co_u32 v16, vcc_lo, s22, v14
	v_add_co_ci_u32_e32 v17, vcc_lo, s36, v15, vcc_lo
	s_delay_alu instid0(VALU_DEP_3) | instskip(NEXT) | instid1(VALU_DEP_4)
	v_add_co_u32 v18, vcc_lo, s37, v18
	v_add_co_ci_u32_e32 v19, vcc_lo, s38, v19, vcc_lo
	global_load_b64 v[14:15], v[16:17], off
	s_and_not1_b32 vcc_lo, exec_lo, s40
	s_waitcnt vmcnt(0)
	global_store_b64 v[18:19], v[14:15], off
	s_cbranch_vccnz .LBB45_7
; %bb.6:                                ;   in Loop: Header=BB45_5 Depth=1
	global_store_b64 v[16:17], v[11:12], off
.LBB45_7:                               ;   in Loop: Header=BB45_5 Depth=1
	s_mov_b32 s35, exec_lo
	v_cmpx_ne_u32_e32 0, v13
	s_cbranch_execz .LBB45_4
; %bb.8:                                ;   in Loop: Header=BB45_5 Depth=1
	v_ashrrev_i32_e32 v6, 31, v5
	v_dual_mov_b32 v17, v10 :: v_dual_mov_b32 v16, v9
	v_dual_mov_b32 v21, v8 :: v_dual_mov_b32 v20, v7
	s_delay_alu instid0(VALU_DEP_3) | instskip(SKIP_2) | instid1(VALU_DEP_1)
	v_lshlrev_b64 v[18:19], 3, v[5:6]
	s_mov_b32 s46, 0
	s_mov_b32 s47, 0
	v_add_co_u32 v18, vcc_lo, s42, v18
	s_delay_alu instid0(VALU_DEP_2)
	v_add_co_ci_u32_e32 v19, vcc_lo, s43, v19, vcc_lo
	s_set_inst_prefetch_distance 0x1
	s_branch .LBB45_10
	.p2align	6
.LBB45_9:                               ;   in Loop: Header=BB45_10 Depth=2
	v_mul_f64 v[22:23], v[22:23], v[22:23]
	v_add_co_u32 v18, vcc_lo, v18, 8
	v_add_co_ci_u32_e32 v19, vcc_lo, 0, v19, vcc_lo
	v_add_co_u32 v20, vcc_lo, v20, s28
	s_add_i32 s47, s47, 1
	v_add_co_ci_u32_e32 v21, vcc_lo, s29, v21, vcc_lo
	v_cmp_ge_u32_e32 vcc_lo, s47, v13
	v_add_co_u32 v16, s1, v16, s30
	s_delay_alu instid0(VALU_DEP_1)
	v_add_co_ci_u32_e64 v17, s1, s31, v17, s1
	s_or_b32 s46, vcc_lo, s46
	v_fma_f64 v[3:4], v[22:23], 2.0, v[3:4]
	s_and_not1_b32 exec_lo, exec_lo, s46
	s_cbranch_execz .LBB45_3
.LBB45_10:                              ;   Parent Loop BB45_5 Depth=1
                                        ; =>  This Inner Loop Header: Depth=2
	global_load_b64 v[22:23], v[16:17], off
	s_and_not1_b32 vcc_lo, exec_lo, s40
	s_waitcnt vmcnt(0)
	global_store_b64 v[20:21], v[22:23], off
	global_store_b64 v[18:19], v[22:23], off
	s_cbranch_vccnz .LBB45_9
; %bb.11:                               ;   in Loop: Header=BB45_10 Depth=2
	s_mov_b32 s21, s20
	s_delay_alu instid0(SALU_CYCLE_1) | instskip(SKIP_1) | instid1(VALU_DEP_2)
	v_dual_mov_b32 v28, s21 :: v_dual_add_nc_u32 v25, s47, v24
	v_mov_b32_e32 v27, s20
	v_ashrrev_i32_e32 v26, 31, v25
	s_delay_alu instid0(VALU_DEP_1) | instskip(NEXT) | instid1(VALU_DEP_1)
	v_lshlrev_b64 v[25:26], 3, v[25:26]
	v_add_co_u32 v25, vcc_lo, s22, v25
	s_delay_alu instid0(VALU_DEP_2)
	v_add_co_ci_u32_e32 v26, vcc_lo, s36, v26, vcc_lo
	global_store_b64 v[16:17], v[27:28], off
	global_store_b64 v[25:26], v[27:28], off
	s_branch .LBB45_9
.LBB45_12:
                                        ; implicit-def: $vgpr1_vgpr2
                                        ; implicit-def: $vgpr3_vgpr4
	s_branch .LBB45_15
.LBB45_13:
	s_or_b32 exec_lo, exec_lo, s34
.LBB45_14:
	s_delay_alu instid0(SALU_CYCLE_1)
	s_or_b32 exec_lo, exec_lo, s17
	s_cbranch_execnz .LBB45_28
.LBB45_15:
	v_mov_b32_e32 v1, 0
	v_mov_b32_e32 v2, 0
	s_delay_alu instid0(VALU_DEP_1)
	v_dual_mov_b32 v4, v2 :: v_dual_mov_b32 v3, v1
	s_and_saveexec_b32 s1, s0
	s_cbranch_execz .LBB45_27
; %bb.16:
	s_add_i32 s17, s19, 1
	s_cmpk_lg_i32 s16, 0xd5
	v_mul_lo_u32 v23, v0, s23
	s_cselect_b32 s20, -1, 0
	s_add_i32 s16, s19, -1
	v_mov_b32_e32 v11, v0
	v_mad_u64_u32 v[5:6], null, s23, s16, v[0:1]
	v_mad_u64_u32 v[6:7], null, s19, s16, v[0:1]
	v_dual_mov_b32 v1, 0 :: v_dual_mov_b32 v10, 0x3ff00000
	v_dual_mov_b32 v2, 0 :: v_dual_mov_b32 v9, 0
	v_mad_u64_u32 v[7:8], null, s19, v0, s[16:17]
	s_add_u32 s21, s6, s26
	s_delay_alu instid0(VALU_DEP_2)
	v_dual_mov_b32 v4, v2 :: v_dual_mov_b32 v3, v1
	s_addc_u32 s26, s7, s27
	s_mul_i32 s27, s19, s33
	s_mul_i32 s28, s23, s33
	s_mov_b32 s6, 0
	s_mov_b32 s29, 0
	s_branch .LBB45_19
.LBB45_17:                              ;   in Loop: Header=BB45_19 Depth=1
	s_or_b32 exec_lo, exec_lo, s31
.LBB45_18:                              ;   in Loop: Header=BB45_19 Depth=1
	s_delay_alu instid0(SALU_CYCLE_1)
	s_or_b32 exec_lo, exec_lo, s30
	v_fma_f64 v[1:2], v[12:13], v[12:13], v[1:2]
	v_add_nc_u32_e32 v11, s33, v11
	v_add_nc_u32_e32 v5, s33, v5
	;; [unrolled: 1-line block ×5, first 2 shown]
	v_cmp_le_i32_e32 vcc_lo, s19, v11
	s_or_b32 s29, vcc_lo, s29
	s_delay_alu instid0(SALU_CYCLE_1)
	s_and_not1_b32 exec_lo, exec_lo, s29
	s_cbranch_execz .LBB45_26
.LBB45_19:                              ; =>This Loop Header: Depth=1
                                        ;     Child Loop BB45_24 Depth 2
	v_mad_u64_u32 v[12:13], null, v11, s23, v[11:12]
	v_mul_lo_u32 v16, v11, s17
	s_delay_alu instid0(VALU_DEP_2) | instskip(NEXT) | instid1(VALU_DEP_2)
	v_ashrrev_i32_e32 v13, 31, v12
	v_ashrrev_i32_e32 v17, 31, v16
	s_delay_alu instid0(VALU_DEP_2) | instskip(NEXT) | instid1(VALU_DEP_2)
	v_lshlrev_b64 v[12:13], 3, v[12:13]
	v_lshlrev_b64 v[16:17], 3, v[16:17]
	s_delay_alu instid0(VALU_DEP_2) | instskip(NEXT) | instid1(VALU_DEP_3)
	v_add_co_u32 v14, vcc_lo, s22, v12
	v_add_co_ci_u32_e32 v15, vcc_lo, s36, v13, vcc_lo
	s_delay_alu instid0(VALU_DEP_3) | instskip(NEXT) | instid1(VALU_DEP_4)
	v_add_co_u32 v16, vcc_lo, s37, v16
	v_add_co_ci_u32_e32 v17, vcc_lo, s38, v17, vcc_lo
	global_load_b64 v[12:13], v[14:15], off
	s_and_not1_b32 vcc_lo, exec_lo, s20
	s_waitcnt vmcnt(0)
	global_store_b64 v[16:17], v[12:13], off
	s_cbranch_vccnz .LBB45_21
; %bb.20:                               ;   in Loop: Header=BB45_19 Depth=1
	global_store_b64 v[14:15], v[9:10], off
.LBB45_21:                              ;   in Loop: Header=BB45_19 Depth=1
	s_mov_b32 s30, exec_lo
	v_cmpx_gt_i32_e64 s16, v11
	s_cbranch_execz .LBB45_18
; %bb.22:                               ;   in Loop: Header=BB45_19 Depth=1
	v_ashrrev_i32_e32 v8, 31, v7
	v_mov_b32_e32 v14, v6
	v_mov_b32_e32 v18, v5
	s_mov_b32 s31, 0
	s_mov_b32 s34, s16
	v_lshlrev_b64 v[16:17], 3, v[7:8]
	s_delay_alu instid0(VALU_DEP_1) | instskip(NEXT) | instid1(VALU_DEP_2)
	v_add_co_u32 v16, vcc_lo, s21, v16
	v_add_co_ci_u32_e32 v17, vcc_lo, s26, v17, vcc_lo
	s_branch .LBB45_24
.LBB45_23:                              ;   in Loop: Header=BB45_24 Depth=2
	v_mul_f64 v[19:20], v[21:22], v[21:22]
	s_add_i32 s34, s34, -1
	v_add_co_u32 v16, s0, v16, -8
	v_cmp_le_i32_e32 vcc_lo, s34, v11
	v_subrev_nc_u32_e32 v18, s23, v18
	v_subrev_nc_u32_e32 v14, s19, v14
	v_add_co_ci_u32_e64 v17, s0, -1, v17, s0
	s_or_b32 s31, vcc_lo, s31
	v_fma_f64 v[3:4], v[19:20], 2.0, v[3:4]
	s_and_not1_b32 exec_lo, exec_lo, s31
	s_cbranch_execz .LBB45_17
.LBB45_24:                              ;   Parent Loop BB45_19 Depth=1
                                        ; =>  This Inner Loop Header: Depth=2
	v_ashrrev_i32_e32 v19, 31, v18
	v_ashrrev_i32_e32 v15, 31, v14
	s_delay_alu instid0(VALU_DEP_2) | instskip(NEXT) | instid1(VALU_DEP_2)
	v_lshlrev_b64 v[19:20], 3, v[18:19]
	v_lshlrev_b64 v[24:25], 3, v[14:15]
	s_delay_alu instid0(VALU_DEP_2) | instskip(NEXT) | instid1(VALU_DEP_3)
	v_add_co_u32 v19, vcc_lo, s22, v19
	v_add_co_ci_u32_e32 v20, vcc_lo, s36, v20, vcc_lo
	s_delay_alu instid0(VALU_DEP_3) | instskip(NEXT) | instid1(VALU_DEP_4)
	v_add_co_u32 v24, vcc_lo, s37, v24
	v_add_co_ci_u32_e32 v25, vcc_lo, s38, v25, vcc_lo
	global_load_b64 v[21:22], v[19:20], off
	s_and_not1_b32 vcc_lo, exec_lo, s20
	s_waitcnt vmcnt(0)
	global_store_b64 v[24:25], v[21:22], off
	global_store_b64 v[16:17], v[21:22], off
	s_cbranch_vccnz .LBB45_23
; %bb.25:                               ;   in Loop: Header=BB45_24 Depth=2
	s_mov_b32 s7, s6
	s_delay_alu instid0(SALU_CYCLE_1) | instskip(SKIP_1) | instid1(VALU_DEP_2)
	v_dual_mov_b32 v27, s7 :: v_dual_add_nc_u32 v24, s34, v23
	v_mov_b32_e32 v26, s6
	v_ashrrev_i32_e32 v25, 31, v24
	s_delay_alu instid0(VALU_DEP_1) | instskip(NEXT) | instid1(VALU_DEP_1)
	v_lshlrev_b64 v[24:25], 3, v[24:25]
	v_add_co_u32 v24, vcc_lo, s22, v24
	s_delay_alu instid0(VALU_DEP_2)
	v_add_co_ci_u32_e32 v25, vcc_lo, s36, v25, vcc_lo
	s_clause 0x1
	global_store_b64 v[19:20], v[26:27], off
	global_store_b64 v[24:25], v[26:27], off
	s_branch .LBB45_23
.LBB45_26:
	s_or_b32 exec_lo, exec_lo, s29
.LBB45_27:
	s_delay_alu instid0(SALU_CYCLE_1)
	s_or_b32 exec_lo, exec_lo, s1
.LBB45_28:
	v_lshlrev_b32_e32 v5, 3, v0
	s_lshl_b32 s1, s33, 3
	s_mov_b32 s0, exec_lo
	s_delay_alu instid0(VALU_DEP_1)
	v_add_nc_u32_e32 v6, 0, v5
	v_add3_u32 v5, 0, s1, v5
	ds_store_b64 v6, v[3:4]
	ds_store_b64 v5, v[1:2]
	s_waitcnt lgkmcnt(0)
	s_waitcnt_vscnt null, 0x0
	s_barrier
	buffer_gl0_inv
	v_cmpx_eq_u32_e32 0, v0
	s_cbranch_execz .LBB45_40
; %bb.29:
	s_min_i32 s6, s33, s19
	s_delay_alu instid0(SALU_CYCLE_1)
	s_cmp_lt_i32 s6, 2
	s_cbranch_scc1 .LBB45_37
; %bb.30:
	s_add_i32 s7, s6, -2
	s_add_i32 s6, s6, -1
	s_cmp_lt_u32 s7, 7
	s_cbranch_scc1 .LBB45_34
; %bb.31:
	s_and_b32 s7, s6, -8
	s_mov_b32 s17, 0
	s_add_i32 s16, 0, 8
.LBB45_32:                              ; =>This Inner Loop Header: Depth=1
	s_delay_alu instid0(SALU_CYCLE_1) | instskip(NEXT) | instid1(SALU_CYCLE_1)
	s_add_i32 s19, s16, s1
	v_dual_mov_b32 v21, s16 :: v_dual_mov_b32 v22, s19
	s_mov_b32 s19, s17
	s_add_i32 s17, s17, 8
	s_add_i32 s16, s16, 64
	ds_load_2addr_b64 v[5:8], v21 offset1:1
	ds_load_2addr_b64 v[9:12], v22 offset1:1
	ds_load_2addr_b64 v[13:16], v21 offset0:2 offset1:3
	ds_load_2addr_b64 v[17:20], v22 offset0:2 offset1:3
	s_cmp_lg_u32 s7, s17
	s_waitcnt lgkmcnt(3)
	v_add_f64 v[3:4], v[3:4], v[5:6]
	s_waitcnt lgkmcnt(2)
	v_add_f64 v[1:2], v[1:2], v[9:10]
	s_delay_alu instid0(VALU_DEP_2) | instskip(NEXT) | instid1(VALU_DEP_2)
	v_add_f64 v[3:4], v[3:4], v[7:8]
	v_add_f64 v[1:2], v[1:2], v[11:12]
	s_waitcnt lgkmcnt(1)
	s_delay_alu instid0(VALU_DEP_2) | instskip(SKIP_1) | instid1(VALU_DEP_2)
	v_add_f64 v[3:4], v[3:4], v[13:14]
	s_waitcnt lgkmcnt(0)
	v_add_f64 v[1:2], v[1:2], v[17:18]
	s_delay_alu instid0(VALU_DEP_2) | instskip(NEXT) | instid1(VALU_DEP_2)
	v_add_f64 v[17:18], v[3:4], v[15:16]
	v_add_f64 v[19:20], v[1:2], v[19:20]
	ds_load_2addr_b64 v[1:4], v21 offset0:4 offset1:5
	ds_load_2addr_b64 v[5:8], v22 offset0:4 offset1:5
	;; [unrolled: 1-line block ×4, first 2 shown]
	s_waitcnt lgkmcnt(3)
	v_add_f64 v[1:2], v[17:18], v[1:2]
	s_waitcnt lgkmcnt(2)
	v_add_f64 v[5:6], v[19:20], v[5:6]
	s_delay_alu instid0(VALU_DEP_2) | instskip(NEXT) | instid1(VALU_DEP_2)
	v_add_f64 v[1:2], v[1:2], v[3:4]
	v_add_f64 v[3:4], v[5:6], v[7:8]
	s_waitcnt lgkmcnt(1)
	s_delay_alu instid0(VALU_DEP_2) | instskip(SKIP_1) | instid1(VALU_DEP_2)
	v_add_f64 v[1:2], v[1:2], v[9:10]
	s_waitcnt lgkmcnt(0)
	v_add_f64 v[5:6], v[3:4], v[13:14]
	s_delay_alu instid0(VALU_DEP_2) | instskip(NEXT) | instid1(VALU_DEP_2)
	v_add_f64 v[3:4], v[1:2], v[11:12]
	v_add_f64 v[1:2], v[5:6], v[15:16]
	s_cbranch_scc1 .LBB45_32
; %bb.33:
	s_add_i32 s7, s19, 9
	s_and_b32 s6, s6, 7
	s_delay_alu instid0(SALU_CYCLE_1)
	s_cmp_eq_u32 s6, 0
	s_cbranch_scc0 .LBB45_35
	s_branch .LBB45_37
.LBB45_34:
	s_mov_b32 s7, 1
	s_and_b32 s6, s6, 7
	s_delay_alu instid0(SALU_CYCLE_1)
	s_cmp_eq_u32 s6, 0
	s_cbranch_scc1 .LBB45_37
.LBB45_35:
	s_lshl_b32 s7, s7, 3
	s_delay_alu instid0(SALU_CYCLE_1)
	s_add_i32 s7, s7, 0
.LBB45_36:                              ; =>This Inner Loop Header: Depth=1
	s_delay_alu instid0(SALU_CYCLE_1)
	s_add_i32 s16, s7, s1
	v_mov_b32_e32 v5, s7
	v_mov_b32_e32 v7, s16
	s_add_i32 s6, s6, -1
	s_add_i32 s7, s7, 8
	s_cmp_lg_u32 s6, 0
	ds_load_b64 v[5:6], v5
	ds_load_b64 v[7:8], v7
	s_waitcnt lgkmcnt(1)
	v_add_f64 v[3:4], v[3:4], v[5:6]
	s_waitcnt lgkmcnt(0)
	v_add_f64 v[1:2], v[1:2], v[7:8]
	s_cbranch_scc1 .LBB45_36
.LBB45_37:
	s_delay_alu instid0(VALU_DEP_1) | instskip(NEXT) | instid1(VALU_DEP_1)
	v_add_f64 v[1:2], v[3:4], v[1:2]
	v_mul_f64 v[1:2], v[1:2], s[2:3]
	s_delay_alu instid0(VALU_DEP_1)
	v_mul_f64 v[5:6], v[1:2], s[2:3]
	s_lshl_b64 s[2:3], s[24:25], 3
	v_mov_b32_e32 v1, 0
	s_add_u32 s6, s8, s2
	s_addc_u32 s7, s9, s3
	s_add_u32 s2, s4, s2
	s_addc_u32 s3, s5, s3
	s_clause 0x1
	global_store_b64 v1, v[5:6], s[6:7]
	global_store_b64 v1, v[3:4], s[2:3]
	global_load_b64 v[5:6], v1, s[6:7]
	s_waitcnt vmcnt(0)
	v_cmp_lt_f64_e32 vcc_lo, v[3:4], v[5:6]
	s_and_b32 exec_lo, exec_lo, vcc_lo
	s_cbranch_execz .LBB45_40
; %bb.38:
	s_mov_b32 s1, exec_lo
	s_lshl_b64 s[2:3], s[24:25], 2
	v_mbcnt_lo_u32_b32 v2, s1, 0
	v_mov_b32_e32 v3, 1
	s_add_u32 s2, s14, s2
	s_addc_u32 s3, s15, s3
	s_delay_alu instid0(VALU_DEP_2) | instskip(SKIP_2) | instid1(SALU_CYCLE_1)
	v_cmp_eq_u32_e32 vcc_lo, 0, v2
	global_store_b32 v1, v3, s[2:3] offset:4
	s_and_b32 s2, exec_lo, vcc_lo
	s_mov_b32 exec_lo, s2
	s_cbranch_execz .LBB45_40
; %bb.39:
	s_bcnt1_i32_b32 s1, s1
	s_delay_alu instid0(SALU_CYCLE_1)
	v_dual_mov_b32 v1, 0 :: v_dual_mov_b32 v2, s1
	global_atomic_add_u32 v1, v2, s[14:15]
.LBB45_40:
	s_or_b32 exec_lo, exec_lo, s0
	s_cmp_eq_u32 s24, 0
	v_cmp_gt_i32_e32 vcc_lo, s18, v0
	s_cselect_b32 s0, -1, 0
	s_cmp_lg_u64 s[10:11], 0
	s_cselect_b32 s1, -1, 0
	s_cmp_lg_u64 s[12:13], 0
	s_cselect_b32 s2, -1, 0
	s_delay_alu instid0(SALU_CYCLE_1) | instskip(NEXT) | instid1(SALU_CYCLE_1)
	s_and_b32 s1, s1, s2
	s_and_b32 s0, s1, s0
	s_mov_b32 s1, 0
	s_and_b32 s0, s0, vcc_lo
	s_delay_alu instid0(SALU_CYCLE_1)
	s_and_saveexec_b32 s2, s0
	s_cbranch_execz .LBB45_43
; %bb.41:
	v_lshlrev_b32_e32 v1, 1, v0
	v_dual_mov_b32 v3, 0 :: v_dual_lshlrev_b32 v2, 2, v0
	s_lshl_b32 s2, s33, 1
	s_lshl_b32 s3, s33, 2
	.p2align	6
.LBB45_42:                              ; =>This Inner Loop Header: Depth=1
	s_delay_alu instid0(VALU_DEP_1)
	v_add_co_u32 v4, vcc_lo, s10, v2
	v_add_nc_u32_e32 v0, s33, v0
	v_add_co_ci_u32_e32 v5, vcc_lo, s11, v3, vcc_lo
	v_add_co_u32 v6, vcc_lo, s12, v2
	v_add_co_ci_u32_e32 v7, vcc_lo, s13, v3, vcc_lo
	v_add_co_u32 v2, vcc_lo, v2, s3
	v_cmp_le_i32_e64 s0, s18, v0
	v_add_nc_u32_e32 v8, 1, v1
	v_add_co_ci_u32_e32 v3, vcc_lo, 0, v3, vcc_lo
	global_store_b32 v[4:5], v1, off
	v_add_nc_u32_e32 v1, s2, v1
	s_or_b32 s1, s0, s1
	global_store_b32 v[6:7], v8, off
	s_and_not1_b32 exec_lo, exec_lo, s1
	s_cbranch_execnz .LBB45_42
.LBB45_43:
	s_nop 0
	s_sendmsg sendmsg(MSG_DEALLOC_VGPRS)
	s_endpgm
	.section	.rodata,"a",@progbits
	.p2align	6, 0x0
	.amdhsa_kernel _ZN9rocsolver6v33100L10syevj_initIddPdEEv14rocblas_evect_13rocblas_fill_iiT1_iilT0_PS6_PT_S7_PiSA_SA_
		.amdhsa_group_segment_fixed_size 0
		.amdhsa_private_segment_fixed_size 0
		.amdhsa_kernarg_size 352
		.amdhsa_user_sgpr_count 14
		.amdhsa_user_sgpr_dispatch_ptr 0
		.amdhsa_user_sgpr_queue_ptr 0
		.amdhsa_user_sgpr_kernarg_segment_ptr 1
		.amdhsa_user_sgpr_dispatch_id 0
		.amdhsa_user_sgpr_private_segment_size 0
		.amdhsa_wavefront_size32 1
		.amdhsa_uses_dynamic_stack 0
		.amdhsa_enable_private_segment 0
		.amdhsa_system_sgpr_workgroup_id_x 1
		.amdhsa_system_sgpr_workgroup_id_y 1
		.amdhsa_system_sgpr_workgroup_id_z 0
		.amdhsa_system_sgpr_workgroup_info 0
		.amdhsa_system_vgpr_workitem_id 0
		.amdhsa_next_free_vgpr 29
		.amdhsa_next_free_sgpr 48
		.amdhsa_reserve_vcc 1
		.amdhsa_float_round_mode_32 0
		.amdhsa_float_round_mode_16_64 0
		.amdhsa_float_denorm_mode_32 3
		.amdhsa_float_denorm_mode_16_64 3
		.amdhsa_dx10_clamp 1
		.amdhsa_ieee_mode 1
		.amdhsa_fp16_overflow 0
		.amdhsa_workgroup_processor_mode 1
		.amdhsa_memory_ordered 1
		.amdhsa_forward_progress 0
		.amdhsa_shared_vgpr_count 0
		.amdhsa_exception_fp_ieee_invalid_op 0
		.amdhsa_exception_fp_denorm_src 0
		.amdhsa_exception_fp_ieee_div_zero 0
		.amdhsa_exception_fp_ieee_overflow 0
		.amdhsa_exception_fp_ieee_underflow 0
		.amdhsa_exception_fp_ieee_inexact 0
		.amdhsa_exception_int_div_zero 0
	.end_amdhsa_kernel
	.section	.text._ZN9rocsolver6v33100L10syevj_initIddPdEEv14rocblas_evect_13rocblas_fill_iiT1_iilT0_PS6_PT_S7_PiSA_SA_,"axG",@progbits,_ZN9rocsolver6v33100L10syevj_initIddPdEEv14rocblas_evect_13rocblas_fill_iiT1_iilT0_PS6_PT_S7_PiSA_SA_,comdat
.Lfunc_end45:
	.size	_ZN9rocsolver6v33100L10syevj_initIddPdEEv14rocblas_evect_13rocblas_fill_iiT1_iilT0_PS6_PT_S7_PiSA_SA_, .Lfunc_end45-_ZN9rocsolver6v33100L10syevj_initIddPdEEv14rocblas_evect_13rocblas_fill_iiT1_iilT0_PS6_PT_S7_PiSA_SA_
                                        ; -- End function
	.section	.AMDGPU.csdata,"",@progbits
; Kernel info:
; codeLenInByte = 2344
; NumSgprs: 50
; NumVgprs: 29
; ScratchSize: 0
; MemoryBound: 0
; FloatMode: 240
; IeeeMode: 1
; LDSByteSize: 0 bytes/workgroup (compile time only)
; SGPRBlocks: 6
; VGPRBlocks: 3
; NumSGPRsForWavesPerEU: 50
; NumVGPRsForWavesPerEU: 29
; Occupancy: 16
; WaveLimiterHint : 0
; COMPUTE_PGM_RSRC2:SCRATCH_EN: 0
; COMPUTE_PGM_RSRC2:USER_SGPR: 14
; COMPUTE_PGM_RSRC2:TRAP_HANDLER: 0
; COMPUTE_PGM_RSRC2:TGID_X_EN: 1
; COMPUTE_PGM_RSRC2:TGID_Y_EN: 1
; COMPUTE_PGM_RSRC2:TGID_Z_EN: 0
; COMPUTE_PGM_RSRC2:TIDIG_COMP_CNT: 0
	.section	.text._ZN9rocsolver6v33100L17syevj_diag_kernelIddPdEEviT1_iilT0_PT_Pi,"axG",@progbits,_ZN9rocsolver6v33100L17syevj_diag_kernelIddPdEEviT1_iilT0_PT_Pi,comdat
	.globl	_ZN9rocsolver6v33100L17syevj_diag_kernelIddPdEEviT1_iilT0_PT_Pi ; -- Begin function _ZN9rocsolver6v33100L17syevj_diag_kernelIddPdEEviT1_iilT0_PT_Pi
	.p2align	8
	.type	_ZN9rocsolver6v33100L17syevj_diag_kernelIddPdEEviT1_iilT0_PT_Pi,@function
_ZN9rocsolver6v33100L17syevj_diag_kernelIddPdEEviT1_iilT0_PT_Pi: ; @_ZN9rocsolver6v33100L17syevj_diag_kernelIddPdEEviT1_iilT0_PT_Pi
; %bb.0:
	s_load_b256 s[4:11], s[0:1], 0x18
	s_mov_b32 s16, s15
	s_ashr_i32 s17, s15, 31
	s_delay_alu instid0(SALU_CYCLE_1)
	s_lshl_b64 s[2:3], s[16:17], 2
	s_waitcnt lgkmcnt(0)
	s_add_u32 s2, s10, s2
	s_addc_u32 s3, s11, s3
	s_load_b32 s2, s[2:3], 0x4
	s_waitcnt lgkmcnt(0)
	s_cmp_lg_u32 s2, 0
	s_cbranch_scc1 .LBB46_46
; %bb.1:
	s_clause 0x1
	s_load_b32 s15, s[0:1], 0x0
	s_load_b32 s10, s[0:1], 0x44
	s_add_u32 s2, s0, 56
	s_addc_u32 s3, s1, 0
	v_and_b32_e32 v19, 0x3ff, v0
	v_bfe_u32 v1, v0, 10, 10
	s_delay_alu instid0(VALU_DEP_1)
	v_max_i32_e32 v0, v19, v1
	s_waitcnt lgkmcnt(0)
	s_add_i32 s11, s15, -1
	s_and_b32 s10, s10, 0xffff
	s_lshr_b32 s12, s11, 31
	s_lshl_b32 s10, s10, 1
	s_add_i32 s11, s11, s12
	s_mul_i32 s18, s10, s14
	s_and_b32 s11, s11, -2
	s_delay_alu instid0(SALU_CYCLE_1) | instskip(NEXT) | instid1(SALU_CYCLE_1)
	s_sub_i32 s11, s11, s18
	s_add_i32 s11, s11, 2
	s_delay_alu instid0(SALU_CYCLE_1) | instskip(SKIP_2) | instid1(SALU_CYCLE_1)
	s_min_i32 s20, s10, s11
	s_mov_b32 s11, exec_lo
	s_ashr_i32 s21, s20, 1
	v_cmpx_gt_i32_e64 s21, v0
	s_cbranch_execz .LBB46_46
; %bb.2:
	s_cmp_eq_u64 s[8:9], 0
	s_mov_b64 s[12:13], 0
	s_cbranch_scc1 .LBB46_4
; %bb.3:
	s_load_b32 s2, s[2:3], 0x0
	s_waitcnt lgkmcnt(0)
	s_mul_i32 s2, s2, s16
	s_delay_alu instid0(SALU_CYCLE_1) | instskip(NEXT) | instid1(SALU_CYCLE_1)
	s_add_i32 s2, s2, s14
	s_mul_i32 s2, s10, s2
	s_delay_alu instid0(SALU_CYCLE_1) | instskip(NEXT) | instid1(SALU_CYCLE_1)
	s_mul_i32 s2, s2, s10
	s_ashr_i32 s3, s2, 31
	s_delay_alu instid0(SALU_CYCLE_1) | instskip(NEXT) | instid1(SALU_CYCLE_1)
	s_lshl_b64 s[2:3], s[2:3], 3
	s_add_u32 s12, s8, s2
	s_addc_u32 s13, s9, s3
.LBB46_4:
	v_lshlrev_b32_e32 v4, 1, v1
	v_lshlrev_b32_e32 v0, 1, v19
	s_cmp_lg_u64 s[12:13], 0
	s_cselect_b32 s14, -1, 0
	s_delay_alu instid0(VALU_DEP_2)
	v_mul_u32_u24_e32 v20, s10, v4
	v_mad_u32_u24 v21, s10, v4, s10
	s_cmp_eq_u64 s[12:13], 0
	s_cbranch_scc1 .LBB46_6
; %bb.5:
	s_delay_alu instid0(VALU_DEP_2) | instskip(NEXT) | instid1(VALU_DEP_2)
	v_add_lshl_u32 v9, v20, v0, 3
	v_dual_mov_b32 v2, 0 :: v_dual_add_nc_u32 v5, v21, v0
	v_add_co_u32 v7, s3, v21, v0
	s_mov_b32 s2, 0
	v_add_co_ci_u32_e64 v8, null, 0, 0, s3
	v_add_co_u32 v9, s3, s12, v9
	s_delay_alu instid0(VALU_DEP_1)
	v_add_co_ci_u32_e64 v10, null, s13, 0, s3
	s_mov_b32 s3, s2
	v_mov_b32_e32 v6, v2
	v_dual_mov_b32 v12, s3 :: v_dual_mov_b32 v11, s2
	v_cmp_eq_u32_e32 vcc_lo, v0, v4
	v_lshlrev_b64 v[7:8], 3, v[7:8]
	s_delay_alu instid0(VALU_DEP_4) | instskip(SKIP_1) | instid1(VALU_DEP_2)
	v_lshlrev_b64 v[5:6], 3, v[5:6]
	v_cndmask_b32_e64 v3, 0, 0x3ff00000, vcc_lo
	v_add_co_u32 v5, vcc_lo, s12, v5
	s_delay_alu instid0(VALU_DEP_3)
	v_add_co_ci_u32_e32 v6, vcc_lo, s13, v6, vcc_lo
	v_add_co_u32 v7, vcc_lo, s12, v7
	v_add_co_ci_u32_e32 v8, vcc_lo, s13, v8, vcc_lo
	s_clause 0x3
	flat_store_b64 v[9:10], v[2:3]
	flat_store_b64 v[5:6], v[11:12]
	flat_store_b64 v[9:10], v[11:12] offset:8
	flat_store_b64 v[7:8], v[2:3] offset:8
.LBB46_6:
	v_add_nc_u32_e32 v0, s18, v0
	s_lshl_b32 s8, s21, 3
	v_cmp_eq_u32_e64 s2, 0, v1
	s_add_i32 s3, s8, 0
	v_lshlrev_b32_e32 v5, 2, v19
	v_or_b32_e32 v3, 1, v0
	s_add_i32 s22, s3, s8
	s_lshl_b32 s8, s21, 2
	s_delay_alu instid0(SALU_CYCLE_1)
	s_add_i32 s19, s22, s8
	s_and_saveexec_b32 s8, s2
	s_cbranch_execz .LBB46_8
; %bb.7:
	v_add_nc_u32_e32 v1, s22, v5
	v_add_nc_u32_e32 v2, s19, v5
	ds_store_b32 v1, v0
	ds_store_b32 v2, v3
.LBB46_8:
	s_or_b32 exec_lo, exec_lo, s8
	s_cmp_lt_i32 s20, 2
	s_cbranch_scc1 .LBB46_46
; %bb.9:
	v_div_scale_f64 v[1:2], null, s[6:7], s[6:7], 0x100000
	s_mov_b32 s8, 0
	s_mov_b32 s9, 0x100000
	v_add_nc_u32_e32 v4, s18, v4
	v_add_nc_u32_e32 v24, s19, v5
	;; [unrolled: 1-line block ×3, first 2 shown]
	s_delay_alu instid0(VALU_DEP_2) | instskip(NEXT) | instid1(VALU_DEP_2)
	v_add_nc_u32_e32 v5, 4, v24
	v_add_nc_u32_e32 v28, -4, v25
	v_rcp_f64_e32 v[6:7], v[1:2]
	s_waitcnt_depctr 0xfff
	v_fma_f64 v[8:9], -v[1:2], v[6:7], 1.0
	s_delay_alu instid0(VALU_DEP_1) | instskip(NEXT) | instid1(VALU_DEP_1)
	v_fma_f64 v[6:7], v[6:7], v[8:9], v[6:7]
	v_fma_f64 v[8:9], -v[1:2], v[6:7], 1.0
	s_delay_alu instid0(VALU_DEP_1) | instskip(SKIP_4) | instid1(SALU_CYCLE_1)
	v_fma_f64 v[6:7], v[6:7], v[8:9], v[6:7]
	v_div_scale_f64 v[8:9], vcc_lo, s[8:9], s[6:7], s[8:9]
	s_load_b128 s[8:11], s[0:1], 0x8
	s_mul_i32 s0, s16, s5
	s_mul_hi_u32 s1, s16, s4
	s_add_i32 s0, s1, s0
	s_mul_i32 s1, s17, s4
	s_delay_alu instid0(SALU_CYCLE_1) | instskip(SKIP_1) | instid1(SALU_CYCLE_1)
	s_add_i32 s1, s0, s1
	s_mul_i32 s0, s16, s4
	s_lshl_b64 s[0:1], s[0:1], 3
	s_waitcnt lgkmcnt(0)
	s_ashr_i32 s5, s10, 31
	s_mov_b32 s4, s10
	v_mul_lo_u32 v22, v4, s11
	s_delay_alu instid0(VALU_DEP_1) | instskip(NEXT) | instid1(VALU_DEP_3)
	v_add_nc_u32_e32 v27, s11, v22
	v_mul_f64 v[10:11], v[8:9], v[6:7]
	s_delay_alu instid0(VALU_DEP_1) | instskip(NEXT) | instid1(VALU_DEP_1)
	v_fma_f64 v[1:2], -v[1:2], v[10:11], v[8:9]
	v_div_fmas_f64 v[1:2], v[1:2], v[6:7], v[10:11]
	v_lshlrev_b32_e32 v6, 3, v19
	v_or_b32_e32 v7, 1, v4
                                        ; implicit-def: $vgpr11_vgpr12
	s_delay_alu instid0(VALU_DEP_2)
	v_add_nc_u32_e32 v23, 0, v6
	v_add_nc_u32_e32 v26, s3, v6
	v_div_fixup_f64 v[1:2], v[1:2], s[6:7], 0x100000
	s_add_u32 s6, s8, s0
	s_addc_u32 s7, s9, s1
	s_lshl_b64 s[0:1], s[4:5], 3
	s_delay_alu instid0(SALU_CYCLE_1)
	s_add_u32 s5, s6, s0
	s_addc_u32 s8, s7, s1
	s_add_i32 s21, s21, -1
	s_add_i32 s1, s19, -4
	v_cmp_eq_u32_e32 vcc_lo, s21, v19
	v_cmp_gt_i32_e64 s0, s15, v7
	s_add_i32 s9, s11, 1
	s_mov_b32 s6, 0
	s_add_i32 s10, s20, -1
	v_cndmask_b32_e64 v29, v5, s1, vcc_lo
                                        ; implicit-def: $vgpr5_vgpr6
                                        ; implicit-def: $vgpr7_vgpr8
	s_branch .LBB46_11
.LBB46_10:                              ;   in Loop: Header=BB46_11 Depth=1
	s_or_b32 exec_lo, exec_lo, s1
	s_add_i32 s10, s10, -1
	s_delay_alu instid0(SALU_CYCLE_1)
	s_cmp_lg_u32 s10, 0
	s_cbranch_scc0 .LBB46_46
.LBB46_11:                              ; =>This Inner Loop Header: Depth=1
	v_cmp_gt_i32_e64 s1, s15, v0
	v_cmp_gt_i32_e64 s3, s15, v3
	s_delay_alu instid0(VALU_DEP_2)
	s_and_b32 s4, s2, s1
	s_delay_alu instid0(VALU_DEP_1) | instid1(SALU_CYCLE_1)
	s_and_b32 s7, s4, s3
	s_delay_alu instid0(SALU_CYCLE_1)
	s_and_saveexec_b32 s16, s7
	s_cbranch_execz .LBB46_27
; %bb.12:                               ;   in Loop: Header=BB46_11 Depth=1
	v_mul_lo_u32 v13, v3, s11
	v_mov_b32_e32 v11, 0
	s_delay_alu instid0(VALU_DEP_2) | instskip(NEXT) | instid1(VALU_DEP_1)
	v_dual_mov_b32 v12, 0 :: v_dual_add_nc_u32 v7, v0, v13
	v_ashrrev_i32_e32 v8, 31, v7
	s_delay_alu instid0(VALU_DEP_1) | instskip(NEXT) | instid1(VALU_DEP_1)
	v_lshlrev_b64 v[7:8], 3, v[7:8]
	v_add_co_u32 v7, vcc_lo, s5, v7
	s_delay_alu instid0(VALU_DEP_2) | instskip(SKIP_3) | instid1(VALU_DEP_1)
	v_add_co_ci_u32_e32 v8, vcc_lo, s8, v8, vcc_lo
	global_load_b64 v[9:10], v[7:8], off
	s_waitcnt vmcnt(0)
	v_mul_f64 v[7:8], v[9:10], v[9:10]
	v_cmp_nlt_f64_e32 vcc_lo, v[7:8], v[1:2]
	v_mov_b32_e32 v7, 0
	v_mov_b32_e32 v8, 0x3ff00000
	s_and_saveexec_b32 s17, vcc_lo
	s_cbranch_execz .LBB46_26
; %bb.13:                               ;   in Loop: Header=BB46_11 Depth=1
	v_add_nc_u32_e32 v7, v13, v3
	v_mul_lo_u32 v11, v0, s9
	s_delay_alu instid0(VALU_DEP_2) | instskip(NEXT) | instid1(VALU_DEP_2)
	v_ashrrev_i32_e32 v8, 31, v7
	v_ashrrev_i32_e32 v12, 31, v11
	s_delay_alu instid0(VALU_DEP_2) | instskip(NEXT) | instid1(VALU_DEP_2)
	v_lshlrev_b64 v[7:8], 3, v[7:8]
	v_lshlrev_b64 v[11:12], 3, v[11:12]
	s_delay_alu instid0(VALU_DEP_2) | instskip(NEXT) | instid1(VALU_DEP_3)
	v_add_co_u32 v7, vcc_lo, s5, v7
	v_add_co_ci_u32_e32 v8, vcc_lo, s8, v8, vcc_lo
	s_delay_alu instid0(VALU_DEP_3) | instskip(NEXT) | instid1(VALU_DEP_4)
	v_add_co_u32 v11, vcc_lo, s5, v11
	v_add_co_ci_u32_e32 v12, vcc_lo, s8, v12, vcc_lo
	s_clause 0x1
	global_load_b64 v[7:8], v[7:8], off
	global_load_b64 v[13:14], v[11:12], off
	v_add_f64 v[11:12], |v[9:10]|, |v[9:10]|
	s_delay_alu instid0(VALU_DEP_1) | instskip(SKIP_2) | instid1(VALU_DEP_1)
	v_cmp_class_f64_e64 s20, v[11:12], 0x204
	s_waitcnt vmcnt(0)
	v_add_f64 v[13:14], v[7:8], -v[13:14]
	v_max_f64 v[7:8], |v[13:14]|, |v[11:12]|
	v_cmp_ngt_f64_e64 s4, 0, v[13:14]
	v_cmp_class_f64_e64 s21, v[13:14], 0x204
	s_delay_alu instid0(VALU_DEP_3) | instskip(NEXT) | instid1(VALU_DEP_1)
	v_frexp_exp_i32_f64_e32 v15, v[7:8]
	v_sub_nc_u32_e32 v16, 0, v15
	s_delay_alu instid0(VALU_DEP_1) | instskip(SKIP_1) | instid1(VALU_DEP_2)
	v_ldexp_f64 v[7:8], |v[11:12]|, v16
	v_ldexp_f64 v[16:17], |v[13:14]|, v16
	v_mul_f64 v[7:8], v[7:8], v[7:8]
	s_delay_alu instid0(VALU_DEP_1) | instskip(NEXT) | instid1(VALU_DEP_1)
	v_fma_f64 v[7:8], v[16:17], v[16:17], v[7:8]
	v_rsq_f64_e32 v[16:17], v[7:8]
	v_cmp_eq_f64_e32 vcc_lo, 0, v[7:8]
	s_waitcnt_depctr 0xfff
	v_mul_f64 v[30:31], v[7:8], v[16:17]
	v_mul_f64 v[16:17], v[16:17], 0.5
	s_delay_alu instid0(VALU_DEP_1) | instskip(NEXT) | instid1(VALU_DEP_1)
	v_fma_f64 v[32:33], -v[16:17], v[30:31], 0.5
	v_fma_f64 v[30:31], v[30:31], v[32:33], v[30:31]
	v_fma_f64 v[16:17], v[16:17], v[32:33], v[16:17]
	s_delay_alu instid0(VALU_DEP_2) | instskip(NEXT) | instid1(VALU_DEP_1)
	v_fma_f64 v[32:33], -v[30:31], v[30:31], v[7:8]
	v_fma_f64 v[16:17], v[32:33], v[16:17], v[30:31]
	s_delay_alu instid0(VALU_DEP_1) | instskip(SKIP_1) | instid1(SALU_CYCLE_1)
	v_dual_cndmask_b32 v8, v17, v8 :: v_dual_cndmask_b32 v7, v16, v7
                                        ; implicit-def: $vgpr17_vgpr18
	s_and_saveexec_b32 s22, s4
	s_xor_b32 s4, exec_lo, s22
; %bb.14:                               ;   in Loop: Header=BB46_11 Depth=1
	s_delay_alu instid0(VALU_DEP_1) | instskip(SKIP_2) | instid1(VALU_DEP_2)
	v_ldexp_f64 v[7:8], v[7:8], v15
	v_cmp_o_f64_e32 vcc_lo, v[13:14], v[11:12]
	s_or_b32 s22, s20, s21
                                        ; implicit-def: $vgpr15
	v_cndmask_b32_e32 v7, 0, v7, vcc_lo
	s_delay_alu instid0(VALU_DEP_3) | instskip(NEXT) | instid1(VALU_DEP_2)
	v_cndmask_b32_e32 v8, 0x7ff80000, v8, vcc_lo
	v_cndmask_b32_e64 v17, v7, 0, s22
	s_delay_alu instid0(VALU_DEP_2)
	v_cndmask_b32_e64 v18, v8, 0x7ff00000, s22
                                        ; implicit-def: $vgpr7_vgpr8
; %bb.15:                               ;   in Loop: Header=BB46_11 Depth=1
	s_and_not1_saveexec_b32 s4, s4
; %bb.16:                               ;   in Loop: Header=BB46_11 Depth=1
	v_ldexp_f64 v[7:8], -v[7:8], v15
	v_cmp_o_f64_e32 vcc_lo, v[11:12], v[11:12]
	s_or_b32 s20, s20, s21
	s_delay_alu instid0(VALU_DEP_2) | instskip(NEXT) | instid1(VALU_DEP_3)
	v_cndmask_b32_e32 v7, 0, v7, vcc_lo
	v_cndmask_b32_e32 v8, 0xfff80000, v8, vcc_lo
	s_delay_alu instid0(VALU_DEP_2) | instskip(NEXT) | instid1(VALU_DEP_2)
	v_cndmask_b32_e64 v17, v7, 0, s20
	v_cndmask_b32_e64 v18, v8, 0xfff00000, s20
; %bb.17:                               ;   in Loop: Header=BB46_11 Depth=1
	s_or_b32 exec_lo, exec_lo, s4
	v_mov_b32_e32 v15, 0
	v_dual_mov_b32 v16, 0 :: v_dual_mov_b32 v7, 0
	v_mov_b32_e32 v8, 0x3ff00000
	s_mov_b32 s4, exec_lo
	v_cmpx_neq_f64_e32 0, v[11:12]
	s_cbranch_execz .LBB46_25
; %bb.18:                               ;   in Loop: Header=BB46_11 Depth=1
	v_add_f64 v[13:14], v[13:14], v[17:18]
	v_mov_b32_e32 v7, 0
	v_dual_mov_b32 v8, 0 :: v_dual_mov_b32 v15, 0
	v_mov_b32_e32 v16, 0x3ff00000
	s_mov_b32 s20, exec_lo
	s_delay_alu instid0(VALU_DEP_4)
	v_cmpx_neq_f64_e32 0, v[13:14]
	s_cbranch_execz .LBB46_24
; %bb.19:                               ;   in Loop: Header=BB46_11 Depth=1
	v_cmp_ngt_f64_e64 s21, |v[11:12]|, |v[13:14]|
                                        ; implicit-def: $vgpr7_vgpr8
                                        ; implicit-def: $vgpr15_vgpr16
	s_delay_alu instid0(VALU_DEP_1) | instskip(NEXT) | instid1(SALU_CYCLE_1)
	s_and_saveexec_b32 s22, s21
	s_xor_b32 s21, exec_lo, s22
	s_cbranch_execz .LBB46_21
; %bb.20:                               ;   in Loop: Header=BB46_11 Depth=1
	v_div_scale_f64 v[7:8], null, v[13:14], v[13:14], -v[11:12]
	v_div_scale_f64 v[30:31], vcc_lo, -v[11:12], v[13:14], -v[11:12]
	s_delay_alu instid0(VALU_DEP_2) | instskip(SKIP_2) | instid1(VALU_DEP_1)
	v_rcp_f64_e32 v[15:16], v[7:8]
	s_waitcnt_depctr 0xfff
	v_fma_f64 v[17:18], -v[7:8], v[15:16], 1.0
	v_fma_f64 v[15:16], v[15:16], v[17:18], v[15:16]
	s_delay_alu instid0(VALU_DEP_1) | instskip(NEXT) | instid1(VALU_DEP_1)
	v_fma_f64 v[17:18], -v[7:8], v[15:16], 1.0
	v_fma_f64 v[15:16], v[15:16], v[17:18], v[15:16]
	s_delay_alu instid0(VALU_DEP_1) | instskip(NEXT) | instid1(VALU_DEP_1)
	v_mul_f64 v[17:18], v[30:31], v[15:16]
	v_fma_f64 v[7:8], -v[7:8], v[17:18], v[30:31]
	s_delay_alu instid0(VALU_DEP_1) | instskip(NEXT) | instid1(VALU_DEP_1)
	v_div_fmas_f64 v[7:8], v[7:8], v[15:16], v[17:18]
	v_div_fixup_f64 v[11:12], v[7:8], v[13:14], -v[11:12]
	s_delay_alu instid0(VALU_DEP_1) | instskip(NEXT) | instid1(VALU_DEP_1)
	v_fma_f64 v[7:8], v[11:12], v[11:12], 1.0
	v_cmp_gt_f64_e32 vcc_lo, 0x10000000, v[7:8]
	v_cndmask_b32_e64 v13, 0, 1, vcc_lo
	s_delay_alu instid0(VALU_DEP_1) | instskip(NEXT) | instid1(VALU_DEP_1)
	v_lshlrev_b32_e32 v13, 8, v13
	v_ldexp_f64 v[7:8], v[7:8], v13
	s_delay_alu instid0(VALU_DEP_1) | instskip(SKIP_3) | instid1(VALU_DEP_1)
	v_rsq_f64_e32 v[13:14], v[7:8]
	s_waitcnt_depctr 0xfff
	v_mul_f64 v[15:16], v[7:8], v[13:14]
	v_mul_f64 v[13:14], v[13:14], 0.5
	v_fma_f64 v[17:18], -v[13:14], v[15:16], 0.5
	s_delay_alu instid0(VALU_DEP_1) | instskip(SKIP_1) | instid1(VALU_DEP_2)
	v_fma_f64 v[15:16], v[15:16], v[17:18], v[15:16]
	v_fma_f64 v[13:14], v[13:14], v[17:18], v[13:14]
	v_fma_f64 v[17:18], -v[15:16], v[15:16], v[7:8]
	s_delay_alu instid0(VALU_DEP_1) | instskip(NEXT) | instid1(VALU_DEP_1)
	v_fma_f64 v[15:16], v[17:18], v[13:14], v[15:16]
	v_fma_f64 v[17:18], -v[15:16], v[15:16], v[7:8]
	s_delay_alu instid0(VALU_DEP_1) | instskip(SKIP_2) | instid1(VALU_DEP_2)
	v_fma_f64 v[13:14], v[17:18], v[13:14], v[15:16]
	v_cndmask_b32_e64 v15, 0, 0xffffff80, vcc_lo
	v_cmp_class_f64_e64 vcc_lo, v[7:8], 0x260
	v_ldexp_f64 v[13:14], v[13:14], v15
	s_delay_alu instid0(VALU_DEP_1) | instskip(NEXT) | instid1(VALU_DEP_1)
	v_dual_cndmask_b32 v8, v14, v8 :: v_dual_cndmask_b32 v7, v13, v7
	v_div_scale_f64 v[13:14], null, v[7:8], v[7:8], 1.0
	s_delay_alu instid0(VALU_DEP_1) | instskip(SKIP_2) | instid1(VALU_DEP_1)
	v_rcp_f64_e32 v[15:16], v[13:14]
	s_waitcnt_depctr 0xfff
	v_fma_f64 v[17:18], -v[13:14], v[15:16], 1.0
	v_fma_f64 v[15:16], v[15:16], v[17:18], v[15:16]
	s_delay_alu instid0(VALU_DEP_1) | instskip(NEXT) | instid1(VALU_DEP_1)
	v_fma_f64 v[17:18], -v[13:14], v[15:16], 1.0
	v_fma_f64 v[15:16], v[15:16], v[17:18], v[15:16]
	v_div_scale_f64 v[17:18], vcc_lo, 1.0, v[7:8], 1.0
	s_delay_alu instid0(VALU_DEP_1) | instskip(NEXT) | instid1(VALU_DEP_1)
	v_mul_f64 v[30:31], v[17:18], v[15:16]
	v_fma_f64 v[13:14], -v[13:14], v[30:31], v[17:18]
	s_delay_alu instid0(VALU_DEP_1) | instskip(NEXT) | instid1(VALU_DEP_1)
	v_div_fmas_f64 v[13:14], v[13:14], v[15:16], v[30:31]
	v_div_fixup_f64 v[7:8], v[13:14], v[7:8], 1.0
                                        ; implicit-def: $vgpr13_vgpr14
	s_delay_alu instid0(VALU_DEP_1)
	v_mul_f64 v[15:16], v[11:12], v[7:8]
                                        ; implicit-def: $vgpr11_vgpr12
.LBB46_21:                              ;   in Loop: Header=BB46_11 Depth=1
	s_and_not1_saveexec_b32 s21, s21
	s_cbranch_execz .LBB46_23
; %bb.22:                               ;   in Loop: Header=BB46_11 Depth=1
	v_div_scale_f64 v[7:8], null, v[11:12], v[11:12], -v[13:14]
	v_div_scale_f64 v[30:31], vcc_lo, -v[13:14], v[11:12], -v[13:14]
	s_delay_alu instid0(VALU_DEP_2) | instskip(SKIP_2) | instid1(VALU_DEP_1)
	v_rcp_f64_e32 v[15:16], v[7:8]
	s_waitcnt_depctr 0xfff
	v_fma_f64 v[17:18], -v[7:8], v[15:16], 1.0
	v_fma_f64 v[15:16], v[15:16], v[17:18], v[15:16]
	s_delay_alu instid0(VALU_DEP_1) | instskip(NEXT) | instid1(VALU_DEP_1)
	v_fma_f64 v[17:18], -v[7:8], v[15:16], 1.0
	v_fma_f64 v[15:16], v[15:16], v[17:18], v[15:16]
	s_delay_alu instid0(VALU_DEP_1) | instskip(NEXT) | instid1(VALU_DEP_1)
	v_mul_f64 v[17:18], v[30:31], v[15:16]
	v_fma_f64 v[7:8], -v[7:8], v[17:18], v[30:31]
	s_delay_alu instid0(VALU_DEP_1) | instskip(NEXT) | instid1(VALU_DEP_1)
	v_div_fmas_f64 v[7:8], v[7:8], v[15:16], v[17:18]
	v_div_fixup_f64 v[7:8], v[7:8], v[11:12], -v[13:14]
	s_delay_alu instid0(VALU_DEP_1) | instskip(NEXT) | instid1(VALU_DEP_1)
	v_fma_f64 v[11:12], v[7:8], v[7:8], 1.0
	v_cmp_gt_f64_e32 vcc_lo, 0x10000000, v[11:12]
	v_cndmask_b32_e64 v13, 0, 1, vcc_lo
	s_delay_alu instid0(VALU_DEP_1) | instskip(NEXT) | instid1(VALU_DEP_1)
	v_lshlrev_b32_e32 v13, 8, v13
	v_ldexp_f64 v[11:12], v[11:12], v13
	s_delay_alu instid0(VALU_DEP_1) | instskip(SKIP_3) | instid1(VALU_DEP_1)
	v_rsq_f64_e32 v[13:14], v[11:12]
	s_waitcnt_depctr 0xfff
	v_mul_f64 v[15:16], v[11:12], v[13:14]
	v_mul_f64 v[13:14], v[13:14], 0.5
	v_fma_f64 v[17:18], -v[13:14], v[15:16], 0.5
	s_delay_alu instid0(VALU_DEP_1) | instskip(SKIP_1) | instid1(VALU_DEP_2)
	v_fma_f64 v[15:16], v[15:16], v[17:18], v[15:16]
	v_fma_f64 v[13:14], v[13:14], v[17:18], v[13:14]
	v_fma_f64 v[17:18], -v[15:16], v[15:16], v[11:12]
	s_delay_alu instid0(VALU_DEP_1) | instskip(NEXT) | instid1(VALU_DEP_1)
	v_fma_f64 v[15:16], v[17:18], v[13:14], v[15:16]
	v_fma_f64 v[17:18], -v[15:16], v[15:16], v[11:12]
	s_delay_alu instid0(VALU_DEP_1) | instskip(SKIP_2) | instid1(VALU_DEP_2)
	v_fma_f64 v[13:14], v[17:18], v[13:14], v[15:16]
	v_cndmask_b32_e64 v15, 0, 0xffffff80, vcc_lo
	v_cmp_class_f64_e64 vcc_lo, v[11:12], 0x260
	v_ldexp_f64 v[13:14], v[13:14], v15
	s_delay_alu instid0(VALU_DEP_1) | instskip(NEXT) | instid1(VALU_DEP_1)
	v_dual_cndmask_b32 v12, v14, v12 :: v_dual_cndmask_b32 v11, v13, v11
	v_div_scale_f64 v[13:14], null, v[11:12], v[11:12], 1.0
	s_delay_alu instid0(VALU_DEP_1) | instskip(SKIP_2) | instid1(VALU_DEP_1)
	v_rcp_f64_e32 v[15:16], v[13:14]
	s_waitcnt_depctr 0xfff
	v_fma_f64 v[17:18], -v[13:14], v[15:16], 1.0
	v_fma_f64 v[15:16], v[15:16], v[17:18], v[15:16]
	s_delay_alu instid0(VALU_DEP_1) | instskip(NEXT) | instid1(VALU_DEP_1)
	v_fma_f64 v[17:18], -v[13:14], v[15:16], 1.0
	v_fma_f64 v[15:16], v[15:16], v[17:18], v[15:16]
	v_div_scale_f64 v[17:18], vcc_lo, 1.0, v[11:12], 1.0
	s_delay_alu instid0(VALU_DEP_1) | instskip(NEXT) | instid1(VALU_DEP_1)
	v_mul_f64 v[30:31], v[17:18], v[15:16]
	v_fma_f64 v[13:14], -v[13:14], v[30:31], v[17:18]
	s_delay_alu instid0(VALU_DEP_1) | instskip(NEXT) | instid1(VALU_DEP_1)
	v_div_fmas_f64 v[13:14], v[13:14], v[15:16], v[30:31]
	v_div_fixup_f64 v[15:16], v[13:14], v[11:12], 1.0
	s_delay_alu instid0(VALU_DEP_1)
	v_mul_f64 v[7:8], v[7:8], v[15:16]
.LBB46_23:                              ;   in Loop: Header=BB46_11 Depth=1
	s_or_b32 exec_lo, exec_lo, s21
.LBB46_24:                              ;   in Loop: Header=BB46_11 Depth=1
	s_delay_alu instid0(SALU_CYCLE_1)
	s_or_b32 exec_lo, exec_lo, s20
.LBB46_25:                              ;   in Loop: Header=BB46_11 Depth=1
	s_delay_alu instid0(SALU_CYCLE_1) | instskip(NEXT) | instid1(VALU_DEP_1)
	s_or_b32 exec_lo, exec_lo, s4
	v_mul_f64 v[11:12], v[9:10], v[15:16]
	v_dual_mov_b32 v13, v9 :: v_dual_and_b32 v14, 0x7fffffff, v10
	s_delay_alu instid0(VALU_DEP_1) | instskip(SKIP_1) | instid1(VALU_DEP_2)
	v_div_scale_f64 v[15:16], null, v[13:14], v[13:14], v[11:12]
	v_div_scale_f64 v[13:14], vcc_lo, v[11:12], v[13:14], v[11:12]
	v_rcp_f64_e32 v[17:18], v[15:16]
	s_waitcnt_depctr 0xfff
	v_fma_f64 v[30:31], -v[15:16], v[17:18], 1.0
	s_delay_alu instid0(VALU_DEP_1) | instskip(NEXT) | instid1(VALU_DEP_1)
	v_fma_f64 v[17:18], v[17:18], v[30:31], v[17:18]
	v_fma_f64 v[30:31], -v[15:16], v[17:18], 1.0
	s_delay_alu instid0(VALU_DEP_1) | instskip(NEXT) | instid1(VALU_DEP_1)
	v_fma_f64 v[17:18], v[17:18], v[30:31], v[17:18]
	v_mul_f64 v[30:31], v[13:14], v[17:18]
	s_delay_alu instid0(VALU_DEP_1) | instskip(NEXT) | instid1(VALU_DEP_1)
	v_fma_f64 v[13:14], -v[15:16], v[30:31], v[13:14]
	v_div_fmas_f64 v[13:14], v[13:14], v[17:18], v[30:31]
	s_delay_alu instid0(VALU_DEP_1)
	v_div_fixup_f64 v[11:12], v[13:14], |v[9:10]|, v[11:12]
.LBB46_26:                              ;   in Loop: Header=BB46_11 Depth=1
	s_or_b32 exec_lo, exec_lo, s17
	ds_store_b64 v23, v[7:8]
	ds_store_b64 v26, v[11:12]
.LBB46_27:                              ;   in Loop: Header=BB46_11 Depth=1
	s_or_b32 exec_lo, exec_lo, s16
	s_and_b32 s1, s1, s3
	s_waitcnt lgkmcnt(0)
	s_waitcnt_vscnt null, 0x0
	s_barrier
	buffer_gl0_inv
	s_and_saveexec_b32 s3, s1
	s_cbranch_execz .LBB46_35
; %bb.28:                               ;   in Loop: Header=BB46_11 Depth=1
	ds_load_b64 v[7:8], v23
	ds_load_b64 v[5:6], v26
	s_and_not1_b32 vcc_lo, exec_lo, s14
	s_cbranch_vccnz .LBB46_32
; %bb.29:                               ;   in Loop: Header=BB46_11 Depth=1
	v_subrev_nc_u32_e32 v10, s18, v3
	v_subrev_nc_u32_e32 v9, s18, v0
	s_delay_alu instid0(VALU_DEP_2) | instskip(NEXT) | instid1(VALU_DEP_2)
	v_add_nc_u32_e32 v11, v10, v20
	v_add_nc_u32_e32 v13, v9, v20
	s_delay_alu instid0(VALU_DEP_2) | instskip(NEXT) | instid1(VALU_DEP_2)
	v_ashrrev_i32_e32 v12, 31, v11
	v_ashrrev_i32_e32 v14, 31, v13
	s_delay_alu instid0(VALU_DEP_2) | instskip(NEXT) | instid1(VALU_DEP_2)
	v_lshlrev_b64 v[11:12], 3, v[11:12]
	v_lshlrev_b64 v[13:14], 3, v[13:14]
	s_delay_alu instid0(VALU_DEP_2) | instskip(NEXT) | instid1(VALU_DEP_3)
	v_add_co_u32 v11, vcc_lo, s12, v11
	v_add_co_ci_u32_e32 v12, vcc_lo, s13, v12, vcc_lo
	s_delay_alu instid0(VALU_DEP_3) | instskip(NEXT) | instid1(VALU_DEP_4)
	v_add_co_u32 v13, vcc_lo, s12, v13
	v_add_co_ci_u32_e32 v14, vcc_lo, s13, v14, vcc_lo
	s_clause 0x1
	flat_load_b64 v[15:16], v[11:12]
	flat_load_b64 v[17:18], v[13:14]
	s_waitcnt vmcnt(1) lgkmcnt(1)
	v_mul_f64 v[30:31], v[5:6], v[15:16]
	s_waitcnt vmcnt(0) lgkmcnt(0)
	v_mul_f64 v[32:33], v[5:6], v[17:18]
	s_delay_alu instid0(VALU_DEP_2) | instskip(NEXT) | instid1(VALU_DEP_2)
	v_fma_f64 v[17:18], v[7:8], v[17:18], v[30:31]
	v_fma_f64 v[15:16], v[7:8], v[15:16], -v[32:33]
	s_clause 0x1
	flat_store_b64 v[13:14], v[17:18]
	flat_store_b64 v[11:12], v[15:16]
	s_and_saveexec_b32 s4, s0
	s_cbranch_execz .LBB46_31
; %bb.30:                               ;   in Loop: Header=BB46_11 Depth=1
	v_add_nc_u32_e32 v10, v10, v21
	v_add_nc_u32_e32 v12, v9, v21
	s_delay_alu instid0(VALU_DEP_2) | instskip(NEXT) | instid1(VALU_DEP_2)
	v_ashrrev_i32_e32 v11, 31, v10
	v_ashrrev_i32_e32 v13, 31, v12
	s_delay_alu instid0(VALU_DEP_2) | instskip(NEXT) | instid1(VALU_DEP_2)
	v_lshlrev_b64 v[9:10], 3, v[10:11]
	v_lshlrev_b64 v[11:12], 3, v[12:13]
	s_delay_alu instid0(VALU_DEP_2) | instskip(NEXT) | instid1(VALU_DEP_3)
	v_add_co_u32 v9, vcc_lo, s12, v9
	v_add_co_ci_u32_e32 v10, vcc_lo, s13, v10, vcc_lo
	s_delay_alu instid0(VALU_DEP_3) | instskip(NEXT) | instid1(VALU_DEP_4)
	v_add_co_u32 v11, vcc_lo, s12, v11
	v_add_co_ci_u32_e32 v12, vcc_lo, s13, v12, vcc_lo
	s_clause 0x1
	flat_load_b64 v[13:14], v[9:10]
	flat_load_b64 v[15:16], v[11:12]
	s_waitcnt vmcnt(1) lgkmcnt(1)
	v_mul_f64 v[17:18], v[5:6], v[13:14]
	s_waitcnt vmcnt(0) lgkmcnt(0)
	v_mul_f64 v[30:31], v[5:6], v[15:16]
	s_delay_alu instid0(VALU_DEP_2) | instskip(NEXT) | instid1(VALU_DEP_2)
	v_fma_f64 v[15:16], v[7:8], v[15:16], v[17:18]
	v_fma_f64 v[13:14], v[7:8], v[13:14], -v[30:31]
	s_clause 0x1
	flat_store_b64 v[11:12], v[15:16]
	flat_store_b64 v[9:10], v[13:14]
.LBB46_31:                              ;   in Loop: Header=BB46_11 Depth=1
	s_or_b32 exec_lo, exec_lo, s4
.LBB46_32:                              ;   in Loop: Header=BB46_11 Depth=1
	s_waitcnt lgkmcnt(0)
	v_mad_u64_u32 v[9:10], null, v3, s11, v[4:5]
	v_mad_u64_u32 v[11:12], null, v0, s11, v[4:5]
	s_delay_alu instid0(VALU_DEP_2) | instskip(NEXT) | instid1(VALU_DEP_2)
	v_ashrrev_i32_e32 v10, 31, v9
	v_ashrrev_i32_e32 v12, 31, v11
	s_delay_alu instid0(VALU_DEP_2) | instskip(NEXT) | instid1(VALU_DEP_2)
	v_lshlrev_b64 v[9:10], 3, v[9:10]
	v_lshlrev_b64 v[11:12], 3, v[11:12]
	s_delay_alu instid0(VALU_DEP_2) | instskip(NEXT) | instid1(VALU_DEP_3)
	v_add_co_u32 v9, vcc_lo, s5, v9
	v_add_co_ci_u32_e32 v10, vcc_lo, s8, v10, vcc_lo
	s_delay_alu instid0(VALU_DEP_3) | instskip(NEXT) | instid1(VALU_DEP_4)
	v_add_co_u32 v11, vcc_lo, s5, v11
	v_add_co_ci_u32_e32 v12, vcc_lo, s8, v12, vcc_lo
	s_clause 0x1
	global_load_b64 v[13:14], v[9:10], off
	global_load_b64 v[15:16], v[11:12], off
	s_waitcnt vmcnt(1)
	v_mul_f64 v[17:18], v[5:6], v[13:14]
	s_waitcnt vmcnt(0)
	v_mul_f64 v[30:31], v[5:6], v[15:16]
	s_delay_alu instid0(VALU_DEP_2) | instskip(NEXT) | instid1(VALU_DEP_2)
	v_fma_f64 v[15:16], v[7:8], v[15:16], v[17:18]
	v_fma_f64 v[13:14], v[7:8], v[13:14], -v[30:31]
	s_clause 0x1
	global_store_b64 v[11:12], v[15:16], off
	global_store_b64 v[9:10], v[13:14], off
	s_and_saveexec_b32 s4, s0
	s_cbranch_execz .LBB46_34
; %bb.33:                               ;   in Loop: Header=BB46_11 Depth=1
	s_clause 0x1
	global_load_b64 v[13:14], v[9:10], off offset:8
	global_load_b64 v[15:16], v[11:12], off offset:8
	s_waitcnt vmcnt(1)
	v_mul_f64 v[17:18], v[5:6], v[13:14]
	s_waitcnt vmcnt(0)
	v_mul_f64 v[30:31], v[5:6], v[15:16]
	s_delay_alu instid0(VALU_DEP_2) | instskip(NEXT) | instid1(VALU_DEP_2)
	v_fma_f64 v[15:16], v[7:8], v[15:16], v[17:18]
	v_fma_f64 v[13:14], v[7:8], v[13:14], -v[30:31]
	s_clause 0x1
	global_store_b64 v[11:12], v[15:16], off offset:8
	global_store_b64 v[9:10], v[13:14], off offset:8
.LBB46_34:                              ;   in Loop: Header=BB46_11 Depth=1
	s_or_b32 exec_lo, exec_lo, s4
	v_dual_mov_b32 v12, v6 :: v_dual_mov_b32 v11, v5
.LBB46_35:                              ;   in Loop: Header=BB46_11 Depth=1
	s_or_b32 exec_lo, exec_lo, s3
	s_waitcnt_vscnt null, 0x0
	s_barrier
	buffer_gl0_inv
	s_and_saveexec_b32 s3, s1
	s_cbranch_execz .LBB46_38
; %bb.36:                               ;   in Loop: Header=BB46_11 Depth=1
	v_add_nc_u32_e32 v9, v3, v22
	v_add_nc_u32_e32 v13, v0, v22
	s_delay_alu instid0(VALU_DEP_2) | instskip(NEXT) | instid1(VALU_DEP_2)
	v_ashrrev_i32_e32 v10, 31, v9
	v_ashrrev_i32_e32 v14, 31, v13
	s_delay_alu instid0(VALU_DEP_2) | instskip(NEXT) | instid1(VALU_DEP_2)
	v_lshlrev_b64 v[9:10], 3, v[9:10]
	v_lshlrev_b64 v[13:14], 3, v[13:14]
	s_delay_alu instid0(VALU_DEP_2) | instskip(NEXT) | instid1(VALU_DEP_3)
	v_add_co_u32 v9, vcc_lo, s5, v9
	v_add_co_ci_u32_e32 v10, vcc_lo, s8, v10, vcc_lo
	s_delay_alu instid0(VALU_DEP_3) | instskip(NEXT) | instid1(VALU_DEP_4)
	v_add_co_u32 v13, vcc_lo, s5, v13
	v_add_co_ci_u32_e32 v14, vcc_lo, s8, v14, vcc_lo
	s_clause 0x1
	global_load_b64 v[15:16], v[9:10], off
	global_load_b64 v[17:18], v[13:14], off
	s_waitcnt vmcnt(1)
	v_mul_f64 v[30:31], v[11:12], v[15:16]
	s_waitcnt vmcnt(0)
	v_mul_f64 v[32:33], v[5:6], v[17:18]
	s_delay_alu instid0(VALU_DEP_2) | instskip(NEXT) | instid1(VALU_DEP_2)
	v_fma_f64 v[17:18], v[7:8], v[17:18], v[30:31]
	v_fma_f64 v[15:16], v[7:8], v[15:16], -v[32:33]
	s_clause 0x1
	global_store_b64 v[13:14], v[17:18], off
	global_store_b64 v[9:10], v[15:16], off
	s_and_b32 exec_lo, exec_lo, s0
	s_cbranch_execz .LBB46_38
; %bb.37:                               ;   in Loop: Header=BB46_11 Depth=1
	v_add_nc_u32_e32 v9, v3, v27
	v_add_nc_u32_e32 v13, v0, v27
	s_delay_alu instid0(VALU_DEP_2) | instskip(NEXT) | instid1(VALU_DEP_2)
	v_ashrrev_i32_e32 v10, 31, v9
	v_ashrrev_i32_e32 v14, 31, v13
	s_delay_alu instid0(VALU_DEP_2) | instskip(NEXT) | instid1(VALU_DEP_2)
	v_lshlrev_b64 v[9:10], 3, v[9:10]
	v_lshlrev_b64 v[13:14], 3, v[13:14]
	s_delay_alu instid0(VALU_DEP_2) | instskip(NEXT) | instid1(VALU_DEP_3)
	v_add_co_u32 v9, vcc_lo, s5, v9
	v_add_co_ci_u32_e32 v10, vcc_lo, s8, v10, vcc_lo
	s_delay_alu instid0(VALU_DEP_3) | instskip(NEXT) | instid1(VALU_DEP_4)
	v_add_co_u32 v13, vcc_lo, s5, v13
	v_add_co_ci_u32_e32 v14, vcc_lo, s8, v14, vcc_lo
	s_clause 0x1
	global_load_b64 v[15:16], v[9:10], off
	global_load_b64 v[17:18], v[13:14], off
	s_waitcnt vmcnt(1)
	v_mul_f64 v[30:31], v[11:12], v[15:16]
	s_waitcnt vmcnt(0)
	v_mul_f64 v[32:33], v[5:6], v[17:18]
	s_delay_alu instid0(VALU_DEP_2) | instskip(NEXT) | instid1(VALU_DEP_2)
	v_fma_f64 v[17:18], v[7:8], v[17:18], v[30:31]
	v_fma_f64 v[15:16], v[7:8], v[15:16], -v[32:33]
	s_clause 0x1
	global_store_b64 v[13:14], v[17:18], off
	global_store_b64 v[9:10], v[15:16], off
.LBB46_38:                              ;   in Loop: Header=BB46_11 Depth=1
	s_or_b32 exec_lo, exec_lo, s3
	s_waitcnt_vscnt null, 0x0
	s_barrier
	buffer_gl0_inv
	s_and_saveexec_b32 s1, s7
	s_cbranch_execz .LBB46_40
; %bb.39:                               ;   in Loop: Header=BB46_11 Depth=1
	v_mad_u64_u32 v[9:10], null, v3, s11, v[0:1]
	v_mad_u64_u32 v[13:14], null, v0, s11, v[3:4]
	s_mov_b32 s7, s6
	s_delay_alu instid0(SALU_CYCLE_1) | instskip(NEXT) | instid1(VALU_DEP_3)
	v_dual_mov_b32 v16, s7 :: v_dual_mov_b32 v15, s6
	v_ashrrev_i32_e32 v10, 31, v9
	s_delay_alu instid0(VALU_DEP_3) | instskip(NEXT) | instid1(VALU_DEP_2)
	v_ashrrev_i32_e32 v14, 31, v13
	v_lshlrev_b64 v[9:10], 3, v[9:10]
	s_delay_alu instid0(VALU_DEP_2) | instskip(NEXT) | instid1(VALU_DEP_2)
	v_lshlrev_b64 v[13:14], 3, v[13:14]
	v_add_co_u32 v9, vcc_lo, s5, v9
	s_delay_alu instid0(VALU_DEP_3) | instskip(NEXT) | instid1(VALU_DEP_3)
	v_add_co_ci_u32_e32 v10, vcc_lo, s8, v10, vcc_lo
	v_add_co_u32 v13, vcc_lo, s5, v13
	s_delay_alu instid0(VALU_DEP_4)
	v_add_co_ci_u32_e32 v14, vcc_lo, s8, v14, vcc_lo
	s_clause 0x1
	global_store_b64 v[9:10], v[15:16], off
	global_store_b64 v[13:14], v[15:16], off
.LBB46_40:                              ;   in Loop: Header=BB46_11 Depth=1
	s_or_b32 exec_lo, exec_lo, s1
	s_delay_alu instid0(SALU_CYCLE_1)
	s_mov_b32 s1, exec_lo
	v_cmpx_lt_i32_e32 0, v19
	s_cbranch_execz .LBB46_44
; %bb.41:                               ;   in Loop: Header=BB46_11 Depth=1
	v_mov_b32_e32 v0, s19
	s_mov_b32 s3, exec_lo
	v_cmpx_ne_u32_e32 1, v19
; %bb.42:                               ;   in Loop: Header=BB46_11 Depth=1
	v_mov_b32_e32 v0, v28
; %bb.43:                               ;   in Loop: Header=BB46_11 Depth=1
	s_or_b32 exec_lo, exec_lo, s3
	ds_load_b32 v0, v0
.LBB46_44:                              ;   in Loop: Header=BB46_11 Depth=1
	s_or_b32 exec_lo, exec_lo, s1
	ds_load_b32 v3, v29
	s_waitcnt lgkmcnt(0)
	s_waitcnt_vscnt null, 0x0
	s_barrier
	buffer_gl0_inv
	s_and_saveexec_b32 s1, s2
	s_cbranch_execz .LBB46_10
; %bb.45:                               ;   in Loop: Header=BB46_11 Depth=1
	ds_store_b32 v25, v0
	ds_store_b32 v24, v3
	s_branch .LBB46_10
.LBB46_46:
	s_endpgm
	.section	.rodata,"a",@progbits
	.p2align	6, 0x0
	.amdhsa_kernel _ZN9rocsolver6v33100L17syevj_diag_kernelIddPdEEviT1_iilT0_PT_Pi
		.amdhsa_group_segment_fixed_size 0
		.amdhsa_private_segment_fixed_size 0
		.amdhsa_kernarg_size 312
		.amdhsa_user_sgpr_count 14
		.amdhsa_user_sgpr_dispatch_ptr 0
		.amdhsa_user_sgpr_queue_ptr 0
		.amdhsa_user_sgpr_kernarg_segment_ptr 1
		.amdhsa_user_sgpr_dispatch_id 0
		.amdhsa_user_sgpr_private_segment_size 0
		.amdhsa_wavefront_size32 1
		.amdhsa_uses_dynamic_stack 0
		.amdhsa_enable_private_segment 0
		.amdhsa_system_sgpr_workgroup_id_x 1
		.amdhsa_system_sgpr_workgroup_id_y 0
		.amdhsa_system_sgpr_workgroup_id_z 1
		.amdhsa_system_sgpr_workgroup_info 0
		.amdhsa_system_vgpr_workitem_id 1
		.amdhsa_next_free_vgpr 34
		.amdhsa_next_free_sgpr 23
		.amdhsa_reserve_vcc 1
		.amdhsa_float_round_mode_32 0
		.amdhsa_float_round_mode_16_64 0
		.amdhsa_float_denorm_mode_32 3
		.amdhsa_float_denorm_mode_16_64 3
		.amdhsa_dx10_clamp 1
		.amdhsa_ieee_mode 1
		.amdhsa_fp16_overflow 0
		.amdhsa_workgroup_processor_mode 1
		.amdhsa_memory_ordered 1
		.amdhsa_forward_progress 0
		.amdhsa_shared_vgpr_count 0
		.amdhsa_exception_fp_ieee_invalid_op 0
		.amdhsa_exception_fp_denorm_src 0
		.amdhsa_exception_fp_ieee_div_zero 0
		.amdhsa_exception_fp_ieee_overflow 0
		.amdhsa_exception_fp_ieee_underflow 0
		.amdhsa_exception_fp_ieee_inexact 0
		.amdhsa_exception_int_div_zero 0
	.end_amdhsa_kernel
	.section	.text._ZN9rocsolver6v33100L17syevj_diag_kernelIddPdEEviT1_iilT0_PT_Pi,"axG",@progbits,_ZN9rocsolver6v33100L17syevj_diag_kernelIddPdEEviT1_iilT0_PT_Pi,comdat
.Lfunc_end46:
	.size	_ZN9rocsolver6v33100L17syevj_diag_kernelIddPdEEviT1_iilT0_PT_Pi, .Lfunc_end46-_ZN9rocsolver6v33100L17syevj_diag_kernelIddPdEEviT1_iilT0_PT_Pi
                                        ; -- End function
	.section	.AMDGPU.csdata,"",@progbits
; Kernel info:
; codeLenInByte = 3808
; NumSgprs: 25
; NumVgprs: 34
; ScratchSize: 0
; MemoryBound: 0
; FloatMode: 240
; IeeeMode: 1
; LDSByteSize: 0 bytes/workgroup (compile time only)
; SGPRBlocks: 3
; VGPRBlocks: 4
; NumSGPRsForWavesPerEU: 25
; NumVGPRsForWavesPerEU: 34
; Occupancy: 16
; WaveLimiterHint : 0
; COMPUTE_PGM_RSRC2:SCRATCH_EN: 0
; COMPUTE_PGM_RSRC2:USER_SGPR: 14
; COMPUTE_PGM_RSRC2:TRAP_HANDLER: 0
; COMPUTE_PGM_RSRC2:TGID_X_EN: 1
; COMPUTE_PGM_RSRC2:TGID_Y_EN: 0
; COMPUTE_PGM_RSRC2:TGID_Z_EN: 1
; COMPUTE_PGM_RSRC2:TIDIG_COMP_CNT: 1
	.section	.text._ZN9rocsolver6v33100L21syevj_diag_rotate_orgILb0EddPdEEvbiT2_iilPT0_Pi,"axG",@progbits,_ZN9rocsolver6v33100L21syevj_diag_rotate_orgILb0EddPdEEvbiT2_iilPT0_Pi,comdat
	.globl	_ZN9rocsolver6v33100L21syevj_diag_rotate_orgILb0EddPdEEvbiT2_iilPT0_Pi ; -- Begin function _ZN9rocsolver6v33100L21syevj_diag_rotate_orgILb0EddPdEEvbiT2_iilPT0_Pi
	.p2align	8
	.type	_ZN9rocsolver6v33100L21syevj_diag_rotate_orgILb0EddPdEEvbiT2_iilPT0_Pi,@function
_ZN9rocsolver6v33100L21syevj_diag_rotate_orgILb0EddPdEEvbiT2_iilPT0_Pi: ; @_ZN9rocsolver6v33100L21syevj_diag_rotate_orgILb0EddPdEEvbiT2_iilPT0_Pi
; %bb.0:
	s_clause 0x1
	s_load_b64 s[10:11], s[0:1], 0x0
	s_load_b64 s[2:3], s[0:1], 0x28
	s_mov_b32 s8, s15
	s_waitcnt lgkmcnt(0)
	s_bitcmp1_b32 s10, 0
	s_cselect_b32 s6, -1, 0
	s_ashr_i32 s9, s15, 31
	s_delay_alu instid0(SALU_CYCLE_1) | instskip(NEXT) | instid1(SALU_CYCLE_1)
	s_lshl_b64 s[4:5], s[8:9], 2
	s_add_u32 s2, s2, s4
	s_addc_u32 s3, s3, s5
	s_load_b32 s2, s[2:3], 0x4
	s_waitcnt lgkmcnt(0)
	s_cmp_lg_u32 s2, 0
	s_cselect_b32 s2, -1, 0
	s_cmp_eq_u32 s13, s14
	s_cselect_b32 s3, -1, 0
	s_delay_alu instid0(SALU_CYCLE_1) | instskip(NEXT) | instid1(SALU_CYCLE_1)
	s_and_b32 s3, s3, s6
	s_or_b32 s2, s3, s2
	s_delay_alu instid0(SALU_CYCLE_1)
	s_and_b32 vcc_lo, exec_lo, s2
	s_cbranch_vccnz .LBB47_7
; %bb.1:
	s_load_b32 s2, s[0:1], 0x3c
	v_and_b32_e32 v3, 0x3ff, v0
	v_bfe_u32 v2, v0, 10, 10
	s_add_u32 s16, s0, 48
	s_addc_u32 s17, s1, 0
	s_waitcnt lgkmcnt(0)
	s_and_b32 s12, s2, 0xffff
	s_mov_b32 s2, exec_lo
	v_mad_u64_u32 v[0:1], null, s14, s12, v[2:3]
	s_mul_i32 s10, s13, s12
	s_delay_alu instid0(SALU_CYCLE_1) | instskip(NEXT) | instid1(VALU_DEP_1)
	v_add_nc_u32_e32 v7, s10, v3
	v_max_i32_e32 v1, v7, v0
	s_delay_alu instid0(VALU_DEP_1)
	v_cmpx_gt_i32_e64 s11, v1
	s_cbranch_execz .LBB47_7
; %bb.2:
	s_load_b256 s[0:7], s[0:1], 0x8
	s_sub_i32 s10, s11, s10
	s_delay_alu instid0(SALU_CYCLE_1)
	s_min_i32 s10, s10, s12
	s_waitcnt lgkmcnt(0)
	s_mul_i32 s5, s8, s5
	s_mul_hi_u32 s11, s8, s4
	s_mul_i32 s9, s9, s4
	s_add_i32 s5, s11, s5
	s_mul_i32 s4, s8, s4
	s_add_i32 s5, s5, s9
	s_ashr_i32 s19, s2, 31
	s_lshl_b64 s[4:5], s[4:5], 3
	s_mov_b32 s18, s2
	s_add_u32 s2, s0, s4
	s_addc_u32 s4, s1, s5
	s_lshl_b64 s[0:1], s[18:19], 3
	s_delay_alu instid0(SALU_CYCLE_1)
	s_add_u32 s0, s2, s0
	s_addc_u32 s1, s4, s1
	s_cmp_lt_i32 s10, 1
	s_cbranch_scc1 .LBB47_5
; %bb.3:
	s_load_b32 s2, s[16:17], 0x0
	v_lshlrev_b32_e32 v1, 3, v3
	v_mov_b32_e32 v3, 0
	v_mov_b32_e32 v4, 0
	s_waitcnt lgkmcnt(0)
	s_mul_i32 s2, s2, s8
	s_delay_alu instid0(SALU_CYCLE_1)
	s_add_i32 s2, s2, s13
	s_mul_i32 s13, s13, s3
	s_mul_i32 s2, s2, s12
	s_add_i32 s14, s14, s13
	s_mul_i32 s4, s2, s12
	v_mad_u64_u32 v[5:6], null, s14, s12, v[2:3]
	s_ashr_i32 s5, s4, 31
	s_delay_alu instid0(SALU_CYCLE_1) | instskip(NEXT) | instid1(SALU_CYCLE_1)
	s_lshl_b64 s[4:5], s[4:5], 3
	s_add_u32 s2, s6, s4
	s_addc_u32 s4, s7, s5
	v_add_co_u32 v1, s2, s2, v1
	s_delay_alu instid0(VALU_DEP_1)
	v_add_co_ci_u32_e64 v2, null, s4, 0, s2
	s_lshl_b32 s2, s12, 3
	.p2align	6
.LBB47_4:                               ; =>This Inner Loop Header: Depth=1
	v_ashrrev_i32_e32 v6, 31, v5
	s_add_i32 s10, s10, -1
	s_delay_alu instid0(SALU_CYCLE_1) | instskip(NEXT) | instid1(VALU_DEP_1)
	s_cmp_lg_u32 s10, 0
	v_lshlrev_b64 v[8:9], 3, v[5:6]
	v_add_nc_u32_e32 v5, s3, v5
	s_delay_alu instid0(VALU_DEP_2) | instskip(NEXT) | instid1(VALU_DEP_3)
	v_add_co_u32 v8, vcc_lo, s0, v8
	v_add_co_ci_u32_e32 v9, vcc_lo, s1, v9, vcc_lo
	global_load_b64 v[10:11], v[1:2], off
	global_load_b64 v[8:9], v[8:9], off
	v_add_co_u32 v1, vcc_lo, v1, s2
	v_add_co_ci_u32_e32 v2, vcc_lo, 0, v2, vcc_lo
	s_waitcnt vmcnt(0)
	v_fma_f64 v[3:4], v[10:11], v[8:9], v[3:4]
	s_cbranch_scc1 .LBB47_4
	s_branch .LBB47_6
.LBB47_5:
	v_mov_b32_e32 v3, 0
	v_mov_b32_e32 v4, 0
.LBB47_6:
	v_mad_u64_u32 v[1:2], null, v7, s3, v[0:1]
	s_barrier
	buffer_gl0_inv
	v_ashrrev_i32_e32 v2, 31, v1
	s_delay_alu instid0(VALU_DEP_1) | instskip(NEXT) | instid1(VALU_DEP_1)
	v_lshlrev_b64 v[0:1], 3, v[1:2]
	v_add_co_u32 v0, vcc_lo, s0, v0
	s_delay_alu instid0(VALU_DEP_2)
	v_add_co_ci_u32_e32 v1, vcc_lo, s1, v1, vcc_lo
	global_store_b64 v[0:1], v[3:4], off
.LBB47_7:
	s_nop 0
	s_sendmsg sendmsg(MSG_DEALLOC_VGPRS)
	s_endpgm
	.section	.rodata,"a",@progbits
	.p2align	6, 0x0
	.amdhsa_kernel _ZN9rocsolver6v33100L21syevj_diag_rotate_orgILb0EddPdEEvbiT2_iilPT0_Pi
		.amdhsa_group_segment_fixed_size 0
		.amdhsa_private_segment_fixed_size 0
		.amdhsa_kernarg_size 304
		.amdhsa_user_sgpr_count 13
		.amdhsa_user_sgpr_dispatch_ptr 0
		.amdhsa_user_sgpr_queue_ptr 0
		.amdhsa_user_sgpr_kernarg_segment_ptr 1
		.amdhsa_user_sgpr_dispatch_id 0
		.amdhsa_user_sgpr_private_segment_size 0
		.amdhsa_wavefront_size32 1
		.amdhsa_uses_dynamic_stack 0
		.amdhsa_enable_private_segment 0
		.amdhsa_system_sgpr_workgroup_id_x 1
		.amdhsa_system_sgpr_workgroup_id_y 1
		.amdhsa_system_sgpr_workgroup_id_z 1
		.amdhsa_system_sgpr_workgroup_info 0
		.amdhsa_system_vgpr_workitem_id 1
		.amdhsa_next_free_vgpr 12
		.amdhsa_next_free_sgpr 20
		.amdhsa_reserve_vcc 1
		.amdhsa_float_round_mode_32 0
		.amdhsa_float_round_mode_16_64 0
		.amdhsa_float_denorm_mode_32 3
		.amdhsa_float_denorm_mode_16_64 3
		.amdhsa_dx10_clamp 1
		.amdhsa_ieee_mode 1
		.amdhsa_fp16_overflow 0
		.amdhsa_workgroup_processor_mode 1
		.amdhsa_memory_ordered 1
		.amdhsa_forward_progress 0
		.amdhsa_shared_vgpr_count 0
		.amdhsa_exception_fp_ieee_invalid_op 0
		.amdhsa_exception_fp_denorm_src 0
		.amdhsa_exception_fp_ieee_div_zero 0
		.amdhsa_exception_fp_ieee_overflow 0
		.amdhsa_exception_fp_ieee_underflow 0
		.amdhsa_exception_fp_ieee_inexact 0
		.amdhsa_exception_int_div_zero 0
	.end_amdhsa_kernel
	.section	.text._ZN9rocsolver6v33100L21syevj_diag_rotate_orgILb0EddPdEEvbiT2_iilPT0_Pi,"axG",@progbits,_ZN9rocsolver6v33100L21syevj_diag_rotate_orgILb0EddPdEEvbiT2_iilPT0_Pi,comdat
.Lfunc_end47:
	.size	_ZN9rocsolver6v33100L21syevj_diag_rotate_orgILb0EddPdEEvbiT2_iilPT0_Pi, .Lfunc_end47-_ZN9rocsolver6v33100L21syevj_diag_rotate_orgILb0EddPdEEvbiT2_iilPT0_Pi
                                        ; -- End function
	.section	.AMDGPU.csdata,"",@progbits
; Kernel info:
; codeLenInByte = 564
; NumSgprs: 22
; NumVgprs: 12
; ScratchSize: 0
; MemoryBound: 0
; FloatMode: 240
; IeeeMode: 1
; LDSByteSize: 0 bytes/workgroup (compile time only)
; SGPRBlocks: 2
; VGPRBlocks: 1
; NumSGPRsForWavesPerEU: 22
; NumVGPRsForWavesPerEU: 12
; Occupancy: 16
; WaveLimiterHint : 0
; COMPUTE_PGM_RSRC2:SCRATCH_EN: 0
; COMPUTE_PGM_RSRC2:USER_SGPR: 13
; COMPUTE_PGM_RSRC2:TRAP_HANDLER: 0
; COMPUTE_PGM_RSRC2:TGID_X_EN: 1
; COMPUTE_PGM_RSRC2:TGID_Y_EN: 1
; COMPUTE_PGM_RSRC2:TGID_Z_EN: 1
; COMPUTE_PGM_RSRC2:TIDIG_COMP_CNT: 1
	.section	.text._ZN9rocsolver6v33100L21syevj_diag_rotate_orgILb1EddPdEEvbiT2_iilPT0_Pi,"axG",@progbits,_ZN9rocsolver6v33100L21syevj_diag_rotate_orgILb1EddPdEEvbiT2_iilPT0_Pi,comdat
	.globl	_ZN9rocsolver6v33100L21syevj_diag_rotate_orgILb1EddPdEEvbiT2_iilPT0_Pi ; -- Begin function _ZN9rocsolver6v33100L21syevj_diag_rotate_orgILb1EddPdEEvbiT2_iilPT0_Pi
	.p2align	8
	.type	_ZN9rocsolver6v33100L21syevj_diag_rotate_orgILb1EddPdEEvbiT2_iilPT0_Pi,@function
_ZN9rocsolver6v33100L21syevj_diag_rotate_orgILb1EddPdEEvbiT2_iilPT0_Pi: ; @_ZN9rocsolver6v33100L21syevj_diag_rotate_orgILb1EddPdEEvbiT2_iilPT0_Pi
; %bb.0:
	s_clause 0x1
	s_load_b64 s[16:17], s[0:1], 0x0
	s_load_b64 s[2:3], s[0:1], 0x28
	s_mov_b32 s8, s15
	s_waitcnt lgkmcnt(0)
	s_bitcmp1_b32 s16, 0
	s_cselect_b32 s6, -1, 0
	s_ashr_i32 s9, s15, 31
	s_delay_alu instid0(SALU_CYCLE_1) | instskip(NEXT) | instid1(SALU_CYCLE_1)
	s_lshl_b64 s[4:5], s[8:9], 2
	s_add_u32 s2, s2, s4
	s_addc_u32 s3, s3, s5
	s_load_b32 s2, s[2:3], 0x4
	s_waitcnt lgkmcnt(0)
	s_cmp_lg_u32 s2, 0
	s_cselect_b32 s2, -1, 0
	s_cmp_eq_u32 s13, s14
	s_cselect_b32 s3, -1, 0
	s_delay_alu instid0(SALU_CYCLE_1) | instskip(NEXT) | instid1(SALU_CYCLE_1)
	s_and_b32 s3, s3, s6
	s_or_b32 s2, s3, s2
	s_delay_alu instid0(SALU_CYCLE_1)
	s_and_b32 vcc_lo, exec_lo, s2
	s_cbranch_vccnz .LBB48_7
; %bb.1:
	s_load_b32 s2, s[0:1], 0x3c
	v_bfe_u32 v3, v0, 10, 10
	s_add_u32 s10, s0, 48
	v_and_b32_e32 v2, 0x3ff, v0
	s_addc_u32 s11, s1, 0
	s_waitcnt lgkmcnt(0)
	s_and_b32 s15, s2, 0xffff
	s_mov_b32 s2, exec_lo
	v_mad_u64_u32 v[0:1], null, s14, s15, v[3:4]
	s_mul_i32 s14, s13, s15
	s_delay_alu instid0(SALU_CYCLE_1) | instskip(NEXT) | instid1(VALU_DEP_1)
	v_add_nc_u32_e32 v6, s14, v2
	v_max_i32_e32 v1, v6, v0
	s_delay_alu instid0(VALU_DEP_1)
	v_cmpx_gt_i32_e64 s17, v1
	s_cbranch_execz .LBB48_7
; %bb.2:
	s_load_b256 s[0:7], s[0:1], 0x8
	s_sub_i32 s12, s17, s14
	s_delay_alu instid0(SALU_CYCLE_1)
	s_min_i32 s12, s12, s15
	s_waitcnt lgkmcnt(0)
	s_mul_i32 s5, s8, s5
	s_mul_hi_u32 s16, s8, s4
	s_mul_i32 s9, s9, s4
	s_add_i32 s5, s16, s5
	s_mul_i32 s4, s8, s4
	s_add_i32 s5, s5, s9
	s_ashr_i32 s17, s2, 31
	s_lshl_b64 s[4:5], s[4:5], 3
	s_mov_b32 s16, s2
	v_mul_lo_u32 v7, v0, s3
	s_add_u32 s2, s0, s4
	s_addc_u32 s3, s1, s5
	s_lshl_b64 s[0:1], s[16:17], 3
	s_delay_alu instid0(SALU_CYCLE_1)
	s_add_u32 s0, s2, s0
	s_addc_u32 s1, s3, s1
	s_cmp_lt_i32 s12, 1
	s_cbranch_scc1 .LBB48_5
; %bb.3:
	s_load_b32 s2, s[10:11], 0x0
	v_lshlrev_b32_e32 v2, 3, v2
	v_mov_b32_e32 v0, 0
	v_dual_mov_b32 v1, 0 :: v_dual_add_nc_u32 v4, s14, v7
	s_waitcnt lgkmcnt(0)
	s_mul_i32 s2, s2, s8
	s_delay_alu instid0(SALU_CYCLE_1) | instskip(NEXT) | instid1(SALU_CYCLE_1)
	s_add_i32 s2, s2, s13
	s_mul_i32 s2, s2, s15
	s_delay_alu instid0(SALU_CYCLE_1) | instskip(NEXT) | instid1(SALU_CYCLE_1)
	s_mul_i32 s2, s2, s15
	s_ashr_i32 s3, s2, 31
	s_delay_alu instid0(SALU_CYCLE_1) | instskip(NEXT) | instid1(SALU_CYCLE_1)
	s_lshl_b64 s[2:3], s[2:3], 3
	s_add_u32 s2, s6, s2
	s_addc_u32 s3, s7, s3
	v_add_co_u32 v2, s2, s2, v2
	s_delay_alu instid0(VALU_DEP_1)
	v_add_co_ci_u32_e64 v3, null, s3, 0, s2
	s_lshl_b32 s2, s15, 3
	.p2align	6
.LBB48_4:                               ; =>This Inner Loop Header: Depth=1
	v_ashrrev_i32_e32 v5, 31, v4
	s_add_i32 s12, s12, -1
	s_delay_alu instid0(SALU_CYCLE_1) | instskip(NEXT) | instid1(VALU_DEP_1)
	s_cmp_lg_u32 s12, 0
	v_lshlrev_b64 v[8:9], 3, v[4:5]
	v_add_nc_u32_e32 v4, 1, v4
	s_delay_alu instid0(VALU_DEP_2) | instskip(NEXT) | instid1(VALU_DEP_3)
	v_add_co_u32 v8, vcc_lo, s0, v8
	v_add_co_ci_u32_e32 v9, vcc_lo, s1, v9, vcc_lo
	global_load_b64 v[10:11], v[2:3], off
	global_load_b64 v[8:9], v[8:9], off
	v_add_co_u32 v2, vcc_lo, v2, s2
	v_add_co_ci_u32_e32 v3, vcc_lo, 0, v3, vcc_lo
	s_waitcnt vmcnt(0)
	v_fma_f64 v[0:1], v[10:11], v[8:9], v[0:1]
	s_cbranch_scc1 .LBB48_4
	s_branch .LBB48_6
.LBB48_5:
	v_mov_b32_e32 v0, 0
	v_mov_b32_e32 v1, 0
.LBB48_6:
	v_add_nc_u32_e32 v2, v7, v6
	s_barrier
	buffer_gl0_inv
	v_ashrrev_i32_e32 v3, 31, v2
	s_delay_alu instid0(VALU_DEP_1) | instskip(NEXT) | instid1(VALU_DEP_1)
	v_lshlrev_b64 v[2:3], 3, v[2:3]
	v_add_co_u32 v2, vcc_lo, s0, v2
	s_delay_alu instid0(VALU_DEP_2)
	v_add_co_ci_u32_e32 v3, vcc_lo, s1, v3, vcc_lo
	global_store_b64 v[2:3], v[0:1], off
.LBB48_7:
	s_nop 0
	s_sendmsg sendmsg(MSG_DEALLOC_VGPRS)
	s_endpgm
	.section	.rodata,"a",@progbits
	.p2align	6, 0x0
	.amdhsa_kernel _ZN9rocsolver6v33100L21syevj_diag_rotate_orgILb1EddPdEEvbiT2_iilPT0_Pi
		.amdhsa_group_segment_fixed_size 0
		.amdhsa_private_segment_fixed_size 0
		.amdhsa_kernarg_size 304
		.amdhsa_user_sgpr_count 13
		.amdhsa_user_sgpr_dispatch_ptr 0
		.amdhsa_user_sgpr_queue_ptr 0
		.amdhsa_user_sgpr_kernarg_segment_ptr 1
		.amdhsa_user_sgpr_dispatch_id 0
		.amdhsa_user_sgpr_private_segment_size 0
		.amdhsa_wavefront_size32 1
		.amdhsa_uses_dynamic_stack 0
		.amdhsa_enable_private_segment 0
		.amdhsa_system_sgpr_workgroup_id_x 1
		.amdhsa_system_sgpr_workgroup_id_y 1
		.amdhsa_system_sgpr_workgroup_id_z 1
		.amdhsa_system_sgpr_workgroup_info 0
		.amdhsa_system_vgpr_workitem_id 1
		.amdhsa_next_free_vgpr 12
		.amdhsa_next_free_sgpr 18
		.amdhsa_reserve_vcc 1
		.amdhsa_float_round_mode_32 0
		.amdhsa_float_round_mode_16_64 0
		.amdhsa_float_denorm_mode_32 3
		.amdhsa_float_denorm_mode_16_64 3
		.amdhsa_dx10_clamp 1
		.amdhsa_ieee_mode 1
		.amdhsa_fp16_overflow 0
		.amdhsa_workgroup_processor_mode 1
		.amdhsa_memory_ordered 1
		.amdhsa_forward_progress 0
		.amdhsa_shared_vgpr_count 0
		.amdhsa_exception_fp_ieee_invalid_op 0
		.amdhsa_exception_fp_denorm_src 0
		.amdhsa_exception_fp_ieee_div_zero 0
		.amdhsa_exception_fp_ieee_overflow 0
		.amdhsa_exception_fp_ieee_underflow 0
		.amdhsa_exception_fp_ieee_inexact 0
		.amdhsa_exception_int_div_zero 0
	.end_amdhsa_kernel
	.section	.text._ZN9rocsolver6v33100L21syevj_diag_rotate_orgILb1EddPdEEvbiT2_iilPT0_Pi,"axG",@progbits,_ZN9rocsolver6v33100L21syevj_diag_rotate_orgILb1EddPdEEvbiT2_iilPT0_Pi,comdat
.Lfunc_end48:
	.size	_ZN9rocsolver6v33100L21syevj_diag_rotate_orgILb1EddPdEEvbiT2_iilPT0_Pi, .Lfunc_end48-_ZN9rocsolver6v33100L21syevj_diag_rotate_orgILb1EddPdEEvbiT2_iilPT0_Pi
                                        ; -- End function
	.section	.AMDGPU.csdata,"",@progbits
; Kernel info:
; codeLenInByte = 560
; NumSgprs: 20
; NumVgprs: 12
; ScratchSize: 0
; MemoryBound: 0
; FloatMode: 240
; IeeeMode: 1
; LDSByteSize: 0 bytes/workgroup (compile time only)
; SGPRBlocks: 2
; VGPRBlocks: 1
; NumSGPRsForWavesPerEU: 20
; NumVGPRsForWavesPerEU: 12
; Occupancy: 16
; WaveLimiterHint : 0
; COMPUTE_PGM_RSRC2:SCRATCH_EN: 0
; COMPUTE_PGM_RSRC2:USER_SGPR: 13
; COMPUTE_PGM_RSRC2:TRAP_HANDLER: 0
; COMPUTE_PGM_RSRC2:TGID_X_EN: 1
; COMPUTE_PGM_RSRC2:TGID_Y_EN: 1
; COMPUTE_PGM_RSRC2:TGID_Z_EN: 1
; COMPUTE_PGM_RSRC2:TIDIG_COMP_CNT: 1
	.section	.text._ZN9rocsolver6v33100L17syevj_diag_rotateILb0EddPdEEvbiiT2_iilPT0_Pii,"axG",@progbits,_ZN9rocsolver6v33100L17syevj_diag_rotateILb0EddPdEEvbiiT2_iilPT0_Pii,comdat
	.globl	_ZN9rocsolver6v33100L17syevj_diag_rotateILb0EddPdEEvbiiT2_iilPT0_Pii ; -- Begin function _ZN9rocsolver6v33100L17syevj_diag_rotateILb0EddPdEEvbiiT2_iilPT0_Pii
	.p2align	8
	.type	_ZN9rocsolver6v33100L17syevj_diag_rotateILb0EddPdEEvbiiT2_iilPT0_Pii,@function
_ZN9rocsolver6v33100L17syevj_diag_rotateILb0EddPdEEvbiiT2_iilPT0_Pii: ; @_ZN9rocsolver6v33100L17syevj_diag_rotateILb0EddPdEEvbiiT2_iilPT0_Pii
; %bb.0:
	s_load_b128 s[36:39], s[0:1], 0x0
	v_mov_b32_e32 v41, v0
	s_mov_b32 s26, s15
	s_mov_b64 s[22:23], s[0:1]
	s_mov_b32 s21, s14
	s_mov_b32 s24, s13
	s_mov_b32 s0, -1
	s_mov_b32 s32, 0
	s_waitcnt lgkmcnt(0)
	s_abs_i32 s27, s37
	s_mul_i32 s25, s37, s37
	v_cvt_f32_u32_e32 v0, s27
	s_cmpk_lt_u32 s25, 0x2001
	s_delay_alu instid0(VALU_DEP_1) | instskip(SKIP_2) | instid1(VALU_DEP_1)
	v_rcp_iflag_f32_e32 v0, v0
	s_waitcnt_depctr 0xfff
	v_mul_f32_e32 v0, 0x4f7ffffe, v0
	v_cvt_u32_f32_e32 v0, v0
	s_delay_alu instid0(VALU_DEP_1)
	v_readfirstlane_b32 s28, v0
	s_cbranch_scc1 .LBB49_2
; %bb.1:
	s_add_u32 s8, s22, 64
	s_addc_u32 s9, s23, 0
	s_getpc_b64 s[0:1]
	s_add_u32 s0, s0, __PRETTY_FUNCTION__._ZN9rocsolver6v33100L17syevj_diag_rotateILb0EddPdEEvbiiT2_iilPT0_Pii@rel32@lo+4
	s_addc_u32 s1, s1, __PRETTY_FUNCTION__._ZN9rocsolver6v33100L17syevj_diag_rotateILb0EddPdEEvbiiT2_iilPT0_Pii@rel32@hi+12
	s_delay_alu instid0(SALU_CYCLE_1) | instskip(SKIP_3) | instid1(SALU_CYCLE_1)
	v_dual_mov_b32 v0, s0 :: v_dual_mov_b32 v1, s1
	s_getpc_b64 s[2:3]
	s_add_u32 s2, s2, __assert_fail@rel32@lo+4
	s_addc_u32 s3, s3, __assert_fail@rel32@hi+12
	s_swappc_b64 s[30:31], s[2:3]
	; divergent unreachable
	s_mov_b32 s0, 0
.LBB49_2:
	s_delay_alu instid0(SALU_CYCLE_1)
	s_and_not1_b32 vcc_lo, exec_lo, s0
	s_cbranch_vccnz .LBB49_35
; %bb.3:
	s_load_b32 s18, s[22:23], 0x38
	s_waitcnt lgkmcnt(0)
	s_cmp_ge_u32 s26, s18
	s_cbranch_scc1 .LBB49_35
; %bb.4:
	s_load_b128 s[12:15], s[22:23], 0x40
	s_sub_i32 s0, 0, s27
	s_add_i32 s1, s38, -1
	s_mul_i32 s0, s0, s28
	s_abs_i32 s17, s1
	s_mul_hi_u32 s0, s28, s0
	s_ashr_i32 s16, s37, 31
	s_add_i32 s28, s28, s0
	s_ashr_i32 s1, s1, 31
	s_cmpk_lt_u32 s25, 0x1001
	s_mul_hi_u32 s0, s17, s28
	s_clause 0x1
	s_load_b256 s[4:11], s[22:23], 0x10
	s_load_b64 s[2:3], s[22:23], 0x30
	s_cselect_b32 s19, -1, 0
	s_bitcmp1_b32 s36, 0
	s_mul_i32 s22, s0, s27
	s_cselect_b32 s20, -1, 0
	s_xor_b32 s1, s1, s16
	s_sub_i32 s16, s17, s22
	s_add_i32 s17, s0, 1
	s_sub_i32 s23, s16, s27
	s_waitcnt lgkmcnt(0)
	s_lshr_b32 s22, s15, 16
	s_and_b32 s15, s15, 0xffff
	s_cmp_ge_u32 s16, s27
	v_and_b32_e32 v0, 0x3ff, v41
	s_cselect_b32 s0, s17, s0
	s_cselect_b32 s16, s23, s16
	s_add_i32 s17, s0, 1
	s_cmp_ge_u32 s16, s27
	v_bfe_u32 v5, v41, 10, 10
	s_cselect_b32 s0, s17, s0
	s_lshl_b32 s16, s25, 3
	s_xor_b32 s0, s0, s1
	s_add_i32 s29, s16, 0
	s_sub_i32 s23, s0, s1
	s_mov_b64 s[0:1], src_shared_base
	s_add_i32 s28, s23, 1
	s_ashr_i32 s41, s6, 31
	v_mad_u64_u32 v[1:2], null, v5, s37, v[0:1]
	s_cmp_lt_u32 s24, s28
	s_mul_i32 s0, s23, s37
	s_mov_b32 s40, s6
	v_mad_u32_u24 v6, v5, s15, v0
	s_cselect_b32 s6, -1, 0
	s_sub_i32 s31, s38, s0
	s_cmp_lt_u32 s21, s28
	v_lshl_add_u32 v8, v1, 3, 0
	s_cselect_b32 s34, -1, 0
	s_ashr_i32 s35, s7, 31
	s_add_u32 s36, s2, 4
	v_cmp_gt_u32_e64 s0, s25, v6
	s_addc_u32 s38, s3, 0
	s_lshl_b64 s[2:3], s[40:41], 3
	v_lshl_add_u32 v7, v6, 3, s29
	v_lshl_add_u32 v9, v0, 3, 0
	v_mov_b32_e32 v2, 0
	s_mov_b32 s30, s1
	s_mul_i32 s33, s22, s15
	s_mul_i32 s1, s37, s22
	s_add_u32 s4, s4, s2
	s_mov_b32 s17, 0
	s_addc_u32 s5, s5, s3
	s_lshl_b32 s39, s33, 3
	s_mul_i32 s40, s21, s37
	s_mul_i32 s41, s13, s37
	s_lshl_b32 s42, s1, 3
	s_lshl_b32 s43, s15, 3
	;; [unrolled: 1-line block ×3, first 2 shown]
	s_branch .LBB49_6
.LBB49_5:                               ;   in Loop: Header=BB49_6 Depth=1
	s_add_i32 s26, s26, s14
	s_delay_alu instid0(SALU_CYCLE_1)
	s_cmp_lt_u32 s26, s18
	s_cbranch_scc0 .LBB49_35
.LBB49_6:                               ; =>This Loop Header: Depth=1
                                        ;     Child Loop BB49_10 Depth 2
                                        ;       Child Loop BB49_13 Depth 3
                                        ;       Child Loop BB49_19 Depth 3
                                        ;         Child Loop BB49_23 Depth 4
                                        ;           Child Loop BB49_25 Depth 5
                                        ;         Child Loop BB49_29 Depth 4
                                        ;           Child Loop BB49_32 Depth 5
                                        ;             Child Loop BB49_34 Depth 6
	s_mov_b32 s27, s17
	s_delay_alu instid0(SALU_CYCLE_1) | instskip(NEXT) | instid1(SALU_CYCLE_1)
	s_lshl_b64 s[2:3], s[26:27], 2
	s_add_u32 s2, s36, s2
	s_addc_u32 s3, s38, s3
	global_load_b32 v1, v2, s[2:3]
	s_waitcnt vmcnt(0)
	v_cmp_ne_u32_e32 vcc_lo, 0, v1
	s_cbranch_vccnz .LBB49_5
; %bb.7:                                ;   in Loop: Header=BB49_6 Depth=1
	s_and_not1_b32 vcc_lo, exec_lo, s6
	s_cbranch_vccnz .LBB49_5
; %bb.8:                                ;   in Loop: Header=BB49_6 Depth=1
	s_mul_i32 s1, s26, s9
	s_mul_hi_u32 s3, s26, s8
	s_mul_i32 s2, s26, s8
	s_add_i32 s3, s3, s1
	s_mul_i32 s27, s26, s28
	s_lshl_b64 s[2:3], s[2:3], 3
	s_mov_b32 s47, s24
	s_add_u32 s45, s4, s2
	s_addc_u32 s46, s5, s3
	s_branch .LBB49_10
.LBB49_9:                               ;   in Loop: Header=BB49_10 Depth=2
	s_add_i32 s47, s47, s12
	s_delay_alu instid0(SALU_CYCLE_1)
	s_cmp_ge_u32 s47, s28
	s_cbranch_scc1 .LBB49_5
.LBB49_10:                              ;   Parent Loop BB49_6 Depth=1
                                        ; =>  This Loop Header: Depth=2
                                        ;       Child Loop BB49_13 Depth 3
                                        ;       Child Loop BB49_19 Depth 3
                                        ;         Child Loop BB49_23 Depth 4
                                        ;           Child Loop BB49_25 Depth 5
                                        ;         Child Loop BB49_29 Depth 4
                                        ;           Child Loop BB49_32 Depth 5
                                        ;             Child Loop BB49_34 Depth 6
	s_add_i32 s1, s47, s27
	s_delay_alu instid0(SALU_CYCLE_1) | instskip(NEXT) | instid1(SALU_CYCLE_1)
	s_mul_i32 s16, s1, s25
	s_lshl_b64 s[2:3], s[16:17], 3
	s_delay_alu instid0(SALU_CYCLE_1)
	s_add_u32 s1, s10, s2
	s_addc_u32 s2, s11, s3
	s_and_not1_b32 vcc_lo, exec_lo, s19
	s_cbranch_vccnz .LBB49_15
; %bb.11:                               ;   in Loop: Header=BB49_10 Depth=2
	s_waitcnt_vscnt null, 0x0
	s_barrier
	buffer_gl0_inv
	s_and_saveexec_b32 s3, s0
	s_cbranch_execz .LBB49_14
; %bb.12:                               ;   in Loop: Header=BB49_10 Depth=2
	v_mov_b32_e32 v3, v7
	v_mov_b32_e32 v1, v6
	s_mov_b32 s16, 0
.LBB49_13:                              ;   Parent Loop BB49_6 Depth=1
                                        ;     Parent Loop BB49_10 Depth=2
                                        ; =>    This Inner Loop Header: Depth=3
	s_delay_alu instid0(VALU_DEP_1) | instskip(SKIP_1) | instid1(VALU_DEP_2)
	v_lshlrev_b64 v[10:11], 3, v[1:2]
	v_add_nc_u32_e32 v1, s33, v1
	v_add_co_u32 v10, vcc_lo, s1, v10
	s_delay_alu instid0(VALU_DEP_3) | instskip(NEXT) | instid1(VALU_DEP_3)
	v_add_co_ci_u32_e32 v11, vcc_lo, s2, v11, vcc_lo
	v_cmp_le_u32_e32 vcc_lo, s25, v1
	global_load_b64 v[10:11], v[10:11], off
	s_or_b32 s16, vcc_lo, s16
	s_waitcnt vmcnt(0)
	ds_store_b64 v3, v[10:11]
	v_add_nc_u32_e32 v3, s39, v3
	s_and_not1_b32 exec_lo, exec_lo, s16
	s_cbranch_execnz .LBB49_13
.LBB49_14:                              ;   in Loop: Header=BB49_10 Depth=2
	s_or_b32 exec_lo, exec_lo, s3
	s_waitcnt lgkmcnt(0)
	s_barrier
	buffer_gl0_inv
.LBB49_15:                              ;   in Loop: Header=BB49_10 Depth=2
	s_and_not1_b32 vcc_lo, exec_lo, s34
	s_cbranch_vccnz .LBB49_9
; %bb.16:                               ;   in Loop: Header=BB49_10 Depth=2
	s_and_b32 s3, s19, exec_lo
	s_cselect_b32 s16, s30, s2
	s_cselect_b32 s48, s29, s1
	s_cmp_eq_u32 s23, s47
	s_mul_i32 s51, s47, s37
	s_cselect_b32 s49, s31, s37
	s_mov_b32 s52, s40
	v_cmp_gt_u32_e64 s1, s49, v5
	s_cmp_gt_i32 s49, 0
	s_mov_b32 s53, s21
	s_cselect_b32 s50, -1, 0
	s_branch .LBB49_19
.LBB49_17:                              ;   in Loop: Header=BB49_19 Depth=3
	s_or_b32 exec_lo, exec_lo, s55
	s_waitcnt_vscnt null, 0x0
	s_barrier
	buffer_gl0_inv
.LBB49_18:                              ;   in Loop: Header=BB49_19 Depth=3
	s_add_i32 s53, s53, s13
	s_add_i32 s52, s52, s41
	s_cmp_ge_u32 s53, s28
	s_cbranch_scc1 .LBB49_9
.LBB49_19:                              ;   Parent Loop BB49_6 Depth=1
                                        ;     Parent Loop BB49_10 Depth=2
                                        ; =>    This Loop Header: Depth=3
                                        ;         Child Loop BB49_23 Depth 4
                                        ;           Child Loop BB49_25 Depth 5
                                        ;         Child Loop BB49_29 Depth 4
                                        ;           Child Loop BB49_32 Depth 5
                                        ;             Child Loop BB49_34 Depth 6
	s_cmp_eq_u32 s47, s53
	s_cselect_b32 s2, -1, 0
	s_delay_alu instid0(SALU_CYCLE_1) | instskip(NEXT) | instid1(SALU_CYCLE_1)
	s_and_b32 s2, s2, s20
	s_and_b32 vcc_lo, exec_lo, s2
	s_cbranch_vccnz .LBB49_18
; %bb.20:                               ;   in Loop: Header=BB49_19 Depth=3
	s_cmp_eq_u32 s23, s53
	s_waitcnt_vscnt null, 0x0
	s_cselect_b32 s54, s31, s37
	s_barrier
	buffer_gl0_inv
	s_and_saveexec_b32 s3, s1
	s_cbranch_execz .LBB49_26
; %bb.21:                               ;   in Loop: Header=BB49_19 Depth=3
	v_cmp_gt_u32_e32 vcc_lo, s54, v0
	v_dual_mov_b32 v3, v8 :: v_dual_mov_b32 v4, v5
	s_mov_b32 s55, 0
	s_set_inst_prefetch_distance 0x1
	s_branch .LBB49_23
	.p2align	6
.LBB49_22:                              ;   in Loop: Header=BB49_23 Depth=4
	s_or_b32 exec_lo, exec_lo, s56
	v_add_nc_u32_e32 v4, s22, v4
	v_add_nc_u32_e32 v3, s42, v3
	s_delay_alu instid0(VALU_DEP_2) | instskip(NEXT) | instid1(VALU_DEP_1)
	v_cmp_le_u32_e64 s2, s49, v4
	s_or_b32 s55, s2, s55
	s_delay_alu instid0(SALU_CYCLE_1)
	s_and_not1_b32 exec_lo, exec_lo, s55
	s_cbranch_execz .LBB49_26
.LBB49_23:                              ;   Parent Loop BB49_6 Depth=1
                                        ;     Parent Loop BB49_10 Depth=2
                                        ;       Parent Loop BB49_19 Depth=3
                                        ; =>      This Loop Header: Depth=4
                                        ;           Child Loop BB49_25 Depth 5
	s_and_saveexec_b32 s56, vcc_lo
	s_cbranch_execz .LBB49_22
; %bb.24:                               ;   in Loop: Header=BB49_23 Depth=4
	v_add_nc_u32_e32 v13, s51, v4
	s_mov_b32 s57, 0
	s_delay_alu instid0(VALU_DEP_1) | instskip(NEXT) | instid1(VALU_DEP_1)
	v_mad_u64_u32 v[10:11], null, v13, s7, 0
	v_mov_b32_e32 v1, v11
	s_delay_alu instid0(VALU_DEP_1) | instskip(SKIP_1) | instid1(VALU_DEP_2)
	v_mad_u64_u32 v[11:12], null, v13, s35, v[1:2]
	v_mov_b32_e32 v13, v0
	v_lshlrev_b64 v[11:12], 3, v[10:11]
	v_mov_b32_e32 v10, v3
	s_delay_alu instid0(VALU_DEP_2) | instskip(NEXT) | instid1(VALU_DEP_1)
	v_add_co_u32 v11, s2, s45, v11
	v_add_co_ci_u32_e64 v12, s2, s46, v12, s2
	.p2align	6
.LBB49_25:                              ;   Parent Loop BB49_6 Depth=1
                                        ;     Parent Loop BB49_10 Depth=2
                                        ;       Parent Loop BB49_19 Depth=3
                                        ;         Parent Loop BB49_23 Depth=4
                                        ; =>        This Inner Loop Header: Depth=5
	v_add_nc_u32_e32 v1, s52, v13
	v_add_nc_u32_e32 v13, s15, v13
	s_delay_alu instid0(VALU_DEP_2) | instskip(NEXT) | instid1(VALU_DEP_1)
	v_lshlrev_b64 v[14:15], 3, v[1:2]
	v_add_co_u32 v14, s2, v11, v14
	s_delay_alu instid0(VALU_DEP_1) | instskip(NEXT) | instid1(VALU_DEP_4)
	v_add_co_ci_u32_e64 v15, s2, v12, v15, s2
	v_cmp_le_u32_e64 s2, s54, v13
	global_load_b64 v[14:15], v[14:15], off
	s_or_b32 s57, s2, s57
	s_waitcnt vmcnt(0)
	ds_store_b64 v10, v[14:15]
	v_add_nc_u32_e32 v10, s43, v10
	s_and_not1_b32 exec_lo, exec_lo, s57
	s_cbranch_execnz .LBB49_25
	s_branch .LBB49_22
.LBB49_26:                              ;   in Loop: Header=BB49_19 Depth=3
	s_set_inst_prefetch_distance 0x2
	s_or_b32 exec_lo, exec_lo, s3
	s_waitcnt lgkmcnt(0)
	s_barrier
	buffer_gl0_inv
	s_and_saveexec_b32 s55, s1
	s_cbranch_execz .LBB49_17
; %bb.27:                               ;   in Loop: Header=BB49_19 Depth=3
	v_cmp_gt_u32_e64 s2, s54, v0
	v_mov_b32_e32 v10, v5
	s_mul_i32 s56, s53, s37
	s_mov_b32 s57, 0
	s_branch .LBB49_29
.LBB49_28:                              ;   in Loop: Header=BB49_29 Depth=4
	s_set_inst_prefetch_distance 0x2
	s_or_b32 exec_lo, exec_lo, s58
	v_add_nc_u32_e32 v10, s22, v10
	s_delay_alu instid0(VALU_DEP_1) | instskip(SKIP_1) | instid1(SALU_CYCLE_1)
	v_cmp_le_u32_e32 vcc_lo, s49, v10
	s_or_b32 s57, vcc_lo, s57
	s_and_not1_b32 exec_lo, exec_lo, s57
	s_cbranch_execz .LBB49_17
.LBB49_29:                              ;   Parent Loop BB49_6 Depth=1
                                        ;     Parent Loop BB49_10 Depth=2
                                        ;       Parent Loop BB49_19 Depth=3
                                        ; =>      This Loop Header: Depth=4
                                        ;           Child Loop BB49_32 Depth 5
                                        ;             Child Loop BB49_34 Depth 6
	s_and_saveexec_b32 s58, s2
	s_cbranch_execz .LBB49_28
; %bb.30:                               ;   in Loop: Header=BB49_29 Depth=4
	v_add_nc_u32_e32 v13, s51, v10
	s_mov_b32 s59, 0
	v_mov_b32_e32 v14, v0
	s_delay_alu instid0(VALU_DEP_2) | instskip(NEXT) | instid1(VALU_DEP_1)
	v_mad_u64_u32 v[3:4], null, v13, s7, 0
	v_mov_b32_e32 v1, v4
	s_delay_alu instid0(VALU_DEP_1) | instskip(NEXT) | instid1(VALU_DEP_1)
	v_mad_u64_u32 v[11:12], null, v13, s35, v[1:2]
	v_dual_mov_b32 v4, v11 :: v_dual_mov_b32 v11, v9
	s_delay_alu instid0(VALU_DEP_1) | instskip(NEXT) | instid1(VALU_DEP_1)
	v_lshlrev_b64 v[3:4], 3, v[3:4]
	v_add_co_u32 v12, vcc_lo, s45, v3
	s_delay_alu instid0(VALU_DEP_2)
	v_add_co_ci_u32_e32 v13, vcc_lo, s46, v4, vcc_lo
	s_set_inst_prefetch_distance 0x1
	s_branch .LBB49_32
	.p2align	6
.LBB49_31:                              ;   in Loop: Header=BB49_32 Depth=5
	v_add_nc_u32_e32 v1, s56, v14
	v_add_nc_u32_e32 v14, s15, v14
	;; [unrolled: 1-line block ×3, first 2 shown]
	s_delay_alu instid0(VALU_DEP_3) | instskip(NEXT) | instid1(VALU_DEP_3)
	v_lshlrev_b64 v[15:16], 3, v[1:2]
	v_cmp_le_u32_e32 vcc_lo, s54, v14
	s_or_b32 s59, vcc_lo, s59
	s_delay_alu instid0(VALU_DEP_2) | instskip(NEXT) | instid1(VALU_DEP_1)
	v_add_co_u32 v15, s3, v12, v15
	v_add_co_ci_u32_e64 v16, s3, v13, v16, s3
	global_store_b64 v[15:16], v[3:4], off
	s_and_not1_b32 exec_lo, exec_lo, s59
	s_cbranch_execz .LBB49_28
.LBB49_32:                              ;   Parent Loop BB49_6 Depth=1
                                        ;     Parent Loop BB49_10 Depth=2
                                        ;       Parent Loop BB49_19 Depth=3
                                        ;         Parent Loop BB49_29 Depth=4
                                        ; =>        This Loop Header: Depth=5
                                        ;             Child Loop BB49_34 Depth 6
	v_mov_b32_e32 v3, 0
	v_mov_b32_e32 v4, 0
	s_and_not1_b32 vcc_lo, exec_lo, s50
	s_cbranch_vccnz .LBB49_31
; %bb.33:                               ;   in Loop: Header=BB49_32 Depth=5
	v_mov_b32_e32 v15, v11
	v_mov_b32_e32 v1, v10
	s_mov_b32 s3, s49
	.p2align	6
.LBB49_34:                              ;   Parent Loop BB49_6 Depth=1
                                        ;     Parent Loop BB49_10 Depth=2
                                        ;       Parent Loop BB49_19 Depth=3
                                        ;         Parent Loop BB49_29 Depth=4
                                        ;           Parent Loop BB49_32 Depth=5
                                        ; =>          This Inner Loop Header: Depth=6
	s_delay_alu instid0(VALU_DEP_1) | instskip(SKIP_4) | instid1(SALU_CYCLE_1)
	v_lshlrev_b64 v[16:17], 3, v[1:2]
	ds_load_b64 v[18:19], v15
	v_add_nc_u32_e32 v1, s37, v1
	v_add_nc_u32_e32 v15, s44, v15
	s_add_i32 s3, s3, -1
	s_cmp_eq_u32 s3, 0
	v_add_co_u32 v16, vcc_lo, s48, v16
	v_add_co_ci_u32_e32 v17, vcc_lo, s16, v17, vcc_lo
	flat_load_b64 v[16:17], v[16:17]
	s_waitcnt vmcnt(0) lgkmcnt(0)
	v_fma_f64 v[3:4], v[18:19], v[16:17], v[3:4]
	s_cbranch_scc0 .LBB49_34
	s_branch .LBB49_31
.LBB49_35:
	s_endpgm
	.section	.rodata,"a",@progbits
	.p2align	6, 0x0
	.amdhsa_kernel _ZN9rocsolver6v33100L17syevj_diag_rotateILb0EddPdEEvbiiT2_iilPT0_Pii
		.amdhsa_group_segment_fixed_size 0
		.amdhsa_private_segment_fixed_size 64
		.amdhsa_kernarg_size 320
		.amdhsa_user_sgpr_count 13
		.amdhsa_user_sgpr_dispatch_ptr 0
		.amdhsa_user_sgpr_queue_ptr 0
		.amdhsa_user_sgpr_kernarg_segment_ptr 1
		.amdhsa_user_sgpr_dispatch_id 0
		.amdhsa_user_sgpr_private_segment_size 0
		.amdhsa_wavefront_size32 1
		.amdhsa_uses_dynamic_stack 0
		.amdhsa_enable_private_segment 1
		.amdhsa_system_sgpr_workgroup_id_x 1
		.amdhsa_system_sgpr_workgroup_id_y 1
		.amdhsa_system_sgpr_workgroup_id_z 1
		.amdhsa_system_sgpr_workgroup_info 0
		.amdhsa_system_vgpr_workitem_id 1
		.amdhsa_next_free_vgpr 42
		.amdhsa_next_free_sgpr 60
		.amdhsa_reserve_vcc 1
		.amdhsa_float_round_mode_32 0
		.amdhsa_float_round_mode_16_64 0
		.amdhsa_float_denorm_mode_32 3
		.amdhsa_float_denorm_mode_16_64 3
		.amdhsa_dx10_clamp 1
		.amdhsa_ieee_mode 1
		.amdhsa_fp16_overflow 0
		.amdhsa_workgroup_processor_mode 1
		.amdhsa_memory_ordered 1
		.amdhsa_forward_progress 0
		.amdhsa_shared_vgpr_count 0
		.amdhsa_exception_fp_ieee_invalid_op 0
		.amdhsa_exception_fp_denorm_src 0
		.amdhsa_exception_fp_ieee_div_zero 0
		.amdhsa_exception_fp_ieee_overflow 0
		.amdhsa_exception_fp_ieee_underflow 0
		.amdhsa_exception_fp_ieee_inexact 0
		.amdhsa_exception_int_div_zero 0
	.end_amdhsa_kernel
	.section	.text._ZN9rocsolver6v33100L17syevj_diag_rotateILb0EddPdEEvbiiT2_iilPT0_Pii,"axG",@progbits,_ZN9rocsolver6v33100L17syevj_diag_rotateILb0EddPdEEvbiiT2_iilPT0_Pii,comdat
.Lfunc_end49:
	.size	_ZN9rocsolver6v33100L17syevj_diag_rotateILb0EddPdEEvbiiT2_iilPT0_Pii, .Lfunc_end49-_ZN9rocsolver6v33100L17syevj_diag_rotateILb0EddPdEEvbiiT2_iilPT0_Pii
                                        ; -- End function
	.section	.AMDGPU.csdata,"",@progbits
; Kernel info:
; codeLenInByte = 1548
; NumSgprs: 62
; NumVgprs: 42
; ScratchSize: 64
; MemoryBound: 0
; FloatMode: 240
; IeeeMode: 1
; LDSByteSize: 0 bytes/workgroup (compile time only)
; SGPRBlocks: 7
; VGPRBlocks: 5
; NumSGPRsForWavesPerEU: 62
; NumVGPRsForWavesPerEU: 42
; Occupancy: 16
; WaveLimiterHint : 1
; COMPUTE_PGM_RSRC2:SCRATCH_EN: 1
; COMPUTE_PGM_RSRC2:USER_SGPR: 13
; COMPUTE_PGM_RSRC2:TRAP_HANDLER: 0
; COMPUTE_PGM_RSRC2:TGID_X_EN: 1
; COMPUTE_PGM_RSRC2:TGID_Y_EN: 1
; COMPUTE_PGM_RSRC2:TGID_Z_EN: 1
; COMPUTE_PGM_RSRC2:TIDIG_COMP_CNT: 1
	.section	.text._ZN9rocsolver6v33100L17syevj_diag_rotateILb1EddPdEEvbiiT2_iilPT0_Pii,"axG",@progbits,_ZN9rocsolver6v33100L17syevj_diag_rotateILb1EddPdEEvbiiT2_iilPT0_Pii,comdat
	.globl	_ZN9rocsolver6v33100L17syevj_diag_rotateILb1EddPdEEvbiiT2_iilPT0_Pii ; -- Begin function _ZN9rocsolver6v33100L17syevj_diag_rotateILb1EddPdEEvbiiT2_iilPT0_Pii
	.p2align	8
	.type	_ZN9rocsolver6v33100L17syevj_diag_rotateILb1EddPdEEvbiiT2_iilPT0_Pii,@function
_ZN9rocsolver6v33100L17syevj_diag_rotateILb1EddPdEEvbiiT2_iilPT0_Pii: ; @_ZN9rocsolver6v33100L17syevj_diag_rotateILb1EddPdEEvbiiT2_iilPT0_Pii
; %bb.0:
	s_load_b128 s[36:39], s[0:1], 0x0
	v_mov_b32_e32 v41, v0
	s_mov_b32 s26, s15
	s_mov_b64 s[22:23], s[0:1]
	s_mov_b32 s21, s14
	s_mov_b32 s24, s13
	s_mov_b32 s0, -1
	s_mov_b32 s32, 0
	s_waitcnt lgkmcnt(0)
	s_abs_i32 s27, s37
	s_mul_i32 s25, s37, s37
	v_cvt_f32_u32_e32 v0, s27
	s_cmpk_lt_u32 s25, 0x2001
	s_delay_alu instid0(VALU_DEP_1) | instskip(SKIP_2) | instid1(VALU_DEP_1)
	v_rcp_iflag_f32_e32 v0, v0
	s_waitcnt_depctr 0xfff
	v_mul_f32_e32 v0, 0x4f7ffffe, v0
	v_cvt_u32_f32_e32 v0, v0
	s_delay_alu instid0(VALU_DEP_1)
	v_readfirstlane_b32 s28, v0
	s_cbranch_scc1 .LBB50_2
; %bb.1:
	s_add_u32 s8, s22, 64
	s_addc_u32 s9, s23, 0
	s_getpc_b64 s[0:1]
	s_add_u32 s0, s0, __PRETTY_FUNCTION__._ZN9rocsolver6v33100L17syevj_diag_rotateILb1EddPdEEvbiiT2_iilPT0_Pii@rel32@lo+4
	s_addc_u32 s1, s1, __PRETTY_FUNCTION__._ZN9rocsolver6v33100L17syevj_diag_rotateILb1EddPdEEvbiiT2_iilPT0_Pii@rel32@hi+12
	s_delay_alu instid0(SALU_CYCLE_1) | instskip(SKIP_3) | instid1(SALU_CYCLE_1)
	v_dual_mov_b32 v0, s0 :: v_dual_mov_b32 v1, s1
	s_getpc_b64 s[2:3]
	s_add_u32 s2, s2, __assert_fail@rel32@lo+4
	s_addc_u32 s3, s3, __assert_fail@rel32@hi+12
	s_swappc_b64 s[30:31], s[2:3]
	; divergent unreachable
	s_mov_b32 s0, 0
.LBB50_2:
	s_delay_alu instid0(SALU_CYCLE_1)
	s_and_not1_b32 vcc_lo, exec_lo, s0
	s_cbranch_vccnz .LBB50_35
; %bb.3:
	s_load_b32 s16, s[22:23], 0x38
	s_waitcnt lgkmcnt(0)
	s_cmp_ge_u32 s26, s16
	s_cbranch_scc1 .LBB50_35
; %bb.4:
	s_load_b128 s[12:15], s[22:23], 0x40
	s_sub_i32 s0, 0, s27
	s_add_i32 s1, s38, -1
	s_mul_i32 s0, s0, s28
	s_abs_i32 s3, s1
	s_mul_hi_u32 s0, s28, s0
	s_ashr_i32 s2, s37, 31
	s_add_i32 s28, s28, s0
	s_ashr_i32 s1, s1, 31
	s_cmpk_lt_u32 s25, 0x1001
	s_mul_hi_u32 s0, s3, s28
	s_clause 0x1
	s_load_b256 s[4:11], s[22:23], 0x10
	s_load_b64 s[34:35], s[22:23], 0x30
	s_cselect_b32 s17, -1, 0
	s_bitcmp1_b32 s36, 0
	s_mul_i32 s19, s0, s27
	s_cselect_b32 s18, -1, 0
	s_xor_b32 s1, s1, s2
	s_sub_i32 s2, s3, s19
	s_add_i32 s3, s0, 1
	s_sub_i32 s20, s2, s27
	s_waitcnt lgkmcnt(0)
	s_lshr_b32 s19, s15, 16
	s_and_b32 s15, s15, 0xffff
	v_bfe_u32 v5, v41, 10, 10
	s_cmp_ge_u32 s2, s27
	v_and_b32_e32 v4, 0x3ff, v41
	s_cselect_b32 s0, s3, s0
	s_cselect_b32 s2, s20, s2
	s_add_i32 s3, s0, 1
	v_mul_lo_u32 v0, v5, s37
	s_cmp_ge_u32 s2, s27
	s_mov_b32 s40, s6
	s_cselect_b32 s0, s3, s0
	s_lshl_b32 s2, s25, 3
	s_xor_b32 s0, s0, s1
	s_add_i32 s23, s2, 0
	s_sub_i32 s20, s0, s1
	v_add_nc_u32_e32 v1, v4, v0
	s_add_i32 s22, s20, 1
	s_mov_b64 s[0:1], src_shared_base
	s_ashr_i32 s41, s6, 31
	s_cmp_lt_u32 s24, s22
	s_mul_i32 s0, s20, s37
	s_cselect_b32 s6, -1, 0
	s_sub_i32 s29, s38, s0
	v_lshl_add_u32 v8, v1, 3, 0
	v_mov_b32_e32 v1, 0
	v_mad_u32_u24 v6, v5, s15, v4
	s_cmp_lt_u32 s21, s22
	v_lshl_add_u32 v9, v0, 3, 0
	s_cselect_b32 s31, -1, 0
	s_ashr_i32 s33, s7, 31
	s_add_u32 s34, s34, 4
	v_cmp_gt_u32_e64 s0, s25, v6
	s_addc_u32 s35, s35, 0
	s_lshl_b64 s[38:39], s[40:41], 3
	v_lshl_add_u32 v7, v6, 3, s23
	s_mov_b32 s28, s1
	s_mul_i32 s30, s19, s15
	s_mul_i32 s1, s37, s19
	s_add_u32 s4, s4, s38
	s_mov_b32 s3, 0
	s_addc_u32 s5, s5, s39
	s_lshl_b32 s36, s30, 3
	s_mul_i32 s38, s24, s37
	s_mul_i32 s39, s12, s37
	s_lshl_b32 s40, s1, 3
	s_lshl_b32 s41, s15, 3
	s_branch .LBB50_6
.LBB50_5:                               ;   in Loop: Header=BB50_6 Depth=1
	s_add_i32 s26, s26, s14
	s_delay_alu instid0(SALU_CYCLE_1)
	s_cmp_lt_u32 s26, s16
	s_cbranch_scc0 .LBB50_35
.LBB50_6:                               ; =>This Loop Header: Depth=1
                                        ;     Child Loop BB50_10 Depth 2
                                        ;       Child Loop BB50_13 Depth 3
                                        ;       Child Loop BB50_19 Depth 3
                                        ;         Child Loop BB50_23 Depth 4
                                        ;           Child Loop BB50_25 Depth 5
                                        ;         Child Loop BB50_29 Depth 4
                                        ;           Child Loop BB50_32 Depth 5
                                        ;             Child Loop BB50_34 Depth 6
	s_mov_b32 s27, s3
	s_delay_alu instid0(SALU_CYCLE_1) | instskip(NEXT) | instid1(SALU_CYCLE_1)
	s_lshl_b64 s[42:43], s[26:27], 2
	s_add_u32 s42, s34, s42
	s_addc_u32 s43, s35, s43
	global_load_b32 v0, v1, s[42:43]
	s_waitcnt vmcnt(0)
	v_cmp_ne_u32_e32 vcc_lo, 0, v0
	s_cbranch_vccnz .LBB50_5
; %bb.7:                                ;   in Loop: Header=BB50_6 Depth=1
	s_and_not1_b32 vcc_lo, exec_lo, s6
	s_cbranch_vccnz .LBB50_5
; %bb.8:                                ;   in Loop: Header=BB50_6 Depth=1
	s_mul_i32 s1, s26, s9
	s_mul_hi_u32 s2, s26, s8
	s_mul_i32 s42, s26, s8
	s_add_i32 s43, s2, s1
	s_mul_i32 s27, s26, s22
	s_lshl_b64 s[42:43], s[42:43], 3
	s_mov_b32 s44, s38
	s_add_u32 s42, s4, s42
	s_addc_u32 s43, s5, s43
	s_mov_b32 s45, s24
	s_branch .LBB50_10
.LBB50_9:                               ;   in Loop: Header=BB50_10 Depth=2
	s_add_i32 s45, s45, s12
	s_add_i32 s44, s44, s39
	s_cmp_ge_u32 s45, s22
	s_cbranch_scc1 .LBB50_5
.LBB50_10:                              ;   Parent Loop BB50_6 Depth=1
                                        ; =>  This Loop Header: Depth=2
                                        ;       Child Loop BB50_13 Depth 3
                                        ;       Child Loop BB50_19 Depth 3
                                        ;         Child Loop BB50_23 Depth 4
                                        ;           Child Loop BB50_25 Depth 5
                                        ;         Child Loop BB50_29 Depth 4
                                        ;           Child Loop BB50_32 Depth 5
                                        ;             Child Loop BB50_34 Depth 6
	s_add_i32 s1, s45, s27
	s_delay_alu instid0(SALU_CYCLE_1) | instskip(NEXT) | instid1(SALU_CYCLE_1)
	s_mul_i32 s2, s1, s25
	s_lshl_b64 s[46:47], s[2:3], 3
	s_delay_alu instid0(SALU_CYCLE_1)
	s_add_u32 s1, s10, s46
	s_addc_u32 s2, s11, s47
	s_and_not1_b32 vcc_lo, exec_lo, s17
	s_cbranch_vccnz .LBB50_15
; %bb.11:                               ;   in Loop: Header=BB50_10 Depth=2
	s_waitcnt_vscnt null, 0x0
	s_barrier
	buffer_gl0_inv
	s_and_saveexec_b32 s46, s0
	s_cbranch_execz .LBB50_14
; %bb.12:                               ;   in Loop: Header=BB50_10 Depth=2
	v_mov_b32_e32 v2, v7
	v_mov_b32_e32 v0, v6
	s_mov_b32 s47, 0
.LBB50_13:                              ;   Parent Loop BB50_6 Depth=1
                                        ;     Parent Loop BB50_10 Depth=2
                                        ; =>    This Inner Loop Header: Depth=3
	s_delay_alu instid0(VALU_DEP_1) | instskip(SKIP_1) | instid1(VALU_DEP_2)
	v_lshlrev_b64 v[10:11], 3, v[0:1]
	v_add_nc_u32_e32 v0, s30, v0
	v_add_co_u32 v10, vcc_lo, s1, v10
	s_delay_alu instid0(VALU_DEP_3) | instskip(NEXT) | instid1(VALU_DEP_3)
	v_add_co_ci_u32_e32 v11, vcc_lo, s2, v11, vcc_lo
	v_cmp_le_u32_e32 vcc_lo, s25, v0
	global_load_b64 v[10:11], v[10:11], off
	s_or_b32 s47, vcc_lo, s47
	s_waitcnt vmcnt(0)
	ds_store_b64 v2, v[10:11]
	v_add_nc_u32_e32 v2, s36, v2
	s_and_not1_b32 exec_lo, exec_lo, s47
	s_cbranch_execnz .LBB50_13
.LBB50_14:                              ;   in Loop: Header=BB50_10 Depth=2
	s_or_b32 exec_lo, exec_lo, s46
	s_waitcnt lgkmcnt(0)
	s_barrier
	buffer_gl0_inv
.LBB50_15:                              ;   in Loop: Header=BB50_10 Depth=2
	s_and_not1_b32 vcc_lo, exec_lo, s31
	s_cbranch_vccnz .LBB50_9
; %bb.16:                               ;   in Loop: Header=BB50_10 Depth=2
	s_and_b32 s46, s17, exec_lo
	s_cselect_b32 s46, s28, s2
	s_cselect_b32 s47, s23, s1
	s_cmp_eq_u32 s20, s45
	s_mul_i32 s50, s45, s37
	s_cselect_b32 s48, s29, s37
	s_mov_b32 s51, s21
	v_cmp_gt_u32_e64 s1, s48, v4
	s_cmp_gt_i32 s48, 0
	s_cselect_b32 s49, -1, 0
	s_branch .LBB50_19
.LBB50_17:                              ;   in Loop: Header=BB50_19 Depth=3
	s_or_b32 exec_lo, exec_lo, s54
	s_waitcnt_vscnt null, 0x0
	s_barrier
	buffer_gl0_inv
.LBB50_18:                              ;   in Loop: Header=BB50_19 Depth=3
	s_add_i32 s51, s51, s13
	s_delay_alu instid0(SALU_CYCLE_1)
	s_cmp_ge_u32 s51, s22
	s_cbranch_scc1 .LBB50_9
.LBB50_19:                              ;   Parent Loop BB50_6 Depth=1
                                        ;     Parent Loop BB50_10 Depth=2
                                        ; =>    This Loop Header: Depth=3
                                        ;         Child Loop BB50_23 Depth 4
                                        ;           Child Loop BB50_25 Depth 5
                                        ;         Child Loop BB50_29 Depth 4
                                        ;           Child Loop BB50_32 Depth 5
                                        ;             Child Loop BB50_34 Depth 6
	s_cmp_eq_u32 s45, s51
	s_cselect_b32 s2, -1, 0
	s_delay_alu instid0(SALU_CYCLE_1) | instskip(NEXT) | instid1(SALU_CYCLE_1)
	s_and_b32 s2, s2, s18
	s_and_b32 vcc_lo, exec_lo, s2
	s_cbranch_vccnz .LBB50_18
; %bb.20:                               ;   in Loop: Header=BB50_19 Depth=3
	s_cmp_eq_u32 s20, s51
	s_mul_i32 s53, s51, s37
	s_cselect_b32 s52, s29, s37
	s_waitcnt_vscnt null, 0x0
	v_cmp_gt_u32_e32 vcc_lo, s52, v5
	s_barrier
	buffer_gl0_inv
	s_and_saveexec_b32 s54, vcc_lo
	s_cbranch_execz .LBB50_26
; %bb.21:                               ;   in Loop: Header=BB50_19 Depth=3
	v_dual_mov_b32 v2, v8 :: v_dual_mov_b32 v3, v5
	s_mov_b32 s55, 0
	s_set_inst_prefetch_distance 0x1
	s_branch .LBB50_23
	.p2align	6
.LBB50_22:                              ;   in Loop: Header=BB50_23 Depth=4
	s_or_b32 exec_lo, exec_lo, s56
	v_add_nc_u32_e32 v3, s19, v3
	v_add_nc_u32_e32 v2, s40, v2
	s_delay_alu instid0(VALU_DEP_2) | instskip(NEXT) | instid1(VALU_DEP_1)
	v_cmp_le_u32_e64 s2, s52, v3
	s_or_b32 s55, s2, s55
	s_delay_alu instid0(SALU_CYCLE_1)
	s_and_not1_b32 exec_lo, exec_lo, s55
	s_cbranch_execz .LBB50_26
.LBB50_23:                              ;   Parent Loop BB50_6 Depth=1
                                        ;     Parent Loop BB50_10 Depth=2
                                        ;       Parent Loop BB50_19 Depth=3
                                        ; =>      This Loop Header: Depth=4
                                        ;           Child Loop BB50_25 Depth 5
	s_and_saveexec_b32 s56, s1
	s_cbranch_execz .LBB50_22
; %bb.24:                               ;   in Loop: Header=BB50_23 Depth=4
	v_add_nc_u32_e32 v13, s53, v3
	s_mov_b32 s57, 0
	s_delay_alu instid0(VALU_DEP_1) | instskip(NEXT) | instid1(VALU_DEP_1)
	v_mad_u64_u32 v[10:11], null, v13, s7, 0
	v_mov_b32_e32 v0, v11
	s_delay_alu instid0(VALU_DEP_1) | instskip(SKIP_1) | instid1(VALU_DEP_2)
	v_mad_u64_u32 v[11:12], null, v13, s33, v[0:1]
	v_mov_b32_e32 v13, v4
	v_lshlrev_b64 v[11:12], 3, v[10:11]
	v_mov_b32_e32 v10, v2
	s_delay_alu instid0(VALU_DEP_2) | instskip(NEXT) | instid1(VALU_DEP_1)
	v_add_co_u32 v11, s2, s42, v11
	v_add_co_ci_u32_e64 v12, s2, s43, v12, s2
	.p2align	6
.LBB50_25:                              ;   Parent Loop BB50_6 Depth=1
                                        ;     Parent Loop BB50_10 Depth=2
                                        ;       Parent Loop BB50_19 Depth=3
                                        ;         Parent Loop BB50_23 Depth=4
                                        ; =>        This Inner Loop Header: Depth=5
	v_add_nc_u32_e32 v0, s44, v13
	v_add_nc_u32_e32 v13, s15, v13
	s_delay_alu instid0(VALU_DEP_2) | instskip(NEXT) | instid1(VALU_DEP_1)
	v_lshlrev_b64 v[14:15], 3, v[0:1]
	v_add_co_u32 v14, s2, v11, v14
	s_delay_alu instid0(VALU_DEP_1) | instskip(NEXT) | instid1(VALU_DEP_4)
	v_add_co_ci_u32_e64 v15, s2, v12, v15, s2
	v_cmp_le_u32_e64 s2, s48, v13
	global_load_b64 v[14:15], v[14:15], off
	s_or_b32 s57, s2, s57
	s_waitcnt vmcnt(0)
	ds_store_b64 v10, v[14:15]
	v_add_nc_u32_e32 v10, s41, v10
	s_and_not1_b32 exec_lo, exec_lo, s57
	s_cbranch_execnz .LBB50_25
	s_branch .LBB50_22
.LBB50_26:                              ;   in Loop: Header=BB50_19 Depth=3
	s_set_inst_prefetch_distance 0x2
	s_or_b32 exec_lo, exec_lo, s54
	s_waitcnt lgkmcnt(0)
	s_barrier
	buffer_gl0_inv
	s_and_saveexec_b32 s54, vcc_lo
	s_cbranch_execz .LBB50_17
; %bb.27:                               ;   in Loop: Header=BB50_19 Depth=3
	v_mov_b32_e32 v10, v9
	v_mov_b32_e32 v11, v5
	s_mov_b32 s55, 0
	s_branch .LBB50_29
.LBB50_28:                              ;   in Loop: Header=BB50_29 Depth=4
	s_set_inst_prefetch_distance 0x2
	s_or_b32 exec_lo, exec_lo, s56
	v_add_nc_u32_e32 v11, s19, v11
	v_add_nc_u32_e32 v10, s40, v10
	s_delay_alu instid0(VALU_DEP_2) | instskip(SKIP_1) | instid1(SALU_CYCLE_1)
	v_cmp_le_u32_e32 vcc_lo, s52, v11
	s_or_b32 s55, vcc_lo, s55
	s_and_not1_b32 exec_lo, exec_lo, s55
	s_cbranch_execz .LBB50_17
.LBB50_29:                              ;   Parent Loop BB50_6 Depth=1
                                        ;     Parent Loop BB50_10 Depth=2
                                        ;       Parent Loop BB50_19 Depth=3
                                        ; =>      This Loop Header: Depth=4
                                        ;           Child Loop BB50_32 Depth 5
                                        ;             Child Loop BB50_34 Depth 6
	s_and_saveexec_b32 s56, s1
	s_cbranch_execz .LBB50_28
; %bb.30:                               ;   in Loop: Header=BB50_29 Depth=4
	v_add_nc_u32_e32 v14, s53, v11
	s_mov_b32 s57, 0
	s_delay_alu instid0(VALU_DEP_1) | instskip(NEXT) | instid1(VALU_DEP_1)
	v_mad_u64_u32 v[2:3], null, v14, s7, 0
	v_mov_b32_e32 v0, v3
	s_delay_alu instid0(VALU_DEP_1) | instskip(SKIP_1) | instid1(VALU_DEP_2)
	v_mad_u64_u32 v[12:13], null, v14, s33, v[0:1]
	v_mov_b32_e32 v14, v4
	v_mov_b32_e32 v3, v12
	s_delay_alu instid0(VALU_DEP_1) | instskip(NEXT) | instid1(VALU_DEP_1)
	v_lshlrev_b64 v[2:3], 3, v[2:3]
	v_add_co_u32 v12, vcc_lo, s42, v2
	s_delay_alu instid0(VALU_DEP_2)
	v_add_co_ci_u32_e32 v13, vcc_lo, s43, v3, vcc_lo
	s_set_inst_prefetch_distance 0x1
	s_branch .LBB50_32
	.p2align	6
.LBB50_31:                              ;   in Loop: Header=BB50_32 Depth=5
	v_add_nc_u32_e32 v0, s50, v14
	v_add_nc_u32_e32 v14, s15, v14
	s_delay_alu instid0(VALU_DEP_2) | instskip(NEXT) | instid1(VALU_DEP_2)
	v_lshlrev_b64 v[15:16], 3, v[0:1]
	v_cmp_le_u32_e32 vcc_lo, s48, v14
	s_or_b32 s57, vcc_lo, s57
	s_delay_alu instid0(VALU_DEP_2) | instskip(NEXT) | instid1(VALU_DEP_1)
	v_add_co_u32 v15, s2, v12, v15
	v_add_co_ci_u32_e64 v16, s2, v13, v16, s2
	global_store_b64 v[15:16], v[2:3], off
	s_and_not1_b32 exec_lo, exec_lo, s57
	s_cbranch_execz .LBB50_28
.LBB50_32:                              ;   Parent Loop BB50_6 Depth=1
                                        ;     Parent Loop BB50_10 Depth=2
                                        ;       Parent Loop BB50_19 Depth=3
                                        ;         Parent Loop BB50_29 Depth=4
                                        ; =>        This Loop Header: Depth=5
                                        ;             Child Loop BB50_34 Depth 6
	v_mov_b32_e32 v2, 0
	v_mov_b32_e32 v3, 0
	s_and_not1_b32 vcc_lo, exec_lo, s49
	s_cbranch_vccnz .LBB50_31
; %bb.33:                               ;   in Loop: Header=BB50_32 Depth=5
	v_mov_b32_e32 v15, v10
	v_mov_b32_e32 v0, v14
	s_mov_b32 s2, s48
	.p2align	6
.LBB50_34:                              ;   Parent Loop BB50_6 Depth=1
                                        ;     Parent Loop BB50_10 Depth=2
                                        ;       Parent Loop BB50_19 Depth=3
                                        ;         Parent Loop BB50_29 Depth=4
                                        ;           Parent Loop BB50_32 Depth=5
                                        ; =>          This Inner Loop Header: Depth=6
	s_delay_alu instid0(VALU_DEP_1) | instskip(SKIP_4) | instid1(SALU_CYCLE_1)
	v_lshlrev_b64 v[16:17], 3, v[0:1]
	ds_load_b64 v[18:19], v15
	v_add_nc_u32_e32 v0, s37, v0
	v_add_nc_u32_e32 v15, 8, v15
	s_add_i32 s2, s2, -1
	s_cmp_eq_u32 s2, 0
	v_add_co_u32 v16, vcc_lo, s47, v16
	v_add_co_ci_u32_e32 v17, vcc_lo, s46, v17, vcc_lo
	flat_load_b64 v[16:17], v[16:17]
	s_waitcnt vmcnt(0) lgkmcnt(0)
	v_fma_f64 v[2:3], v[16:17], v[18:19], v[2:3]
	s_cbranch_scc0 .LBB50_34
	s_branch .LBB50_31
.LBB50_35:
	s_endpgm
	.section	.rodata,"a",@progbits
	.p2align	6, 0x0
	.amdhsa_kernel _ZN9rocsolver6v33100L17syevj_diag_rotateILb1EddPdEEvbiiT2_iilPT0_Pii
		.amdhsa_group_segment_fixed_size 0
		.amdhsa_private_segment_fixed_size 64
		.amdhsa_kernarg_size 320
		.amdhsa_user_sgpr_count 13
		.amdhsa_user_sgpr_dispatch_ptr 0
		.amdhsa_user_sgpr_queue_ptr 0
		.amdhsa_user_sgpr_kernarg_segment_ptr 1
		.amdhsa_user_sgpr_dispatch_id 0
		.amdhsa_user_sgpr_private_segment_size 0
		.amdhsa_wavefront_size32 1
		.amdhsa_uses_dynamic_stack 0
		.amdhsa_enable_private_segment 1
		.amdhsa_system_sgpr_workgroup_id_x 1
		.amdhsa_system_sgpr_workgroup_id_y 1
		.amdhsa_system_sgpr_workgroup_id_z 1
		.amdhsa_system_sgpr_workgroup_info 0
		.amdhsa_system_vgpr_workitem_id 1
		.amdhsa_next_free_vgpr 42
		.amdhsa_next_free_sgpr 58
		.amdhsa_reserve_vcc 1
		.amdhsa_float_round_mode_32 0
		.amdhsa_float_round_mode_16_64 0
		.amdhsa_float_denorm_mode_32 3
		.amdhsa_float_denorm_mode_16_64 3
		.amdhsa_dx10_clamp 1
		.amdhsa_ieee_mode 1
		.amdhsa_fp16_overflow 0
		.amdhsa_workgroup_processor_mode 1
		.amdhsa_memory_ordered 1
		.amdhsa_forward_progress 0
		.amdhsa_shared_vgpr_count 0
		.amdhsa_exception_fp_ieee_invalid_op 0
		.amdhsa_exception_fp_denorm_src 0
		.amdhsa_exception_fp_ieee_div_zero 0
		.amdhsa_exception_fp_ieee_overflow 0
		.amdhsa_exception_fp_ieee_underflow 0
		.amdhsa_exception_fp_ieee_inexact 0
		.amdhsa_exception_int_div_zero 0
	.end_amdhsa_kernel
	.section	.text._ZN9rocsolver6v33100L17syevj_diag_rotateILb1EddPdEEvbiiT2_iilPT0_Pii,"axG",@progbits,_ZN9rocsolver6v33100L17syevj_diag_rotateILb1EddPdEEvbiiT2_iilPT0_Pii,comdat
.Lfunc_end50:
	.size	_ZN9rocsolver6v33100L17syevj_diag_rotateILb1EddPdEEvbiiT2_iilPT0_Pii, .Lfunc_end50-_ZN9rocsolver6v33100L17syevj_diag_rotateILb1EddPdEEvbiiT2_iilPT0_Pii
                                        ; -- End function
	.section	.AMDGPU.csdata,"",@progbits
; Kernel info:
; codeLenInByte = 1540
; NumSgprs: 60
; NumVgprs: 42
; ScratchSize: 64
; MemoryBound: 0
; FloatMode: 240
; IeeeMode: 1
; LDSByteSize: 0 bytes/workgroup (compile time only)
; SGPRBlocks: 7
; VGPRBlocks: 5
; NumSGPRsForWavesPerEU: 60
; NumVGPRsForWavesPerEU: 42
; Occupancy: 16
; WaveLimiterHint : 1
; COMPUTE_PGM_RSRC2:SCRATCH_EN: 1
; COMPUTE_PGM_RSRC2:USER_SGPR: 13
; COMPUTE_PGM_RSRC2:TRAP_HANDLER: 0
; COMPUTE_PGM_RSRC2:TGID_X_EN: 1
; COMPUTE_PGM_RSRC2:TGID_Y_EN: 1
; COMPUTE_PGM_RSRC2:TGID_Z_EN: 1
; COMPUTE_PGM_RSRC2:TIDIG_COMP_CNT: 1
	.section	.text._ZN9rocsolver6v33100L21syevj_offd_kernel_orgIddPdEEviiT1_iilT0_PT_PiS7_S7_,"axG",@progbits,_ZN9rocsolver6v33100L21syevj_offd_kernel_orgIddPdEEviiT1_iilT0_PT_PiS7_S7_,comdat
	.globl	_ZN9rocsolver6v33100L21syevj_offd_kernel_orgIddPdEEviiT1_iilT0_PT_PiS7_S7_ ; -- Begin function _ZN9rocsolver6v33100L21syevj_offd_kernel_orgIddPdEEviiT1_iilT0_PT_PiS7_S7_
	.p2align	8
	.type	_ZN9rocsolver6v33100L21syevj_offd_kernel_orgIddPdEEviiT1_iilT0_PT_PiS7_S7_,@function
_ZN9rocsolver6v33100L21syevj_offd_kernel_orgIddPdEEviiT1_iilT0_PT_PiS7_S7_: ; @_ZN9rocsolver6v33100L21syevj_offd_kernel_orgIddPdEEviiT1_iilT0_PT_PiS7_S7_
; %bb.0:
	s_load_b128 s[16:19], s[0:1], 0x38
	s_mov_b32 s2, s15
	s_ashr_i32 s3, s15, 31
	s_mov_b32 s15, 0
	s_lshl_b64 s[4:5], s[2:3], 2
	s_waitcnt lgkmcnt(0)
	s_add_u32 s4, s18, s4
	s_addc_u32 s5, s19, s5
	s_load_b32 s4, s[4:5], 0x4
	s_waitcnt lgkmcnt(0)
	s_cmp_lg_u32 s4, 0
	s_cbranch_scc1 .LBB51_39
; %bb.1:
	s_load_b256 s[4:11], s[0:1], 0x18
	s_lshl_b64 s[12:13], s[14:15], 2
	s_waitcnt lgkmcnt(0)
	s_add_u32 s10, s10, s12
	s_addc_u32 s11, s11, s13
	s_add_u32 s12, s16, s12
	s_addc_u32 s13, s17, s13
	s_load_b32 s16, s[10:11], 0x0
	s_load_b32 s17, s[12:13], 0x0
	s_load_b64 s[12:13], s[0:1], 0x0
	s_waitcnt lgkmcnt(0)
	s_max_i32 s15, s16, s17
	s_delay_alu instid0(SALU_CYCLE_1)
	s_cmp_ge_i32 s15, s12
	s_cbranch_scc1 .LBB51_39
; %bb.2:
	s_load_b32 s12, s[0:1], 0x54
	s_add_u32 s10, s0, 0x48
	v_bfe_u32 v6, v0, 10, 10
	s_addc_u32 s11, s1, 0
	s_min_i32 s19, s16, s17
	s_mov_b32 s16, exec_lo
	s_waitcnt lgkmcnt(0)
	s_and_b32 s12, s12, 0xffff
	s_delay_alu instid0(SALU_CYCLE_1) | instskip(NEXT) | instid1(SALU_CYCLE_1)
	s_mul_i32 s19, s19, s12
	v_add_nc_u32_e32 v36, s19, v6
	s_delay_alu instid0(VALU_DEP_1)
	v_cmpx_gt_i32_e64 s13, v36
	s_cbranch_execz .LBB51_39
; %bb.3:
	s_cmp_eq_u64 s[8:9], 0
	s_mov_b64 s[16:17], 0
	s_cbranch_scc1 .LBB51_5
; %bb.4:
	s_load_b32 s10, s[10:11], 0x0
	s_waitcnt lgkmcnt(0)
	s_mul_i32 s10, s10, s2
	s_delay_alu instid0(SALU_CYCLE_1) | instskip(NEXT) | instid1(SALU_CYCLE_1)
	s_add_i32 s10, s10, s14
	s_mul_i32 s10, s10, s12
	s_delay_alu instid0(SALU_CYCLE_1) | instskip(NEXT) | instid1(SALU_CYCLE_1)
	s_mul_i32 s10, s10, s12
	s_lshl_b32 s10, s10, 2
	s_delay_alu instid0(SALU_CYCLE_1) | instskip(NEXT) | instid1(SALU_CYCLE_1)
	s_ashr_i32 s11, s10, 31
	s_lshl_b64 s[10:11], s[10:11], 3
	s_delay_alu instid0(SALU_CYCLE_1)
	s_add_u32 s16, s8, s10
	s_addc_u32 s17, s9, s11
.LBB51_5:
	s_lshl_b32 s20, s12, 1
	v_and_b32_e32 v0, 0x3ff, v0
	v_add_nc_u32_e32 v7, s12, v6
	v_mul_u32_u24_e32 v37, s20, v6
	s_cmp_lg_u64 s[16:17], 0
	s_cselect_b32 s18, -1, 0
	s_delay_alu instid0(VALU_DEP_2) | instskip(NEXT) | instid1(VALU_DEP_2)
	v_mad_u32_u24 v1, v7, s20, v0
	v_add_lshl_u32 v4, v37, v0, 3
	s_cmp_eq_u64 s[16:17], 0
	s_cbranch_scc1 .LBB51_7
; %bb.6:
	v_dual_mov_b32 v8, 0 :: v_dual_add_nc_u32 v5, s12, v0
	s_mov_b32 s8, 0
	v_add_co_u32 v10, s9, s16, v4
	s_delay_alu instid0(VALU_DEP_1) | instskip(SKIP_1) | instid1(SALU_CYCLE_1)
	v_add_co_ci_u32_e64 v11, null, s17, 0, s9
	s_mov_b32 s9, s8
	v_dual_mov_b32 v2, v8 :: v_dual_mov_b32 v15, s9
	v_mad_u32_u24 v12, v7, s20, v5
	v_dual_mov_b32 v13, v8 :: v_dual_mov_b32 v14, s8
	s_delay_alu instid0(VALU_DEP_3) | instskip(SKIP_2) | instid1(VALU_DEP_4)
	v_lshlrev_b64 v[2:3], 3, v[1:2]
	v_cmp_eq_u32_e32 vcc_lo, v0, v6
	v_add_lshl_u32 v16, v37, v5, 3
	v_lshlrev_b64 v[12:13], 3, v[12:13]
	v_cndmask_b32_e64 v9, 0, 0x3ff00000, vcc_lo
	v_add_co_u32 v2, vcc_lo, s16, v2
	v_add_co_ci_u32_e32 v3, vcc_lo, s17, v3, vcc_lo
	v_add_co_u32 v16, s8, s16, v16
	v_add_co_u32 v12, vcc_lo, s16, v12
	v_add_co_ci_u32_e64 v17, null, s17, 0, s8
	v_add_co_ci_u32_e32 v13, vcc_lo, s17, v13, vcc_lo
	s_clause 0x3
	flat_store_b64 v[10:11], v[8:9]
	flat_store_b64 v[2:3], v[14:15]
	flat_store_b64 v[16:17], v[14:15]
	flat_store_b64 v[12:13], v[8:9]
.LBB51_7:
	s_cmp_eq_u32 s12, 0
	s_mov_b32 s14, 0
	s_cbranch_scc1 .LBB51_39
; %bb.8:
	v_div_scale_f64 v[2:3], null, s[6:7], s[6:7], 0x100000
	s_mov_b32 s8, 0
	s_mov_b32 s9, 0x100000
	v_mul_u32_u24_e32 v38, s20, v7
	v_div_scale_f64 v[12:13], vcc_lo, s[8:9], s[6:7], s[8:9]
	s_load_b128 s[8:11], s[0:1], 0x8
	v_cvt_f32_u32_e32 v7, s12
	s_mul_i32 s1, s2, s5
	s_mul_hi_u32 s22, s2, s4
	s_mul_i32 s3, s3, s4
	s_mul_i32 s5, s15, s12
	s_add_i32 s1, s22, s1
	s_lshl_b32 s21, s12, 3
	s_mul_i32 s2, s2, s4
	v_cmp_eq_u32_e64 s0, 0, v6
	v_add_nc_u32_e32 v39, s5, v6
	s_add_i32 s3, s1, s3
	v_add_co_u32 v4, s4, s16, v4
	s_delay_alu instid0(VALU_DEP_1)
	v_add_co_ci_u32_e64 v5, null, s17, 0, s4
                                        ; implicit-def: $vgpr28_vgpr29
                                        ; implicit-def: $vgpr24_vgpr25
	s_waitcnt lgkmcnt(0)
	s_ashr_i32 s23, s10, 31
	s_mov_b32 s22, s10
	v_mul_lo_u32 v43, v36, s11
	v_mul_lo_u32 v44, v39, s11
	v_rcp_f64_e32 v[8:9], v[2:3]
	s_waitcnt_depctr 0xfff
	v_fma_f64 v[10:11], -v[2:3], v[8:9], 1.0
	s_delay_alu instid0(VALU_DEP_1) | instskip(NEXT) | instid1(VALU_DEP_1)
	v_fma_f64 v[8:9], v[8:9], v[10:11], v[8:9]
	v_fma_f64 v[10:11], -v[2:3], v[8:9], 1.0
	s_delay_alu instid0(VALU_DEP_1) | instskip(NEXT) | instid1(VALU_DEP_1)
	v_fma_f64 v[8:9], v[8:9], v[10:11], v[8:9]
	v_mul_f64 v[10:11], v[12:13], v[8:9]
	s_delay_alu instid0(VALU_DEP_1) | instskip(SKIP_1) | instid1(VALU_DEP_1)
	v_fma_f64 v[12:13], -v[2:3], v[10:11], v[12:13]
	v_dual_mov_b32 v2, 0 :: v_dual_add_nc_u32 v3, s19, v0
	v_mul_lo_u32 v40, v3, s11
	v_add_nc_u32_e32 v16, v43, v3
	v_add_nc_u32_e32 v18, v44, v3
	v_cmp_gt_i32_e64 s1, s13, v3
	s_delay_alu instid0(VALU_DEP_3) | instskip(NEXT) | instid1(VALU_DEP_1)
	v_ashrrev_i32_e32 v17, 31, v16
	v_lshlrev_b64 v[16:17], 3, v[16:17]
	v_div_fmas_f64 v[10:11], v[12:13], v[8:9], v[10:11]
	v_rcp_iflag_f32_e32 v9, v7
	v_lshlrev_b32_e32 v14, 3, v0
	v_lshlrev_b64 v[6:7], 3, v[1:2]
	v_add_nc_u32_e32 v8, v40, v3
	v_add_nc_u32_e32 v12, v40, v36
	s_delay_alu instid0(VALU_DEP_3)
	v_add_co_u32 v6, vcc_lo, s16, v6
	s_waitcnt_depctr 0xfff
	v_mul_f32_e32 v1, 0x4f7ffffe, v9
	v_add3_u32 v42, 0, s21, v14
	s_lshl_b64 s[20:21], s[2:3], 3
	v_ashrrev_i32_e32 v9, 31, v8
	s_add_u32 s3, s8, s20
	s_addc_u32 s4, s9, s21
	s_lshl_b64 s[8:9], s[22:23], 3
	v_cvt_u32_f32_e32 v1, v1
	s_add_u32 s8, s3, s8
	s_addc_u32 s9, s4, s9
	s_sub_i32 s3, 0, s12
	v_add_nc_u32_e32 v41, 0, v14
	v_add_nc_u32_e32 v14, v40, v39
	v_mul_lo_u32 v19, s3, v1
	v_ashrrev_i32_e32 v13, 31, v12
	v_lshlrev_b64 v[8:9], 3, v[8:9]
	v_add_co_ci_u32_e32 v7, vcc_lo, s17, v7, vcc_lo
	v_ashrrev_i32_e32 v15, 31, v14
	s_delay_alu instid0(VALU_DEP_4)
	v_lshlrev_b64 v[12:13], 3, v[12:13]
	v_cmp_gt_i32_e64 s2, s13, v39
	v_mul_hi_u32 v22, v1, v19
	v_add_co_u32 v8, vcc_lo, s8, v8
	v_lshlrev_b64 v[14:15], 3, v[14:15]
	v_ashrrev_i32_e32 v19, 31, v18
	v_add_co_ci_u32_e32 v9, vcc_lo, s9, v9, vcc_lo
	v_div_fixup_f64 v[10:11], v[10:11], s[6:7], 0x100000
	v_add_co_u32 v12, vcc_lo, s8, v12
	v_add_co_ci_u32_e32 v13, vcc_lo, s9, v13, vcc_lo
	v_add_co_u32 v14, vcc_lo, s8, v14
	v_lshlrev_b64 v[20:21], 3, v[18:19]
	v_add_nc_u32_e32 v45, v1, v22
	v_add_co_ci_u32_e32 v15, vcc_lo, s9, v15, vcc_lo
	v_add_co_u32 v16, vcc_lo, s8, v16
	v_add_co_ci_u32_e32 v17, vcc_lo, s9, v17, vcc_lo
	s_delay_alu instid0(VALU_DEP_4)
	v_mad_u64_u32 v[18:19], null, v0, v45, 0
	v_add_co_u32 v20, vcc_lo, s8, v20
	v_add_co_ci_u32_e32 v21, vcc_lo, s9, v21, vcc_lo
	s_and_b32 s6, s0, s1
	s_mov_b32 s7, s12
                                        ; implicit-def: $vgpr22_vgpr23
	s_branch .LBB51_10
.LBB51_9:                               ;   in Loop: Header=BB51_10 Depth=1
	s_or_b32 exec_lo, exec_lo, s3
	v_add_co_u32 v18, vcc_lo, v18, v45
	v_add_nc_u32_e32 v0, 1, v0
	v_add_co_ci_u32_e32 v19, vcc_lo, 0, v19, vcc_lo
	s_add_i32 s7, s7, -1
	s_delay_alu instid0(SALU_CYCLE_1)
	s_cmp_lg_u32 s7, 0
	s_cbranch_scc0 .LBB51_39
.LBB51_10:                              ; =>This Inner Loop Header: Depth=1
	s_delay_alu instid0(VALU_DEP_1) | instskip(SKIP_1) | instid1(VALU_DEP_1)
	v_mul_lo_u32 v1, s12, v19
	v_not_b32_e32 v30, v19
	v_mad_u64_u32 v[26:27], null, s12, v30, v[0:1]
	v_sub_nc_u32_e32 v1, v0, v1
	s_delay_alu instid0(VALU_DEP_1) | instskip(NEXT) | instid1(VALU_DEP_3)
	v_cmp_le_u32_e32 vcc_lo, s12, v1
	v_cndmask_b32_e32 v1, v1, v26, vcc_lo
	s_delay_alu instid0(VALU_DEP_1) | instskip(SKIP_1) | instid1(VALU_DEP_2)
	v_subrev_nc_u32_e32 v26, s12, v1
	v_cmp_le_u32_e32 vcc_lo, s12, v1
	v_cndmask_b32_e32 v1, v1, v26, vcc_lo
	s_delay_alu instid0(VALU_DEP_1) | instskip(NEXT) | instid1(VALU_DEP_1)
	v_add_nc_u32_e32 v46, s5, v1
	v_mul_lo_u32 v47, v46, s11
	v_cmp_gt_i32_e64 s3, s13, v46
	s_delay_alu instid0(VALU_DEP_1) | instskip(NEXT) | instid1(SALU_CYCLE_1)
	s_and_b32 s4, s6, s3
	s_and_saveexec_b32 s10, s4
	s_cbranch_execz .LBB51_26
; %bb.11:                               ;   in Loop: Header=BB51_10 Depth=1
	s_delay_alu instid0(VALU_DEP_2) | instskip(SKIP_2) | instid1(VALU_DEP_3)
	v_add_nc_u32_e32 v24, v47, v3
	v_mov_b32_e32 v28, 0
	v_mov_b32_e32 v29, 0
	v_ashrrev_i32_e32 v25, 31, v24
	s_delay_alu instid0(VALU_DEP_1) | instskip(NEXT) | instid1(VALU_DEP_1)
	v_lshlrev_b64 v[24:25], 3, v[24:25]
	v_add_co_u32 v24, vcc_lo, s8, v24
	s_delay_alu instid0(VALU_DEP_2) | instskip(SKIP_3) | instid1(VALU_DEP_1)
	v_add_co_ci_u32_e32 v25, vcc_lo, s9, v25, vcc_lo
	global_load_b64 v[26:27], v[24:25], off
	s_waitcnt vmcnt(0)
	v_mul_f64 v[24:25], v[26:27], v[26:27]
	v_cmp_nlt_f64_e32 vcc_lo, v[24:25], v[10:11]
	v_mov_b32_e32 v24, 0
	v_mov_b32_e32 v25, 0x3ff00000
	s_and_saveexec_b32 s15, vcc_lo
	s_cbranch_execz .LBB51_25
; %bb.12:                               ;   in Loop: Header=BB51_10 Depth=1
	v_add_nc_u32_e32 v24, v47, v46
	v_add_f64 v[28:29], |v[26:27]|, |v[26:27]|
	s_delay_alu instid0(VALU_DEP_2) | instskip(NEXT) | instid1(VALU_DEP_1)
	v_ashrrev_i32_e32 v25, 31, v24
	v_lshlrev_b64 v[24:25], 3, v[24:25]
	s_delay_alu instid0(VALU_DEP_1) | instskip(NEXT) | instid1(VALU_DEP_2)
	v_add_co_u32 v24, vcc_lo, s8, v24
	v_add_co_ci_u32_e32 v25, vcc_lo, s9, v25, vcc_lo
	s_clause 0x1
	global_load_b64 v[24:25], v[24:25], off
	global_load_b64 v[30:31], v[8:9], off
	v_cmp_class_f64_e64 s19, v[28:29], 0x204
	s_waitcnt vmcnt(0)
	v_add_f64 v[30:31], v[24:25], -v[30:31]
	s_delay_alu instid0(VALU_DEP_1) | instskip(SKIP_2) | instid1(VALU_DEP_3)
	v_max_f64 v[24:25], |v[30:31]|, |v[28:29]|
	v_cmp_ngt_f64_e64 s4, 0, v[30:31]
	v_cmp_class_f64_e64 s20, v[30:31], 0x204
	v_frexp_exp_i32_f64_e32 v32, v[24:25]
	s_delay_alu instid0(VALU_DEP_1) | instskip(NEXT) | instid1(VALU_DEP_1)
	v_sub_nc_u32_e32 v33, 0, v32
	v_ldexp_f64 v[24:25], |v[28:29]|, v33
	v_ldexp_f64 v[33:34], |v[30:31]|, v33
	s_delay_alu instid0(VALU_DEP_2) | instskip(NEXT) | instid1(VALU_DEP_1)
	v_mul_f64 v[24:25], v[24:25], v[24:25]
	v_fma_f64 v[24:25], v[33:34], v[33:34], v[24:25]
	s_delay_alu instid0(VALU_DEP_1) | instskip(SKIP_4) | instid1(VALU_DEP_1)
	v_rsq_f64_e32 v[33:34], v[24:25]
	v_cmp_eq_f64_e32 vcc_lo, 0, v[24:25]
	s_waitcnt_depctr 0xfff
	v_mul_f64 v[48:49], v[24:25], v[33:34]
	v_mul_f64 v[33:34], v[33:34], 0.5
	v_fma_f64 v[50:51], -v[33:34], v[48:49], 0.5
	s_delay_alu instid0(VALU_DEP_1) | instskip(SKIP_1) | instid1(VALU_DEP_2)
	v_fma_f64 v[48:49], v[48:49], v[50:51], v[48:49]
	v_fma_f64 v[33:34], v[33:34], v[50:51], v[33:34]
	v_fma_f64 v[50:51], -v[48:49], v[48:49], v[24:25]
	s_delay_alu instid0(VALU_DEP_1) | instskip(NEXT) | instid1(VALU_DEP_1)
	v_fma_f64 v[33:34], v[50:51], v[33:34], v[48:49]
	v_dual_cndmask_b32 v25, v34, v25 :: v_dual_cndmask_b32 v24, v33, v24
                                        ; implicit-def: $vgpr34_vgpr35
	s_and_saveexec_b32 s21, s4
	s_delay_alu instid0(SALU_CYCLE_1)
	s_xor_b32 s4, exec_lo, s21
; %bb.13:                               ;   in Loop: Header=BB51_10 Depth=1
	s_delay_alu instid0(VALU_DEP_1) | instskip(SKIP_2) | instid1(VALU_DEP_2)
	v_ldexp_f64 v[24:25], v[24:25], v32
	v_cmp_o_f64_e32 vcc_lo, v[30:31], v[28:29]
	s_or_b32 s21, s19, s20
                                        ; implicit-def: $vgpr32
	v_cndmask_b32_e32 v24, 0, v24, vcc_lo
	s_delay_alu instid0(VALU_DEP_3) | instskip(NEXT) | instid1(VALU_DEP_2)
	v_cndmask_b32_e32 v25, 0x7ff80000, v25, vcc_lo
	v_cndmask_b32_e64 v34, v24, 0, s21
	s_delay_alu instid0(VALU_DEP_2)
	v_cndmask_b32_e64 v35, v25, 0x7ff00000, s21
                                        ; implicit-def: $vgpr24_vgpr25
; %bb.14:                               ;   in Loop: Header=BB51_10 Depth=1
	s_and_not1_saveexec_b32 s4, s4
; %bb.15:                               ;   in Loop: Header=BB51_10 Depth=1
	v_ldexp_f64 v[24:25], -v[24:25], v32
	v_cmp_o_f64_e32 vcc_lo, v[28:29], v[28:29]
	s_or_b32 s19, s19, s20
	s_delay_alu instid0(VALU_DEP_2) | instskip(NEXT) | instid1(VALU_DEP_3)
	v_cndmask_b32_e32 v24, 0, v24, vcc_lo
	v_cndmask_b32_e32 v25, 0xfff80000, v25, vcc_lo
	s_delay_alu instid0(VALU_DEP_2) | instskip(NEXT) | instid1(VALU_DEP_2)
	v_cndmask_b32_e64 v34, v24, 0, s19
	v_cndmask_b32_e64 v35, v25, 0xfff00000, s19
; %bb.16:                               ;   in Loop: Header=BB51_10 Depth=1
	s_or_b32 exec_lo, exec_lo, s4
	v_mov_b32_e32 v24, 0
	v_dual_mov_b32 v25, 0x3ff00000 :: v_dual_mov_b32 v32, 0
	v_mov_b32_e32 v33, 0
	s_mov_b32 s4, exec_lo
	v_cmpx_neq_f64_e32 0, v[28:29]
	s_cbranch_execz .LBB51_24
; %bb.17:                               ;   in Loop: Header=BB51_10 Depth=1
	v_add_f64 v[30:31], v[30:31], v[34:35]
	v_mov_b32_e32 v32, 0
	v_dual_mov_b32 v33, 0x3ff00000 :: v_dual_mov_b32 v24, 0
	v_mov_b32_e32 v25, 0
	s_mov_b32 s19, exec_lo
	s_delay_alu instid0(VALU_DEP_4)
	v_cmpx_neq_f64_e32 0, v[30:31]
	s_cbranch_execz .LBB51_23
; %bb.18:                               ;   in Loop: Header=BB51_10 Depth=1
	v_cmp_ngt_f64_e64 s20, |v[28:29]|, |v[30:31]|
                                        ; implicit-def: $vgpr32_vgpr33
                                        ; implicit-def: $vgpr24_vgpr25
	s_delay_alu instid0(VALU_DEP_1) | instskip(NEXT) | instid1(SALU_CYCLE_1)
	s_and_saveexec_b32 s21, s20
	s_xor_b32 s20, exec_lo, s21
	s_cbranch_execz .LBB51_20
; %bb.19:                               ;   in Loop: Header=BB51_10 Depth=1
	v_div_scale_f64 v[24:25], null, v[30:31], v[30:31], -v[28:29]
	v_div_scale_f64 v[48:49], vcc_lo, -v[28:29], v[30:31], -v[28:29]
	s_delay_alu instid0(VALU_DEP_2) | instskip(SKIP_2) | instid1(VALU_DEP_1)
	v_rcp_f64_e32 v[32:33], v[24:25]
	s_waitcnt_depctr 0xfff
	v_fma_f64 v[34:35], -v[24:25], v[32:33], 1.0
	v_fma_f64 v[32:33], v[32:33], v[34:35], v[32:33]
	s_delay_alu instid0(VALU_DEP_1) | instskip(NEXT) | instid1(VALU_DEP_1)
	v_fma_f64 v[34:35], -v[24:25], v[32:33], 1.0
	v_fma_f64 v[32:33], v[32:33], v[34:35], v[32:33]
	s_delay_alu instid0(VALU_DEP_1) | instskip(NEXT) | instid1(VALU_DEP_1)
	v_mul_f64 v[34:35], v[48:49], v[32:33]
	v_fma_f64 v[24:25], -v[24:25], v[34:35], v[48:49]
	s_delay_alu instid0(VALU_DEP_1) | instskip(NEXT) | instid1(VALU_DEP_1)
	v_div_fmas_f64 v[24:25], v[24:25], v[32:33], v[34:35]
	v_div_fixup_f64 v[28:29], v[24:25], v[30:31], -v[28:29]
	s_delay_alu instid0(VALU_DEP_1) | instskip(NEXT) | instid1(VALU_DEP_1)
	v_fma_f64 v[24:25], v[28:29], v[28:29], 1.0
	v_cmp_gt_f64_e32 vcc_lo, 0x10000000, v[24:25]
	v_cndmask_b32_e64 v30, 0, 1, vcc_lo
	s_delay_alu instid0(VALU_DEP_1) | instskip(NEXT) | instid1(VALU_DEP_1)
	v_lshlrev_b32_e32 v30, 8, v30
	v_ldexp_f64 v[24:25], v[24:25], v30
	s_delay_alu instid0(VALU_DEP_1) | instskip(SKIP_3) | instid1(VALU_DEP_1)
	v_rsq_f64_e32 v[30:31], v[24:25]
	s_waitcnt_depctr 0xfff
	v_mul_f64 v[32:33], v[24:25], v[30:31]
	v_mul_f64 v[30:31], v[30:31], 0.5
	v_fma_f64 v[34:35], -v[30:31], v[32:33], 0.5
	s_delay_alu instid0(VALU_DEP_1) | instskip(SKIP_1) | instid1(VALU_DEP_2)
	v_fma_f64 v[32:33], v[32:33], v[34:35], v[32:33]
	v_fma_f64 v[30:31], v[30:31], v[34:35], v[30:31]
	v_fma_f64 v[34:35], -v[32:33], v[32:33], v[24:25]
	s_delay_alu instid0(VALU_DEP_1) | instskip(NEXT) | instid1(VALU_DEP_1)
	v_fma_f64 v[32:33], v[34:35], v[30:31], v[32:33]
	v_fma_f64 v[34:35], -v[32:33], v[32:33], v[24:25]
	s_delay_alu instid0(VALU_DEP_1) | instskip(SKIP_2) | instid1(VALU_DEP_2)
	v_fma_f64 v[30:31], v[34:35], v[30:31], v[32:33]
	v_cndmask_b32_e64 v32, 0, 0xffffff80, vcc_lo
	v_cmp_class_f64_e64 vcc_lo, v[24:25], 0x260
	v_ldexp_f64 v[30:31], v[30:31], v32
	s_delay_alu instid0(VALU_DEP_1) | instskip(NEXT) | instid1(VALU_DEP_1)
	v_dual_cndmask_b32 v25, v31, v25 :: v_dual_cndmask_b32 v24, v30, v24
	v_div_scale_f64 v[30:31], null, v[24:25], v[24:25], 1.0
	s_delay_alu instid0(VALU_DEP_1) | instskip(SKIP_2) | instid1(VALU_DEP_1)
	v_rcp_f64_e32 v[32:33], v[30:31]
	s_waitcnt_depctr 0xfff
	v_fma_f64 v[34:35], -v[30:31], v[32:33], 1.0
	v_fma_f64 v[32:33], v[32:33], v[34:35], v[32:33]
	s_delay_alu instid0(VALU_DEP_1) | instskip(NEXT) | instid1(VALU_DEP_1)
	v_fma_f64 v[34:35], -v[30:31], v[32:33], 1.0
	v_fma_f64 v[32:33], v[32:33], v[34:35], v[32:33]
	v_div_scale_f64 v[34:35], vcc_lo, 1.0, v[24:25], 1.0
	s_delay_alu instid0(VALU_DEP_1) | instskip(NEXT) | instid1(VALU_DEP_1)
	v_mul_f64 v[48:49], v[34:35], v[32:33]
	v_fma_f64 v[30:31], -v[30:31], v[48:49], v[34:35]
	s_delay_alu instid0(VALU_DEP_1) | instskip(NEXT) | instid1(VALU_DEP_1)
	v_div_fmas_f64 v[30:31], v[30:31], v[32:33], v[48:49]
	v_div_fixup_f64 v[24:25], v[30:31], v[24:25], 1.0
                                        ; implicit-def: $vgpr30_vgpr31
	s_delay_alu instid0(VALU_DEP_1)
	v_mul_f64 v[32:33], v[28:29], v[24:25]
                                        ; implicit-def: $vgpr28_vgpr29
.LBB51_20:                              ;   in Loop: Header=BB51_10 Depth=1
	s_and_not1_saveexec_b32 s20, s20
	s_cbranch_execz .LBB51_22
; %bb.21:                               ;   in Loop: Header=BB51_10 Depth=1
	v_div_scale_f64 v[24:25], null, v[28:29], v[28:29], -v[30:31]
	v_div_scale_f64 v[48:49], vcc_lo, -v[30:31], v[28:29], -v[30:31]
	s_delay_alu instid0(VALU_DEP_2) | instskip(SKIP_2) | instid1(VALU_DEP_1)
	v_rcp_f64_e32 v[32:33], v[24:25]
	s_waitcnt_depctr 0xfff
	v_fma_f64 v[34:35], -v[24:25], v[32:33], 1.0
	v_fma_f64 v[32:33], v[32:33], v[34:35], v[32:33]
	s_delay_alu instid0(VALU_DEP_1) | instskip(NEXT) | instid1(VALU_DEP_1)
	v_fma_f64 v[34:35], -v[24:25], v[32:33], 1.0
	v_fma_f64 v[32:33], v[32:33], v[34:35], v[32:33]
	s_delay_alu instid0(VALU_DEP_1) | instskip(NEXT) | instid1(VALU_DEP_1)
	v_mul_f64 v[34:35], v[48:49], v[32:33]
	v_fma_f64 v[24:25], -v[24:25], v[34:35], v[48:49]
	s_delay_alu instid0(VALU_DEP_1) | instskip(NEXT) | instid1(VALU_DEP_1)
	v_div_fmas_f64 v[24:25], v[24:25], v[32:33], v[34:35]
	v_div_fixup_f64 v[24:25], v[24:25], v[28:29], -v[30:31]
	s_delay_alu instid0(VALU_DEP_1) | instskip(NEXT) | instid1(VALU_DEP_1)
	v_fma_f64 v[28:29], v[24:25], v[24:25], 1.0
	v_cmp_gt_f64_e32 vcc_lo, 0x10000000, v[28:29]
	v_cndmask_b32_e64 v30, 0, 1, vcc_lo
	s_delay_alu instid0(VALU_DEP_1) | instskip(NEXT) | instid1(VALU_DEP_1)
	v_lshlrev_b32_e32 v30, 8, v30
	v_ldexp_f64 v[28:29], v[28:29], v30
	s_delay_alu instid0(VALU_DEP_1) | instskip(SKIP_3) | instid1(VALU_DEP_1)
	v_rsq_f64_e32 v[30:31], v[28:29]
	s_waitcnt_depctr 0xfff
	v_mul_f64 v[32:33], v[28:29], v[30:31]
	v_mul_f64 v[30:31], v[30:31], 0.5
	v_fma_f64 v[34:35], -v[30:31], v[32:33], 0.5
	s_delay_alu instid0(VALU_DEP_1) | instskip(SKIP_1) | instid1(VALU_DEP_2)
	v_fma_f64 v[32:33], v[32:33], v[34:35], v[32:33]
	v_fma_f64 v[30:31], v[30:31], v[34:35], v[30:31]
	v_fma_f64 v[34:35], -v[32:33], v[32:33], v[28:29]
	s_delay_alu instid0(VALU_DEP_1) | instskip(NEXT) | instid1(VALU_DEP_1)
	v_fma_f64 v[32:33], v[34:35], v[30:31], v[32:33]
	v_fma_f64 v[34:35], -v[32:33], v[32:33], v[28:29]
	s_delay_alu instid0(VALU_DEP_1) | instskip(SKIP_2) | instid1(VALU_DEP_2)
	v_fma_f64 v[30:31], v[34:35], v[30:31], v[32:33]
	v_cndmask_b32_e64 v32, 0, 0xffffff80, vcc_lo
	v_cmp_class_f64_e64 vcc_lo, v[28:29], 0x260
	v_ldexp_f64 v[30:31], v[30:31], v32
	s_delay_alu instid0(VALU_DEP_1) | instskip(NEXT) | instid1(VALU_DEP_1)
	v_dual_cndmask_b32 v29, v31, v29 :: v_dual_cndmask_b32 v28, v30, v28
	v_div_scale_f64 v[30:31], null, v[28:29], v[28:29], 1.0
	s_delay_alu instid0(VALU_DEP_1) | instskip(SKIP_2) | instid1(VALU_DEP_1)
	v_rcp_f64_e32 v[32:33], v[30:31]
	s_waitcnt_depctr 0xfff
	v_fma_f64 v[34:35], -v[30:31], v[32:33], 1.0
	v_fma_f64 v[32:33], v[32:33], v[34:35], v[32:33]
	s_delay_alu instid0(VALU_DEP_1) | instskip(NEXT) | instid1(VALU_DEP_1)
	v_fma_f64 v[34:35], -v[30:31], v[32:33], 1.0
	v_fma_f64 v[32:33], v[32:33], v[34:35], v[32:33]
	v_div_scale_f64 v[34:35], vcc_lo, 1.0, v[28:29], 1.0
	s_delay_alu instid0(VALU_DEP_1) | instskip(NEXT) | instid1(VALU_DEP_1)
	v_mul_f64 v[48:49], v[34:35], v[32:33]
	v_fma_f64 v[30:31], -v[30:31], v[48:49], v[34:35]
	s_delay_alu instid0(VALU_DEP_1) | instskip(NEXT) | instid1(VALU_DEP_1)
	v_div_fmas_f64 v[30:31], v[30:31], v[32:33], v[48:49]
	v_div_fixup_f64 v[32:33], v[30:31], v[28:29], 1.0
	s_delay_alu instid0(VALU_DEP_1)
	v_mul_f64 v[24:25], v[24:25], v[32:33]
.LBB51_22:                              ;   in Loop: Header=BB51_10 Depth=1
	s_or_b32 exec_lo, exec_lo, s20
.LBB51_23:                              ;   in Loop: Header=BB51_10 Depth=1
	s_delay_alu instid0(SALU_CYCLE_1)
	s_or_b32 exec_lo, exec_lo, s19
.LBB51_24:                              ;   in Loop: Header=BB51_10 Depth=1
	s_delay_alu instid0(SALU_CYCLE_1) | instskip(NEXT) | instid1(VALU_DEP_1)
	s_or_b32 exec_lo, exec_lo, s4
	v_mul_f64 v[28:29], v[26:27], v[32:33]
	v_dual_mov_b32 v30, v26 :: v_dual_and_b32 v31, 0x7fffffff, v27
	s_delay_alu instid0(VALU_DEP_1) | instskip(SKIP_1) | instid1(VALU_DEP_2)
	v_div_scale_f64 v[32:33], null, v[30:31], v[30:31], v[28:29]
	v_div_scale_f64 v[30:31], vcc_lo, v[28:29], v[30:31], v[28:29]
	v_rcp_f64_e32 v[34:35], v[32:33]
	s_waitcnt_depctr 0xfff
	v_fma_f64 v[48:49], -v[32:33], v[34:35], 1.0
	s_delay_alu instid0(VALU_DEP_1) | instskip(NEXT) | instid1(VALU_DEP_1)
	v_fma_f64 v[34:35], v[34:35], v[48:49], v[34:35]
	v_fma_f64 v[48:49], -v[32:33], v[34:35], 1.0
	s_delay_alu instid0(VALU_DEP_1) | instskip(NEXT) | instid1(VALU_DEP_1)
	v_fma_f64 v[34:35], v[34:35], v[48:49], v[34:35]
	v_mul_f64 v[48:49], v[30:31], v[34:35]
	s_delay_alu instid0(VALU_DEP_1) | instskip(NEXT) | instid1(VALU_DEP_1)
	v_fma_f64 v[30:31], -v[32:33], v[48:49], v[30:31]
	v_div_fmas_f64 v[30:31], v[30:31], v[34:35], v[48:49]
	s_delay_alu instid0(VALU_DEP_1)
	v_div_fixup_f64 v[28:29], v[30:31], |v[26:27]|, v[28:29]
.LBB51_25:                              ;   in Loop: Header=BB51_10 Depth=1
	s_or_b32 exec_lo, exec_lo, s15
	ds_store_b64 v41, v[24:25]
	ds_store_b64 v42, v[28:29]
.LBB51_26:                              ;   in Loop: Header=BB51_10 Depth=1
	s_or_b32 exec_lo, exec_lo, s10
	s_and_b32 s4, s1, s3
	s_waitcnt lgkmcnt(0)
	s_waitcnt_vscnt null, 0x0
	s_barrier
	buffer_gl0_inv
	s_and_saveexec_b32 s10, s4
	s_cbranch_execz .LBB51_34
; %bb.27:                               ;   in Loop: Header=BB51_10 Depth=1
	ds_load_b64 v[24:25], v41
	ds_load_b64 v[22:23], v42
	s_and_not1_b32 vcc_lo, exec_lo, s18
	s_cbranch_vccnz .LBB51_31
; %bb.28:                               ;   in Loop: Header=BB51_10 Depth=1
	v_add_nc_u32_e32 v26, s12, v1
	s_delay_alu instid0(VALU_DEP_1) | instskip(NEXT) | instid1(VALU_DEP_1)
	v_add_nc_u32_e32 v1, v26, v37
	v_lshlrev_b64 v[27:28], 3, v[1:2]
	s_delay_alu instid0(VALU_DEP_1) | instskip(NEXT) | instid1(VALU_DEP_2)
	v_add_co_u32 v27, vcc_lo, s16, v27
	v_add_co_ci_u32_e32 v28, vcc_lo, s17, v28, vcc_lo
	s_clause 0x1
	flat_load_b64 v[29:30], v[27:28]
	flat_load_b64 v[31:32], v[4:5]
	s_waitcnt vmcnt(1) lgkmcnt(1)
	v_mul_f64 v[33:34], v[22:23], v[29:30]
	s_waitcnt vmcnt(0) lgkmcnt(0)
	v_mul_f64 v[48:49], v[22:23], v[31:32]
	s_delay_alu instid0(VALU_DEP_2) | instskip(NEXT) | instid1(VALU_DEP_2)
	v_fma_f64 v[31:32], v[24:25], v[31:32], v[33:34]
	v_fma_f64 v[29:30], v[24:25], v[29:30], -v[48:49]
	s_clause 0x1
	flat_store_b64 v[4:5], v[31:32]
	flat_store_b64 v[27:28], v[29:30]
	s_and_saveexec_b32 s15, s2
	s_cbranch_execz .LBB51_30
; %bb.29:                               ;   in Loop: Header=BB51_10 Depth=1
	v_add_nc_u32_e32 v1, v26, v38
	s_delay_alu instid0(VALU_DEP_1) | instskip(NEXT) | instid1(VALU_DEP_1)
	v_lshlrev_b64 v[26:27], 3, v[1:2]
	v_add_co_u32 v26, vcc_lo, s16, v26
	s_delay_alu instid0(VALU_DEP_2)
	v_add_co_ci_u32_e32 v27, vcc_lo, s17, v27, vcc_lo
	s_clause 0x1
	flat_load_b64 v[28:29], v[26:27]
	flat_load_b64 v[30:31], v[6:7]
	s_waitcnt vmcnt(1) lgkmcnt(1)
	v_mul_f64 v[32:33], v[22:23], v[28:29]
	s_waitcnt vmcnt(0) lgkmcnt(0)
	v_mul_f64 v[34:35], v[22:23], v[30:31]
	s_delay_alu instid0(VALU_DEP_2) | instskip(NEXT) | instid1(VALU_DEP_2)
	v_fma_f64 v[30:31], v[24:25], v[30:31], v[32:33]
	v_fma_f64 v[28:29], v[24:25], v[28:29], -v[34:35]
	s_clause 0x1
	flat_store_b64 v[6:7], v[30:31]
	flat_store_b64 v[26:27], v[28:29]
.LBB51_30:                              ;   in Loop: Header=BB51_10 Depth=1
	s_or_b32 exec_lo, exec_lo, s15
.LBB51_31:                              ;   in Loop: Header=BB51_10 Depth=1
	v_add_nc_u32_e32 v26, v47, v36
	s_delay_alu instid0(VALU_DEP_1) | instskip(NEXT) | instid1(VALU_DEP_1)
	v_ashrrev_i32_e32 v27, 31, v26
	v_lshlrev_b64 v[26:27], 3, v[26:27]
	s_delay_alu instid0(VALU_DEP_1) | instskip(NEXT) | instid1(VALU_DEP_2)
	v_add_co_u32 v26, vcc_lo, s8, v26
	v_add_co_ci_u32_e32 v27, vcc_lo, s9, v27, vcc_lo
	s_clause 0x1
	global_load_b64 v[28:29], v[26:27], off
	global_load_b64 v[30:31], v[12:13], off
	s_waitcnt vmcnt(1) lgkmcnt(0)
	v_mul_f64 v[32:33], v[22:23], v[28:29]
	s_waitcnt vmcnt(0)
	v_mul_f64 v[34:35], v[22:23], v[30:31]
	s_delay_alu instid0(VALU_DEP_2) | instskip(NEXT) | instid1(VALU_DEP_2)
	v_fma_f64 v[30:31], v[24:25], v[30:31], v[32:33]
	v_fma_f64 v[28:29], v[24:25], v[28:29], -v[34:35]
	s_clause 0x1
	global_store_b64 v[12:13], v[30:31], off
	global_store_b64 v[26:27], v[28:29], off
	s_and_saveexec_b32 s15, s2
	s_cbranch_execz .LBB51_33
; %bb.32:                               ;   in Loop: Header=BB51_10 Depth=1
	v_add_nc_u32_e32 v26, v47, v39
	s_delay_alu instid0(VALU_DEP_1) | instskip(NEXT) | instid1(VALU_DEP_1)
	v_ashrrev_i32_e32 v27, 31, v26
	v_lshlrev_b64 v[26:27], 3, v[26:27]
	s_delay_alu instid0(VALU_DEP_1) | instskip(NEXT) | instid1(VALU_DEP_2)
	v_add_co_u32 v26, vcc_lo, s8, v26
	v_add_co_ci_u32_e32 v27, vcc_lo, s9, v27, vcc_lo
	s_clause 0x1
	global_load_b64 v[28:29], v[26:27], off
	global_load_b64 v[30:31], v[14:15], off
	s_waitcnt vmcnt(1)
	v_mul_f64 v[32:33], v[22:23], v[28:29]
	s_waitcnt vmcnt(0)
	v_mul_f64 v[34:35], v[22:23], v[30:31]
	s_delay_alu instid0(VALU_DEP_2) | instskip(NEXT) | instid1(VALU_DEP_2)
	v_fma_f64 v[30:31], v[24:25], v[30:31], v[32:33]
	v_fma_f64 v[28:29], v[24:25], v[28:29], -v[34:35]
	s_clause 0x1
	global_store_b64 v[14:15], v[30:31], off
	global_store_b64 v[26:27], v[28:29], off
.LBB51_33:                              ;   in Loop: Header=BB51_10 Depth=1
	s_or_b32 exec_lo, exec_lo, s15
	v_dual_mov_b32 v29, v23 :: v_dual_mov_b32 v28, v22
.LBB51_34:                              ;   in Loop: Header=BB51_10 Depth=1
	s_or_b32 exec_lo, exec_lo, s10
	s_waitcnt_vscnt null, 0x0
	s_barrier
	buffer_gl0_inv
	s_and_saveexec_b32 s10, s4
	s_cbranch_execz .LBB51_37
; %bb.35:                               ;   in Loop: Header=BB51_10 Depth=1
	v_add_nc_u32_e32 v26, v46, v43
	s_delay_alu instid0(VALU_DEP_1) | instskip(NEXT) | instid1(VALU_DEP_1)
	v_ashrrev_i32_e32 v27, 31, v26
	v_lshlrev_b64 v[26:27], 3, v[26:27]
	s_delay_alu instid0(VALU_DEP_1) | instskip(NEXT) | instid1(VALU_DEP_2)
	v_add_co_u32 v26, vcc_lo, s8, v26
	v_add_co_ci_u32_e32 v27, vcc_lo, s9, v27, vcc_lo
	s_clause 0x1
	global_load_b64 v[30:31], v[26:27], off
	global_load_b64 v[32:33], v[16:17], off
	s_waitcnt vmcnt(1)
	v_mul_f64 v[34:35], v[28:29], v[30:31]
	s_waitcnt vmcnt(0)
	v_mul_f64 v[47:48], v[22:23], v[32:33]
	s_delay_alu instid0(VALU_DEP_2) | instskip(NEXT) | instid1(VALU_DEP_2)
	v_fma_f64 v[32:33], v[24:25], v[32:33], v[34:35]
	v_fma_f64 v[30:31], v[24:25], v[30:31], -v[47:48]
	s_clause 0x1
	global_store_b64 v[16:17], v[32:33], off
	global_store_b64 v[26:27], v[30:31], off
	s_and_b32 exec_lo, exec_lo, s2
	s_cbranch_execz .LBB51_37
; %bb.36:                               ;   in Loop: Header=BB51_10 Depth=1
	v_add_nc_u32_e32 v26, v46, v44
	s_delay_alu instid0(VALU_DEP_1) | instskip(NEXT) | instid1(VALU_DEP_1)
	v_ashrrev_i32_e32 v27, 31, v26
	v_lshlrev_b64 v[26:27], 3, v[26:27]
	s_delay_alu instid0(VALU_DEP_1) | instskip(NEXT) | instid1(VALU_DEP_2)
	v_add_co_u32 v26, vcc_lo, s8, v26
	v_add_co_ci_u32_e32 v27, vcc_lo, s9, v27, vcc_lo
	s_clause 0x1
	global_load_b64 v[30:31], v[26:27], off
	global_load_b64 v[32:33], v[20:21], off
	s_waitcnt vmcnt(1)
	v_mul_f64 v[34:35], v[28:29], v[30:31]
	s_waitcnt vmcnt(0)
	v_mul_f64 v[47:48], v[22:23], v[32:33]
	s_delay_alu instid0(VALU_DEP_2) | instskip(NEXT) | instid1(VALU_DEP_2)
	v_fma_f64 v[32:33], v[24:25], v[32:33], v[34:35]
	v_fma_f64 v[30:31], v[24:25], v[30:31], -v[47:48]
	s_clause 0x1
	global_store_b64 v[20:21], v[32:33], off
	global_store_b64 v[26:27], v[30:31], off
.LBB51_37:                              ;   in Loop: Header=BB51_10 Depth=1
	s_or_b32 exec_lo, exec_lo, s10
	s_and_b32 s4, s0, s3
	s_waitcnt_vscnt null, 0x0
	s_barrier
	buffer_gl0_inv
	s_and_saveexec_b32 s3, s4
	s_cbranch_execz .LBB51_9
; %bb.38:                               ;   in Loop: Header=BB51_10 Depth=1
	v_mad_u64_u32 v[26:27], null, v46, s11, v[3:4]
	s_mov_b32 s15, s14
	s_delay_alu instid0(SALU_CYCLE_1) | instskip(SKIP_1) | instid1(VALU_DEP_2)
	v_dual_mov_b32 v33, s15 :: v_dual_add_nc_u32 v30, v46, v40
	v_mov_b32_e32 v32, s14
	v_ashrrev_i32_e32 v31, 31, v30
	s_delay_alu instid0(VALU_DEP_4) | instskip(NEXT) | instid1(VALU_DEP_2)
	v_ashrrev_i32_e32 v27, 31, v26
	v_lshlrev_b64 v[30:31], 3, v[30:31]
	s_delay_alu instid0(VALU_DEP_2) | instskip(NEXT) | instid1(VALU_DEP_1)
	v_lshlrev_b64 v[26:27], 3, v[26:27]
	v_add_co_u32 v26, vcc_lo, s8, v26
	s_delay_alu instid0(VALU_DEP_2) | instskip(NEXT) | instid1(VALU_DEP_4)
	v_add_co_ci_u32_e32 v27, vcc_lo, s9, v27, vcc_lo
	v_add_co_u32 v30, vcc_lo, s8, v30
	v_add_co_ci_u32_e32 v31, vcc_lo, s9, v31, vcc_lo
	s_clause 0x1
	global_store_b64 v[26:27], v[32:33], off
	global_store_b64 v[30:31], v[32:33], off
	s_branch .LBB51_9
.LBB51_39:
	s_endpgm
	.section	.rodata,"a",@progbits
	.p2align	6, 0x0
	.amdhsa_kernel _ZN9rocsolver6v33100L21syevj_offd_kernel_orgIddPdEEviiT1_iilT0_PT_PiS7_S7_
		.amdhsa_group_segment_fixed_size 0
		.amdhsa_private_segment_fixed_size 0
		.amdhsa_kernarg_size 328
		.amdhsa_user_sgpr_count 14
		.amdhsa_user_sgpr_dispatch_ptr 0
		.amdhsa_user_sgpr_queue_ptr 0
		.amdhsa_user_sgpr_kernarg_segment_ptr 1
		.amdhsa_user_sgpr_dispatch_id 0
		.amdhsa_user_sgpr_private_segment_size 0
		.amdhsa_wavefront_size32 1
		.amdhsa_uses_dynamic_stack 0
		.amdhsa_enable_private_segment 0
		.amdhsa_system_sgpr_workgroup_id_x 1
		.amdhsa_system_sgpr_workgroup_id_y 0
		.amdhsa_system_sgpr_workgroup_id_z 1
		.amdhsa_system_sgpr_workgroup_info 0
		.amdhsa_system_vgpr_workitem_id 1
		.amdhsa_next_free_vgpr 52
		.amdhsa_next_free_sgpr 24
		.amdhsa_reserve_vcc 1
		.amdhsa_float_round_mode_32 0
		.amdhsa_float_round_mode_16_64 0
		.amdhsa_float_denorm_mode_32 3
		.amdhsa_float_denorm_mode_16_64 3
		.amdhsa_dx10_clamp 1
		.amdhsa_ieee_mode 1
		.amdhsa_fp16_overflow 0
		.amdhsa_workgroup_processor_mode 1
		.amdhsa_memory_ordered 1
		.amdhsa_forward_progress 0
		.amdhsa_shared_vgpr_count 0
		.amdhsa_exception_fp_ieee_invalid_op 0
		.amdhsa_exception_fp_denorm_src 0
		.amdhsa_exception_fp_ieee_div_zero 0
		.amdhsa_exception_fp_ieee_overflow 0
		.amdhsa_exception_fp_ieee_underflow 0
		.amdhsa_exception_fp_ieee_inexact 0
		.amdhsa_exception_int_div_zero 0
	.end_amdhsa_kernel
	.section	.text._ZN9rocsolver6v33100L21syevj_offd_kernel_orgIddPdEEviiT1_iilT0_PT_PiS7_S7_,"axG",@progbits,_ZN9rocsolver6v33100L21syevj_offd_kernel_orgIddPdEEviiT1_iilT0_PT_PiS7_S7_,comdat
.Lfunc_end51:
	.size	_ZN9rocsolver6v33100L21syevj_offd_kernel_orgIddPdEEviiT1_iilT0_PT_PiS7_S7_, .Lfunc_end51-_ZN9rocsolver6v33100L21syevj_offd_kernel_orgIddPdEEviiT1_iilT0_PT_PiS7_S7_
                                        ; -- End function
	.section	.AMDGPU.csdata,"",@progbits
; Kernel info:
; codeLenInByte = 3764
; NumSgprs: 26
; NumVgprs: 52
; ScratchSize: 0
; MemoryBound: 0
; FloatMode: 240
; IeeeMode: 1
; LDSByteSize: 0 bytes/workgroup (compile time only)
; SGPRBlocks: 3
; VGPRBlocks: 6
; NumSGPRsForWavesPerEU: 26
; NumVGPRsForWavesPerEU: 52
; Occupancy: 16
; WaveLimiterHint : 0
; COMPUTE_PGM_RSRC2:SCRATCH_EN: 0
; COMPUTE_PGM_RSRC2:USER_SGPR: 14
; COMPUTE_PGM_RSRC2:TRAP_HANDLER: 0
; COMPUTE_PGM_RSRC2:TGID_X_EN: 1
; COMPUTE_PGM_RSRC2:TGID_Y_EN: 0
; COMPUTE_PGM_RSRC2:TGID_Z_EN: 1
; COMPUTE_PGM_RSRC2:TIDIG_COMP_CNT: 1
	.section	.text._ZN9rocsolver6v33100L17syevj_offd_kernelIddPdEEviiT1_iilT0_PT_PiS7_S7_i,"axG",@progbits,_ZN9rocsolver6v33100L17syevj_offd_kernelIddPdEEviiT1_iilT0_PT_PiS7_S7_i,comdat
	.globl	_ZN9rocsolver6v33100L17syevj_offd_kernelIddPdEEviiT1_iilT0_PT_PiS7_S7_i ; -- Begin function _ZN9rocsolver6v33100L17syevj_offd_kernelIddPdEEviiT1_iilT0_PT_PiS7_S7_i
	.p2align	8
	.type	_ZN9rocsolver6v33100L17syevj_offd_kernelIddPdEEviiT1_iilT0_PT_PiS7_S7_i,@function
_ZN9rocsolver6v33100L17syevj_offd_kernelIddPdEEviiT1_iilT0_PT_PiS7_S7_i: ; @_ZN9rocsolver6v33100L17syevj_offd_kernelIddPdEEviiT1_iilT0_PT_PiS7_S7_i
; %bb.0:
	s_mov_b32 s12, s15
	s_clause 0x1
	s_load_b64 s[24:25], s[0:1], 0x0
	s_load_b32 s15, s[0:1], 0x48
	s_waitcnt lgkmcnt(0)
	s_abs_i32 s2, s24
	s_cmp_ge_u32 s12, s15
	v_cvt_f32_u32_e32 v1, s2
	s_delay_alu instid0(VALU_DEP_1) | instskip(SKIP_2) | instid1(VALU_DEP_1)
	v_rcp_iflag_f32_e32 v1, v1
	s_waitcnt_depctr 0xfff
	v_mul_f32_e32 v1, 0x4f7ffffe, v1
	v_cvt_u32_f32_e32 v1, v1
	s_delay_alu instid0(VALU_DEP_1)
	v_readfirstlane_b32 s3, v1
	s_cbranch_scc1 .LBB52_82
; %bb.1:
	s_load_b256 s[4:11], s[0:1], 0x18
	s_mov_b32 s16, 0
	s_mov_b32 s17, 0x100000
	s_sub_i32 s29, 0, s2
	s_add_i32 s13, s25, -1
	s_mul_i32 s29, s29, s3
	s_ashr_i32 s35, s24, 31
	s_mov_b32 s34, s24
	s_mul_i32 s36, s24, s24
	v_bfe_u32 v17, v0, 10, 10
	v_and_b32_e32 v0, 0x3ff, v0
	s_delay_alu instid0(VALU_DEP_1)
	v_lshl_add_u32 v20, v0, 3, 0
	s_waitcnt lgkmcnt(0)
	v_div_scale_f64 v[1:2], null, s[6:7], s[6:7], 0x100000
	v_div_scale_f64 v[7:8], vcc_lo, s[16:17], s[6:7], s[16:17]
	s_clause 0x3
	s_load_b128 s[20:23], s[0:1], 0x8
	s_load_b128 s[16:19], s[0:1], 0x38
	s_load_b32 s28, s[0:1], 0x50
	s_load_b64 s[26:27], s[0:1], 0x58
	s_mul_hi_u32 s0, s3, s29
	s_abs_i32 s1, s13
	s_add_i32 s3, s3, s0
	s_delay_alu instid0(SALU_CYCLE_1)
	s_mul_hi_u32 s0, s1, s3
	s_ashr_i32 s3, s13, 31
	s_mul_i32 s13, s0, s2
	s_xor_b32 s3, s3, s35
	s_sub_i32 s1, s1, s13
	s_add_i32 s13, s0, 1
	s_sub_i32 s29, s1, s2
	s_cmp_ge_u32 s1, s2
	s_cselect_b32 s0, s13, s0
	s_cselect_b32 s1, s29, s1
	s_add_i32 s13, s0, 1
	s_cmp_ge_u32 s1, s2
	s_cselect_b32 s0, s13, s0
	s_lshl_b32 s33, s24, 1
	s_xor_b32 s0, s0, s3
	s_lshl_b32 s31, s24, 3
	s_sub_i32 s30, s0, s3
	s_lshl_b64 s[0:1], s[34:35], 4
	s_add_i32 s2, s30, 1
	s_add_i32 s13, s31, 0
	s_lshr_b32 s3, s2, 31
	s_waitcnt lgkmcnt(0)
	s_lshr_b32 s29, s27, 16
	s_add_i32 s3, s2, s3
	s_and_b32 s27, s27, 0xffff
	s_and_b32 s3, s3, -2
	s_delay_alu instid0(SALU_CYCLE_1) | instskip(NEXT) | instid1(VALU_DEP_2)
	s_sub_i32 s34, s2, s3
	v_rcp_f64_e32 v[3:4], v[1:2]
	s_add_i32 s35, s34, s2
	s_mul_hi_i32 s3, s33, s33
	s_lshr_b32 s37, s35, 31
	s_mul_i32 s2, s33, s33
	s_add_i32 s35, s35, s37
	s_lshl_b64 s[2:3], s[2:3], 3
	s_add_i32 s34, s13, s31
	s_ashr_i32 s35, s35, 1
	s_add_u32 s0, s2, s0
	s_addc_u32 s1, s3, s1
	s_ashr_i32 s3, s22, 31
	s_lshl_b32 s36, s36, 2
	s_cmp_lt_u32 s14, s35
	s_mul_i32 s2, s30, s24
	s_cselect_b32 s37, -1, 0
	s_sub_i32 s38, s25, s2
	s_cmp_lg_u64 s[8:9], 0
	s_mov_b32 s2, s22
	s_cselect_b32 s39, -1, 0
	s_cmp_gt_i32 s24, 0
	v_cmp_lt_u64_e64 s47, 0x10000, s[0:1]
	s_cselect_b32 s22, -1, 0
	s_ashr_i32 s40, s23, 31
	s_add_u32 s41, s18, 4
	s_addc_u32 s42, s19, 0
	s_lshl_b64 s[2:3], s[2:3], 3
	v_cmp_gt_u32_e64 s0, s24, v17
	s_add_u32 s43, s20, s2
	s_addc_u32 s44, s21, s3
	s_sub_i32 s45, 0, s24
	s_mov_b64 s[2:3], src_shared_base
	v_cmp_gt_u32_e64 s1, s24, v0
	s_mul_i32 s2, s24, s29
	s_mov_b32 s46, s3
	s_lshl_b32 s48, s2, 1
	s_lshl_b32 s49, s27, 3
	s_waitcnt_depctr 0xfff
	v_fma_f64 v[5:6], -v[1:2], v[3:4], 1.0
	s_delay_alu instid0(VALU_DEP_1) | instskip(NEXT) | instid1(VALU_DEP_1)
	v_fma_f64 v[3:4], v[3:4], v[5:6], v[3:4]
	v_fma_f64 v[5:6], -v[1:2], v[3:4], 1.0
	s_delay_alu instid0(VALU_DEP_1) | instskip(NEXT) | instid1(VALU_DEP_1)
	v_fma_f64 v[3:4], v[3:4], v[5:6], v[3:4]
	v_mul_f64 v[5:6], v[7:8], v[3:4]
	s_delay_alu instid0(VALU_DEP_1) | instskip(SKIP_1) | instid1(VALU_DEP_1)
	v_fma_f64 v[1:2], -v[1:2], v[5:6], v[7:8]
	v_cvt_f32_u32_e32 v7, s24
	v_rcp_iflag_f32_e32 v7, v7
	s_delay_alu instid0(VALU_DEP_2) | instskip(SKIP_3) | instid1(VALU_DEP_2)
	v_div_fmas_f64 v[1:2], v[1:2], v[3:4], v[5:6]
	s_waitcnt_depctr 0xfff
	v_dual_mul_f32 v3, 0x4f7ffffe, v7 :: v_dual_add_nc_u32 v6, s24, v17
	v_mul_lo_u32 v5, v17, s24
	v_cvt_u32_f32_e32 v3, v3
	s_delay_alu instid0(VALU_DEP_3) | instskip(NEXT) | instid1(VALU_DEP_3)
	v_mul_lo_u32 v6, s24, v6
	v_lshlrev_b32_e32 v18, 1, v5
	s_delay_alu instid0(VALU_DEP_3) | instskip(NEXT) | instid1(VALU_DEP_3)
	v_mul_lo_u32 v4, s45, v3
	v_lshl_add_u32 v22, v6, 1, v0
	s_delay_alu instid0(VALU_DEP_3) | instskip(NEXT) | instid1(VALU_DEP_3)
	v_add_nc_u32_e32 v21, v0, v18
	v_mul_hi_u32 v4, v3, v4
	s_delay_alu instid0(VALU_DEP_1)
	v_dual_mov_b32 v4, 0 :: v_dual_add_nc_u32 v19, v3, v4
	v_div_fixup_f64 v[1:2], v[1:2], s[6:7], 0x100000
	s_mov_b32 s6, 0
	s_branch .LBB52_3
.LBB52_2:                               ;   in Loop: Header=BB52_3 Depth=1
	s_add_i32 s12, s12, s26
	s_delay_alu instid0(SALU_CYCLE_1)
	s_cmp_ge_u32 s12, s15
	s_cbranch_scc1 .LBB52_82
.LBB52_3:                               ; =>This Loop Header: Depth=1
                                        ;     Child Loop BB52_8 Depth 2
                                        ;       Child Loop BB52_16 Depth 3
                                        ;         Child Loop BB52_18 Depth 4
                                        ;       Child Loop BB52_23 Depth 3
                                        ;         Child Loop BB52_26 Depth 4
                                        ;           Child Loop BB52_33 Depth 5
                                        ;         Child Loop BB52_48 Depth 4
                                        ;           Child Loop BB52_51 Depth 5
	;; [unrolled: 2-line block ×4, first 2 shown]
                                        ;       Child Loop BB52_79 Depth 3
                                        ;         Child Loop BB52_81 Depth 4
	s_mov_b32 s13, s6
	s_delay_alu instid0(SALU_CYCLE_1) | instskip(NEXT) | instid1(SALU_CYCLE_1)
	s_lshl_b64 s[2:3], s[12:13], 2
	s_add_u32 s2, s41, s2
	s_addc_u32 s3, s42, s3
	global_load_b32 v3, v4, s[2:3]
	s_waitcnt vmcnt(0)
	v_cmp_ne_u32_e32 vcc_lo, 0, v3
	s_cbranch_vccnz .LBB52_2
; %bb.4:                                ;   in Loop: Header=BB52_3 Depth=1
	s_and_not1_b32 vcc_lo, exec_lo, s37
	s_cbranch_vccnz .LBB52_2
; %bb.5:                                ;   in Loop: Header=BB52_3 Depth=1
	s_mul_i32 s3, s12, s5
	s_mul_hi_u32 s7, s12, s4
	s_mul_i32 s2, s12, s4
	s_add_i32 s3, s7, s3
	s_mul_i32 s13, s12, s35
	s_lshl_b64 s[2:3], s[2:3], 3
	s_mov_b32 s18, s14
	s_add_u32 s50, s43, s2
	s_addc_u32 s51, s44, s3
	s_branch .LBB52_8
.LBB52_6:                               ;   in Loop: Header=BB52_8 Depth=2
	s_set_inst_prefetch_distance 0x2
	s_or_b32 exec_lo, exec_lo, s7
	s_waitcnt lgkmcnt(0)
	s_waitcnt_vscnt null, 0x0
	s_barrier
	buffer_gl0_inv
.LBB52_7:                               ;   in Loop: Header=BB52_8 Depth=2
	s_add_i32 s18, s18, s28
	s_delay_alu instid0(SALU_CYCLE_1)
	s_cmp_lt_u32 s18, s35
	s_cbranch_scc0 .LBB52_2
.LBB52_8:                               ;   Parent Loop BB52_3 Depth=1
                                        ; =>  This Loop Header: Depth=2
                                        ;       Child Loop BB52_16 Depth 3
                                        ;         Child Loop BB52_18 Depth 4
                                        ;       Child Loop BB52_23 Depth 3
                                        ;         Child Loop BB52_26 Depth 4
                                        ;           Child Loop BB52_33 Depth 5
                                        ;         Child Loop BB52_48 Depth 4
                                        ;           Child Loop BB52_51 Depth 5
                                        ;         Child Loop BB52_61 Depth 4
                                        ;           Child Loop BB52_64 Depth 5
                                        ;         Child Loop BB52_70 Depth 4
                                        ;           Child Loop BB52_73 Depth 5
                                        ;       Child Loop BB52_79 Depth 3
                                        ;         Child Loop BB52_81 Depth 4
	s_mov_b32 s19, s6
	s_delay_alu instid0(SALU_CYCLE_1) | instskip(NEXT) | instid1(SALU_CYCLE_1)
	s_lshl_b64 s[2:3], s[18:19], 2
	s_add_u32 s20, s10, s2
	s_addc_u32 s21, s11, s3
	s_add_u32 s2, s16, s2
	s_addc_u32 s3, s17, s3
	s_clause 0x1
	global_load_b32 v3, v4, s[20:21]
	global_load_b32 v5, v4, s[2:3]
	s_waitcnt vmcnt(1)
	v_readfirstlane_b32 s2, v3
	s_waitcnt vmcnt(0)
	v_readfirstlane_b32 s3, v5
	s_delay_alu instid0(VALU_DEP_1) | instskip(NEXT) | instid1(SALU_CYCLE_1)
	s_max_i32 s55, s2, s3
	s_cmp_gt_i32 s55, s30
	s_cbranch_scc1 .LBB52_7
; %bb.9:                                ;   in Loop: Header=BB52_8 Depth=2
	s_and_not1_b32 vcc_lo, exec_lo, s39
	s_cbranch_vccnz .LBB52_11
; %bb.10:                               ;   in Loop: Header=BB52_8 Depth=2
	s_add_i32 s2, s18, s13
	s_mov_b32 s3, s6
	s_mul_i32 s2, s36, s2
	s_delay_alu instid0(SALU_CYCLE_1) | instskip(NEXT) | instid1(SALU_CYCLE_1)
	s_lshl_b64 s[2:3], s[2:3], 3
	s_add_u32 s20, s8, s2
	s_addc_u32 s21, s9, s3
	s_branch .LBB52_12
.LBB52_11:                              ;   in Loop: Header=BB52_8 Depth=2
	s_mov_b64 s[20:21], 0
.LBB52_12:                              ;   in Loop: Header=BB52_8 Depth=2
	v_min_i32_e32 v5, v5, v3
	v_mov_b32_e32 v3, s38
	s_cmp_eq_u32 s30, s55
	s_cselect_b32 s2, s38, s24
	s_delay_alu instid0(VALU_DEP_2)
	v_cmp_eq_u32_e32 vcc_lo, s30, v5
	s_and_b32 s3, s47, exec_lo
	s_cselect_b32 s19, s21, s46
	s_cselect_b32 s52, s20, s34
	s_cmp_eq_u64 s[20:21], 0
	v_cndmask_b32_e32 v3, s24, v3, vcc_lo
	s_cselect_b32 s53, -1, 0
	s_cmp_lg_u64 s[20:21], 0
	s_cselect_b32 s54, -1, 0
	s_delay_alu instid0(VALU_DEP_1)
	v_add_nc_u32_e32 v23, s2, v3
	s_and_b32 vcc_lo, exec_lo, s53
	s_cbranch_vccnz .LBB52_20
; %bb.13:                               ;   in Loop: Header=BB52_8 Depth=2
	s_mov_b32 s7, exec_lo
	s_waitcnt_vscnt null, 0x0
	s_barrier
	buffer_gl0_inv
	v_cmpx_lt_u32_e64 v17, v23
	s_cbranch_execz .LBB52_19
; %bb.14:                               ;   in Loop: Header=BB52_8 Depth=2
	v_cmp_lt_u32_e32 vcc_lo, v0, v23
	v_dual_mov_b32 v6, v18 :: v_dual_mov_b32 v7, v17
	s_mov_b32 s56, 0
	s_set_inst_prefetch_distance 0x1
	s_branch .LBB52_16
	.p2align	6
.LBB52_15:                              ;   in Loop: Header=BB52_16 Depth=3
	s_or_b32 exec_lo, exec_lo, s57
	v_add_nc_u32_e32 v7, s29, v7
	v_add_nc_u32_e32 v6, s48, v6
	s_delay_alu instid0(VALU_DEP_2) | instskip(NEXT) | instid1(VALU_DEP_1)
	v_cmp_ge_u32_e64 s2, v7, v23
	s_or_b32 s56, s2, s56
	s_delay_alu instid0(SALU_CYCLE_1)
	s_and_not1_b32 exec_lo, exec_lo, s56
	s_cbranch_execz .LBB52_19
.LBB52_16:                              ;   Parent Loop BB52_3 Depth=1
                                        ;     Parent Loop BB52_8 Depth=2
                                        ; =>    This Loop Header: Depth=3
                                        ;         Child Loop BB52_18 Depth 4
	s_and_saveexec_b32 s57, vcc_lo
	s_cbranch_execz .LBB52_15
; %bb.17:                               ;   in Loop: Header=BB52_16 Depth=3
	v_mov_b32_e32 v8, v0
	s_mov_b32 s58, 0
	.p2align	6
.LBB52_18:                              ;   Parent Loop BB52_3 Depth=1
                                        ;     Parent Loop BB52_8 Depth=2
                                        ;       Parent Loop BB52_16 Depth=3
                                        ; =>      This Inner Loop Header: Depth=4
	s_delay_alu instid0(VALU_DEP_1) | instskip(SKIP_2) | instid1(VALU_DEP_3)
	v_add_nc_u32_e32 v3, v6, v8
	v_cmp_eq_u32_e64 s2, v7, v8
	v_dual_mov_b32 v9, v4 :: v_dual_add_nc_u32 v8, s27, v8
	v_lshlrev_b64 v[11:12], 3, v[3:4]
	s_delay_alu instid0(VALU_DEP_3) | instskip(NEXT) | instid1(VALU_DEP_3)
	v_cndmask_b32_e64 v10, 0, 0x3ff00000, s2
	v_cmp_ge_u32_e64 s2, v8, v23
	s_delay_alu instid0(VALU_DEP_3) | instskip(NEXT) | instid1(VALU_DEP_1)
	v_add_co_u32 v11, s3, s52, v11
	v_add_co_ci_u32_e64 v12, s3, s19, v12, s3
	s_delay_alu instid0(VALU_DEP_3)
	s_or_b32 s58, s2, s58
	flat_store_b64 v[11:12], v[9:10]
	s_and_not1_b32 exec_lo, exec_lo, s58
	s_cbranch_execnz .LBB52_18
	s_branch .LBB52_15
.LBB52_19:                              ;   in Loop: Header=BB52_8 Depth=2
	s_set_inst_prefetch_distance 0x2
	s_or_b32 exec_lo, exec_lo, s7
	s_waitcnt lgkmcnt(0)
	s_waitcnt_vscnt null, 0x0
	s_barrier
	buffer_gl0_inv
.LBB52_20:                              ;   in Loop: Header=BB52_8 Depth=2
	s_and_not1_b32 vcc_lo, exec_lo, s22
	s_cbranch_vccnz .LBB52_75
; %bb.21:                               ;   in Loop: Header=BB52_8 Depth=2
	v_mul_lo_u32 v24, v5, s24
	v_mov_b32_e32 v26, v0
	s_mul_i32 s55, s55, s24
	s_mov_b32 s56, 0
	s_delay_alu instid0(VALU_DEP_2)
	v_add_nc_u32_e32 v25, v0, v24
	s_branch .LBB52_23
.LBB52_22:                              ;   in Loop: Header=BB52_23 Depth=3
	s_or_b32 exec_lo, exec_lo, s3
	v_add_nc_u32_e32 v26, 1, v26
	s_add_i32 s56, s56, 1
	s_delay_alu instid0(SALU_CYCLE_1)
	s_cmp_eq_u32 s56, s24
	s_cbranch_scc1 .LBB52_75
.LBB52_23:                              ;   Parent Loop BB52_3 Depth=1
                                        ;     Parent Loop BB52_8 Depth=2
                                        ; =>    This Loop Header: Depth=3
                                        ;         Child Loop BB52_26 Depth 4
                                        ;           Child Loop BB52_33 Depth 5
                                        ;         Child Loop BB52_48 Depth 4
                                        ;           Child Loop BB52_51 Depth 5
	;; [unrolled: 2-line block ×4, first 2 shown]
	s_and_saveexec_b32 s7, s0
	s_cbranch_execz .LBB52_45
; %bb.24:                               ;   in Loop: Header=BB52_23 Depth=3
	v_mov_b32_e32 v27, v17
	s_mov_b32 s57, 0
	s_branch .LBB52_26
.LBB52_25:                              ;   in Loop: Header=BB52_26 Depth=4
	s_or_b32 exec_lo, exec_lo, s58
	v_add_nc_u32_e32 v27, s29, v27
	s_delay_alu instid0(VALU_DEP_1) | instskip(SKIP_1) | instid1(SALU_CYCLE_1)
	v_cmp_le_u32_e32 vcc_lo, s24, v27
	s_or_b32 s57, vcc_lo, s57
	s_and_not1_b32 exec_lo, exec_lo, s57
	s_cbranch_execz .LBB52_45
.LBB52_26:                              ;   Parent Loop BB52_3 Depth=1
                                        ;     Parent Loop BB52_8 Depth=2
                                        ;       Parent Loop BB52_23 Depth=3
                                        ; =>      This Loop Header: Depth=4
                                        ;           Child Loop BB52_33 Depth 5
	s_and_saveexec_b32 s58, s1
	s_cbranch_execz .LBB52_25
; %bb.27:                               ;   in Loop: Header=BB52_26 Depth=4
	v_cmp_eq_u32_e64 s2, 0, v27
	v_dual_mov_b32 v28, v20 :: v_dual_mov_b32 v29, v26
	s_mov_b32 s59, 0
	s_mov_b32 s60, 0
	s_branch .LBB52_33
.LBB52_28:                              ;   in Loop: Header=BB52_33 Depth=5
	s_or_b32 exec_lo, exec_lo, s64
.LBB52_29:                              ;   in Loop: Header=BB52_33 Depth=5
	s_delay_alu instid0(SALU_CYCLE_1)
	s_or_b32 exec_lo, exec_lo, s63
.LBB52_30:                              ;   in Loop: Header=BB52_33 Depth=5
	s_delay_alu instid0(SALU_CYCLE_1) | instskip(NEXT) | instid1(VALU_DEP_1)
	s_or_b32 exec_lo, exec_lo, s3
	v_mul_f64 v[7:8], v[5:6], v[13:14]
	v_dual_mov_b32 v11, v5 :: v_dual_and_b32 v12, 0x7fffffff, v6
	s_delay_alu instid0(VALU_DEP_1) | instskip(SKIP_1) | instid1(VALU_DEP_2)
	v_div_scale_f64 v[13:14], null, v[11:12], v[11:12], v[7:8]
	v_div_scale_f64 v[11:12], vcc_lo, v[7:8], v[11:12], v[7:8]
	v_rcp_f64_e32 v[15:16], v[13:14]
	s_waitcnt_depctr 0xfff
	v_fma_f64 v[30:31], -v[13:14], v[15:16], 1.0
	s_delay_alu instid0(VALU_DEP_1) | instskip(NEXT) | instid1(VALU_DEP_1)
	v_fma_f64 v[15:16], v[15:16], v[30:31], v[15:16]
	v_fma_f64 v[30:31], -v[13:14], v[15:16], 1.0
	s_delay_alu instid0(VALU_DEP_1) | instskip(NEXT) | instid1(VALU_DEP_1)
	v_fma_f64 v[15:16], v[15:16], v[30:31], v[15:16]
	v_mul_f64 v[30:31], v[11:12], v[15:16]
	s_delay_alu instid0(VALU_DEP_1) | instskip(NEXT) | instid1(VALU_DEP_1)
	v_fma_f64 v[11:12], -v[13:14], v[30:31], v[11:12]
	v_div_fmas_f64 v[11:12], v[11:12], v[15:16], v[30:31]
	s_delay_alu instid0(VALU_DEP_1)
	v_div_fixup_f64 v[13:14], v[11:12], |v[5:6]|, v[7:8]
.LBB52_31:                              ;   in Loop: Header=BB52_33 Depth=5
	s_or_b32 exec_lo, exec_lo, s62
	v_add_nc_u32_e32 v3, s31, v28
	ds_store_b64 v28, v[9:10]
	ds_store_b64 v3, v[13:14]
.LBB52_32:                              ;   in Loop: Header=BB52_33 Depth=5
	s_or_b32 exec_lo, exec_lo, s61
	s_add_i32 s60, s60, s27
	v_add_nc_u32_e32 v29, s27, v29
	v_add_nc_u32_e32 v3, s60, v0
	;; [unrolled: 1-line block ×3, first 2 shown]
	s_delay_alu instid0(VALU_DEP_2) | instskip(SKIP_1) | instid1(SALU_CYCLE_1)
	v_cmp_le_u32_e32 vcc_lo, s24, v3
	s_or_b32 s59, vcc_lo, s59
	s_and_not1_b32 exec_lo, exec_lo, s59
	s_cbranch_execz .LBB52_25
.LBB52_33:                              ;   Parent Loop BB52_3 Depth=1
                                        ;     Parent Loop BB52_8 Depth=2
                                        ;       Parent Loop BB52_23 Depth=3
                                        ;         Parent Loop BB52_26 Depth=4
                                        ; =>        This Inner Loop Header: Depth=5
	s_delay_alu instid0(VALU_DEP_1) | instskip(SKIP_1) | instid1(VALU_DEP_2)
	v_mul_hi_u32 v3, v19, v29
	v_add_nc_u32_e32 v6, s60, v0
	v_mul_lo_u32 v5, s24, v3
	v_not_b32_e32 v3, v3
	s_delay_alu instid0(VALU_DEP_1) | instskip(NEXT) | instid1(VALU_DEP_3)
	v_mul_lo_u32 v3, s24, v3
	v_sub_nc_u32_e32 v5, s56, v5
	s_delay_alu instid0(VALU_DEP_1) | instskip(NEXT) | instid1(VALU_DEP_3)
	v_add_nc_u32_e32 v5, v6, v5
	v_add3_u32 v3, s56, v3, v6
	s_delay_alu instid0(VALU_DEP_2) | instskip(NEXT) | instid1(VALU_DEP_2)
	v_cmp_le_u32_e32 vcc_lo, s24, v5
	v_cndmask_b32_e32 v3, v5, v3, vcc_lo
	s_delay_alu instid0(VALU_DEP_1) | instskip(SKIP_1) | instid1(VALU_DEP_2)
	v_subrev_nc_u32_e32 v5, s24, v3
	v_cmp_le_u32_e32 vcc_lo, s24, v3
	v_cndmask_b32_e32 v5, v3, v5, vcc_lo
	v_add_nc_u32_e32 v3, s60, v25
	s_delay_alu instid0(VALU_DEP_2) | instskip(NEXT) | instid1(VALU_DEP_2)
	v_add_nc_u32_e32 v7, s55, v5
	v_cmp_gt_u32_e32 vcc_lo, s25, v3
	s_delay_alu instid0(VALU_DEP_2)
	v_cmp_gt_u32_e64 s3, s25, v7
	s_and_b32 s61, s2, vcc_lo
	s_delay_alu instid0(VALU_DEP_1) | instid1(SALU_CYCLE_1)
	s_and_b32 s3, s61, s3
	s_delay_alu instid0(SALU_CYCLE_1)
	s_and_saveexec_b32 s61, s3
	s_cbranch_execz .LBB52_32
; %bb.34:                               ;   in Loop: Header=BB52_33 Depth=5
	v_mad_u64_u32 v[5:6], null, v7, s23, 0
	v_lshlrev_b64 v[11:12], 3, v[3:4]
	v_mov_b32_e32 v13, 0
	v_mov_b32_e32 v14, 0
	s_delay_alu instid0(VALU_DEP_4) | instskip(NEXT) | instid1(VALU_DEP_1)
	v_mad_u64_u32 v[8:9], null, v7, s40, v[6:7]
	v_mov_b32_e32 v6, v8
	s_delay_alu instid0(VALU_DEP_1) | instskip(NEXT) | instid1(VALU_DEP_1)
	v_lshlrev_b64 v[5:6], 3, v[5:6]
	v_add_co_u32 v15, vcc_lo, s50, v5
	s_delay_alu instid0(VALU_DEP_2) | instskip(NEXT) | instid1(VALU_DEP_2)
	v_add_co_ci_u32_e32 v16, vcc_lo, s51, v6, vcc_lo
	v_add_co_u32 v5, vcc_lo, v15, v11
	s_delay_alu instid0(VALU_DEP_2) | instskip(SKIP_3) | instid1(VALU_DEP_1)
	v_add_co_ci_u32_e32 v6, vcc_lo, v16, v12, vcc_lo
	global_load_b64 v[5:6], v[5:6], off
	s_waitcnt vmcnt(0)
	v_mul_f64 v[8:9], v[5:6], v[5:6]
	v_cmp_nlt_f64_e32 vcc_lo, v[8:9], v[1:2]
	v_mov_b32_e32 v9, 0
	v_mov_b32_e32 v10, 0x3ff00000
	s_and_saveexec_b32 s62, vcc_lo
	s_cbranch_execz .LBB52_31
; %bb.35:                               ;   in Loop: Header=BB52_33 Depth=5
	v_mad_u64_u32 v[9:10], null, v3, s23, 0
	s_delay_alu instid0(VALU_DEP_1) | instskip(NEXT) | instid1(VALU_DEP_1)
	v_mov_b32_e32 v8, v10
	v_mad_u64_u32 v[13:14], null, v3, s40, v[8:9]
	v_mov_b32_e32 v8, v4
	s_delay_alu instid0(VALU_DEP_1) | instskip(NEXT) | instid1(VALU_DEP_3)
	v_lshlrev_b64 v[7:8], 3, v[7:8]
	v_mov_b32_e32 v10, v13
	s_delay_alu instid0(VALU_DEP_1) | instskip(NEXT) | instid1(VALU_DEP_1)
	v_lshlrev_b64 v[9:10], 3, v[9:10]
	v_add_co_u32 v3, vcc_lo, s50, v9
	s_delay_alu instid0(VALU_DEP_2) | instskip(SKIP_2) | instid1(VALU_DEP_4)
	v_add_co_ci_u32_e32 v10, vcc_lo, s51, v10, vcc_lo
	v_add_co_u32 v7, vcc_lo, v15, v7
	v_add_co_ci_u32_e32 v8, vcc_lo, v16, v8, vcc_lo
	v_add_co_u32 v9, vcc_lo, v3, v11
	s_delay_alu instid0(VALU_DEP_4) | instskip(SKIP_4) | instid1(VALU_DEP_1)
	v_add_co_ci_u32_e32 v10, vcc_lo, v10, v12, vcc_lo
	s_clause 0x1
	global_load_b64 v[11:12], v[7:8], off
	global_load_b64 v[9:10], v[9:10], off
	v_add_f64 v[7:8], |v[5:6]|, |v[5:6]|
	v_cmp_class_f64_e64 s63, v[7:8], 0x204
	s_waitcnt vmcnt(0)
	v_add_f64 v[11:12], v[11:12], -v[9:10]
	s_delay_alu instid0(VALU_DEP_1) | instskip(SKIP_2) | instid1(VALU_DEP_3)
	v_max_f64 v[9:10], |v[11:12]|, |v[7:8]|
	v_cmp_ngt_f64_e64 s3, 0, v[11:12]
	v_cmp_class_f64_e64 s64, v[11:12], 0x204
	v_frexp_exp_i32_f64_e32 v3, v[9:10]
	s_delay_alu instid0(VALU_DEP_1) | instskip(NEXT) | instid1(VALU_DEP_1)
	v_sub_nc_u32_e32 v13, 0, v3
	v_ldexp_f64 v[9:10], |v[7:8]|, v13
	v_ldexp_f64 v[13:14], |v[11:12]|, v13
	s_delay_alu instid0(VALU_DEP_2) | instskip(NEXT) | instid1(VALU_DEP_1)
	v_mul_f64 v[9:10], v[9:10], v[9:10]
	v_fma_f64 v[9:10], v[13:14], v[13:14], v[9:10]
	s_delay_alu instid0(VALU_DEP_1) | instskip(SKIP_4) | instid1(VALU_DEP_1)
	v_rsq_f64_e32 v[13:14], v[9:10]
	v_cmp_eq_f64_e32 vcc_lo, 0, v[9:10]
	s_waitcnt_depctr 0xfff
	v_mul_f64 v[15:16], v[9:10], v[13:14]
	v_mul_f64 v[13:14], v[13:14], 0.5
	v_fma_f64 v[30:31], -v[13:14], v[15:16], 0.5
	s_delay_alu instid0(VALU_DEP_1) | instskip(SKIP_1) | instid1(VALU_DEP_2)
	v_fma_f64 v[15:16], v[15:16], v[30:31], v[15:16]
	v_fma_f64 v[13:14], v[13:14], v[30:31], v[13:14]
	v_fma_f64 v[30:31], -v[15:16], v[15:16], v[9:10]
	s_delay_alu instid0(VALU_DEP_1) | instskip(NEXT) | instid1(VALU_DEP_1)
	v_fma_f64 v[13:14], v[30:31], v[13:14], v[15:16]
                                        ; implicit-def: $vgpr15_vgpr16
	v_dual_cndmask_b32 v9, v13, v9 :: v_dual_cndmask_b32 v10, v14, v10
	s_and_saveexec_b32 s65, s3
	s_delay_alu instid0(SALU_CYCLE_1)
	s_xor_b32 s3, exec_lo, s65
; %bb.36:                               ;   in Loop: Header=BB52_33 Depth=5
	s_delay_alu instid0(VALU_DEP_1) | instskip(SKIP_2) | instid1(VALU_DEP_2)
	v_ldexp_f64 v[9:10], v[9:10], v3
	v_cmp_o_f64_e32 vcc_lo, v[11:12], v[7:8]
	s_or_b32 s65, s63, s64
	v_cndmask_b32_e32 v3, 0, v9, vcc_lo
	s_delay_alu instid0(VALU_DEP_3) | instskip(NEXT) | instid1(VALU_DEP_2)
	v_cndmask_b32_e32 v9, 0x7ff80000, v10, vcc_lo
	v_cndmask_b32_e64 v15, v3, 0, s65
	s_delay_alu instid0(VALU_DEP_2)
	v_cndmask_b32_e64 v16, v9, 0x7ff00000, s65
                                        ; implicit-def: $vgpr9_vgpr10
                                        ; implicit-def: $vgpr3
; %bb.37:                               ;   in Loop: Header=BB52_33 Depth=5
	s_and_not1_saveexec_b32 s3, s3
; %bb.38:                               ;   in Loop: Header=BB52_33 Depth=5
	v_ldexp_f64 v[9:10], -v[9:10], v3
	v_cmp_o_f64_e32 vcc_lo, v[7:8], v[7:8]
	s_or_b32 s63, s63, s64
	s_delay_alu instid0(VALU_DEP_2) | instskip(NEXT) | instid1(VALU_DEP_3)
	v_cndmask_b32_e32 v3, 0, v9, vcc_lo
	v_cndmask_b32_e32 v9, 0xfff80000, v10, vcc_lo
	s_delay_alu instid0(VALU_DEP_2) | instskip(NEXT) | instid1(VALU_DEP_2)
	v_cndmask_b32_e64 v15, v3, 0, s63
	v_cndmask_b32_e64 v16, v9, 0xfff00000, s63
; %bb.39:                               ;   in Loop: Header=BB52_33 Depth=5
	s_or_b32 exec_lo, exec_lo, s3
	v_mov_b32_e32 v13, 0
	v_dual_mov_b32 v14, 0 :: v_dual_mov_b32 v9, 0
	v_mov_b32_e32 v10, 0x3ff00000
	s_mov_b32 s3, exec_lo
	v_cmpx_neq_f64_e32 0, v[7:8]
	s_cbranch_execz .LBB52_30
; %bb.40:                               ;   in Loop: Header=BB52_33 Depth=5
	v_add_f64 v[11:12], v[11:12], v[15:16]
	v_mov_b32_e32 v9, 0
	v_dual_mov_b32 v10, 0 :: v_dual_mov_b32 v13, 0
	v_mov_b32_e32 v14, 0x3ff00000
	s_mov_b32 s63, exec_lo
	s_delay_alu instid0(VALU_DEP_4)
	v_cmpx_neq_f64_e32 0, v[11:12]
	s_cbranch_execz .LBB52_29
; %bb.41:                               ;   in Loop: Header=BB52_33 Depth=5
	v_cmp_ngt_f64_e64 s64, |v[7:8]|, |v[11:12]|
                                        ; implicit-def: $vgpr9_vgpr10
                                        ; implicit-def: $vgpr13_vgpr14
	s_delay_alu instid0(VALU_DEP_1) | instskip(NEXT) | instid1(SALU_CYCLE_1)
	s_and_saveexec_b32 s65, s64
	s_xor_b32 s64, exec_lo, s65
	s_cbranch_execz .LBB52_43
; %bb.42:                               ;   in Loop: Header=BB52_33 Depth=5
	v_div_scale_f64 v[9:10], null, v[11:12], v[11:12], -v[7:8]
	v_div_scale_f64 v[30:31], vcc_lo, -v[7:8], v[11:12], -v[7:8]
	s_delay_alu instid0(VALU_DEP_2) | instskip(SKIP_2) | instid1(VALU_DEP_1)
	v_rcp_f64_e32 v[13:14], v[9:10]
	s_waitcnt_depctr 0xfff
	v_fma_f64 v[15:16], -v[9:10], v[13:14], 1.0
	v_fma_f64 v[13:14], v[13:14], v[15:16], v[13:14]
	s_delay_alu instid0(VALU_DEP_1) | instskip(NEXT) | instid1(VALU_DEP_1)
	v_fma_f64 v[15:16], -v[9:10], v[13:14], 1.0
	v_fma_f64 v[13:14], v[13:14], v[15:16], v[13:14]
	s_delay_alu instid0(VALU_DEP_1) | instskip(NEXT) | instid1(VALU_DEP_1)
	v_mul_f64 v[15:16], v[30:31], v[13:14]
	v_fma_f64 v[9:10], -v[9:10], v[15:16], v[30:31]
	s_delay_alu instid0(VALU_DEP_1) | instskip(NEXT) | instid1(VALU_DEP_1)
	v_div_fmas_f64 v[9:10], v[9:10], v[13:14], v[15:16]
	v_div_fixup_f64 v[7:8], v[9:10], v[11:12], -v[7:8]
	s_delay_alu instid0(VALU_DEP_1) | instskip(NEXT) | instid1(VALU_DEP_1)
	v_fma_f64 v[9:10], v[7:8], v[7:8], 1.0
	v_cmp_gt_f64_e32 vcc_lo, 0x10000000, v[9:10]
	v_cndmask_b32_e64 v3, 0, 1, vcc_lo
	s_delay_alu instid0(VALU_DEP_1) | instskip(NEXT) | instid1(VALU_DEP_1)
	v_lshlrev_b32_e32 v3, 8, v3
	v_ldexp_f64 v[9:10], v[9:10], v3
	v_cndmask_b32_e64 v3, 0, 0xffffff80, vcc_lo
	s_delay_alu instid0(VALU_DEP_2) | instskip(SKIP_4) | instid1(VALU_DEP_1)
	v_rsq_f64_e32 v[11:12], v[9:10]
	v_cmp_class_f64_e64 vcc_lo, v[9:10], 0x260
	s_waitcnt_depctr 0xfff
	v_mul_f64 v[13:14], v[9:10], v[11:12]
	v_mul_f64 v[11:12], v[11:12], 0.5
	v_fma_f64 v[15:16], -v[11:12], v[13:14], 0.5
	s_delay_alu instid0(VALU_DEP_1) | instskip(SKIP_1) | instid1(VALU_DEP_2)
	v_fma_f64 v[13:14], v[13:14], v[15:16], v[13:14]
	v_fma_f64 v[11:12], v[11:12], v[15:16], v[11:12]
	v_fma_f64 v[15:16], -v[13:14], v[13:14], v[9:10]
	s_delay_alu instid0(VALU_DEP_1) | instskip(NEXT) | instid1(VALU_DEP_1)
	v_fma_f64 v[13:14], v[15:16], v[11:12], v[13:14]
	v_fma_f64 v[15:16], -v[13:14], v[13:14], v[9:10]
	s_delay_alu instid0(VALU_DEP_1) | instskip(NEXT) | instid1(VALU_DEP_1)
	v_fma_f64 v[11:12], v[15:16], v[11:12], v[13:14]
	v_ldexp_f64 v[11:12], v[11:12], v3
	s_delay_alu instid0(VALU_DEP_1) | instskip(NEXT) | instid1(VALU_DEP_1)
	v_dual_cndmask_b32 v10, v12, v10 :: v_dual_cndmask_b32 v9, v11, v9
	v_div_scale_f64 v[11:12], null, v[9:10], v[9:10], 1.0
	s_delay_alu instid0(VALU_DEP_1) | instskip(SKIP_2) | instid1(VALU_DEP_1)
	v_rcp_f64_e32 v[13:14], v[11:12]
	s_waitcnt_depctr 0xfff
	v_fma_f64 v[15:16], -v[11:12], v[13:14], 1.0
	v_fma_f64 v[13:14], v[13:14], v[15:16], v[13:14]
	s_delay_alu instid0(VALU_DEP_1) | instskip(NEXT) | instid1(VALU_DEP_1)
	v_fma_f64 v[15:16], -v[11:12], v[13:14], 1.0
	v_fma_f64 v[13:14], v[13:14], v[15:16], v[13:14]
	v_div_scale_f64 v[15:16], vcc_lo, 1.0, v[9:10], 1.0
	s_delay_alu instid0(VALU_DEP_1) | instskip(NEXT) | instid1(VALU_DEP_1)
	v_mul_f64 v[30:31], v[15:16], v[13:14]
	v_fma_f64 v[11:12], -v[11:12], v[30:31], v[15:16]
	s_delay_alu instid0(VALU_DEP_1) | instskip(NEXT) | instid1(VALU_DEP_1)
	v_div_fmas_f64 v[11:12], v[11:12], v[13:14], v[30:31]
	v_div_fixup_f64 v[9:10], v[11:12], v[9:10], 1.0
                                        ; implicit-def: $vgpr11_vgpr12
	s_delay_alu instid0(VALU_DEP_1)
	v_mul_f64 v[13:14], v[7:8], v[9:10]
                                        ; implicit-def: $vgpr7_vgpr8
.LBB52_43:                              ;   in Loop: Header=BB52_33 Depth=5
	s_and_not1_saveexec_b32 s64, s64
	s_cbranch_execz .LBB52_28
; %bb.44:                               ;   in Loop: Header=BB52_33 Depth=5
	v_div_scale_f64 v[9:10], null, v[7:8], v[7:8], -v[11:12]
	v_div_scale_f64 v[30:31], vcc_lo, -v[11:12], v[7:8], -v[11:12]
	s_delay_alu instid0(VALU_DEP_2) | instskip(SKIP_2) | instid1(VALU_DEP_1)
	v_rcp_f64_e32 v[13:14], v[9:10]
	s_waitcnt_depctr 0xfff
	v_fma_f64 v[15:16], -v[9:10], v[13:14], 1.0
	v_fma_f64 v[13:14], v[13:14], v[15:16], v[13:14]
	s_delay_alu instid0(VALU_DEP_1) | instskip(NEXT) | instid1(VALU_DEP_1)
	v_fma_f64 v[15:16], -v[9:10], v[13:14], 1.0
	v_fma_f64 v[13:14], v[13:14], v[15:16], v[13:14]
	s_delay_alu instid0(VALU_DEP_1) | instskip(NEXT) | instid1(VALU_DEP_1)
	v_mul_f64 v[15:16], v[30:31], v[13:14]
	v_fma_f64 v[9:10], -v[9:10], v[15:16], v[30:31]
	s_delay_alu instid0(VALU_DEP_1) | instskip(NEXT) | instid1(VALU_DEP_1)
	v_div_fmas_f64 v[9:10], v[9:10], v[13:14], v[15:16]
	v_div_fixup_f64 v[7:8], v[9:10], v[7:8], -v[11:12]
	s_delay_alu instid0(VALU_DEP_1) | instskip(NEXT) | instid1(VALU_DEP_1)
	v_fma_f64 v[9:10], v[7:8], v[7:8], 1.0
	v_cmp_gt_f64_e32 vcc_lo, 0x10000000, v[9:10]
	v_cndmask_b32_e64 v3, 0, 1, vcc_lo
	s_delay_alu instid0(VALU_DEP_1) | instskip(NEXT) | instid1(VALU_DEP_1)
	v_lshlrev_b32_e32 v3, 8, v3
	v_ldexp_f64 v[9:10], v[9:10], v3
	v_cndmask_b32_e64 v3, 0, 0xffffff80, vcc_lo
	s_delay_alu instid0(VALU_DEP_2) | instskip(SKIP_4) | instid1(VALU_DEP_1)
	v_rsq_f64_e32 v[11:12], v[9:10]
	v_cmp_class_f64_e64 vcc_lo, v[9:10], 0x260
	s_waitcnt_depctr 0xfff
	v_mul_f64 v[13:14], v[9:10], v[11:12]
	v_mul_f64 v[11:12], v[11:12], 0.5
	v_fma_f64 v[15:16], -v[11:12], v[13:14], 0.5
	s_delay_alu instid0(VALU_DEP_1) | instskip(SKIP_1) | instid1(VALU_DEP_2)
	v_fma_f64 v[13:14], v[13:14], v[15:16], v[13:14]
	v_fma_f64 v[11:12], v[11:12], v[15:16], v[11:12]
	v_fma_f64 v[15:16], -v[13:14], v[13:14], v[9:10]
	s_delay_alu instid0(VALU_DEP_1) | instskip(NEXT) | instid1(VALU_DEP_1)
	v_fma_f64 v[13:14], v[15:16], v[11:12], v[13:14]
	v_fma_f64 v[15:16], -v[13:14], v[13:14], v[9:10]
	s_delay_alu instid0(VALU_DEP_1) | instskip(NEXT) | instid1(VALU_DEP_1)
	v_fma_f64 v[11:12], v[15:16], v[11:12], v[13:14]
	v_ldexp_f64 v[11:12], v[11:12], v3
	s_delay_alu instid0(VALU_DEP_1) | instskip(NEXT) | instid1(VALU_DEP_1)
	v_dual_cndmask_b32 v10, v12, v10 :: v_dual_cndmask_b32 v9, v11, v9
	v_div_scale_f64 v[11:12], null, v[9:10], v[9:10], 1.0
	s_delay_alu instid0(VALU_DEP_1) | instskip(SKIP_2) | instid1(VALU_DEP_1)
	v_rcp_f64_e32 v[13:14], v[11:12]
	s_waitcnt_depctr 0xfff
	v_fma_f64 v[15:16], -v[11:12], v[13:14], 1.0
	v_fma_f64 v[13:14], v[13:14], v[15:16], v[13:14]
	s_delay_alu instid0(VALU_DEP_1) | instskip(NEXT) | instid1(VALU_DEP_1)
	v_fma_f64 v[15:16], -v[11:12], v[13:14], 1.0
	v_fma_f64 v[13:14], v[13:14], v[15:16], v[13:14]
	v_div_scale_f64 v[15:16], vcc_lo, 1.0, v[9:10], 1.0
	s_delay_alu instid0(VALU_DEP_1) | instskip(NEXT) | instid1(VALU_DEP_1)
	v_mul_f64 v[30:31], v[15:16], v[13:14]
	v_fma_f64 v[11:12], -v[11:12], v[30:31], v[15:16]
	s_delay_alu instid0(VALU_DEP_1) | instskip(NEXT) | instid1(VALU_DEP_1)
	v_div_fmas_f64 v[11:12], v[11:12], v[13:14], v[30:31]
	v_div_fixup_f64 v[13:14], v[11:12], v[9:10], 1.0
	s_delay_alu instid0(VALU_DEP_1)
	v_mul_f64 v[9:10], v[7:8], v[13:14]
	s_branch .LBB52_28
.LBB52_45:                              ;   in Loop: Header=BB52_23 Depth=3
	s_or_b32 exec_lo, exec_lo, s7
	s_waitcnt lgkmcnt(0)
	s_waitcnt_vscnt null, 0x0
	s_barrier
	buffer_gl0_inv
	s_and_saveexec_b32 s3, s0
	s_cbranch_execz .LBB52_58
; %bb.46:                               ;   in Loop: Header=BB52_23 Depth=3
	v_dual_mov_b32 v13, v22 :: v_dual_mov_b32 v14, v21
	v_mov_b32_e32 v15, v17
	s_mov_b32 s7, 0
	s_branch .LBB52_48
.LBB52_47:                              ;   in Loop: Header=BB52_48 Depth=4
	s_or_b32 exec_lo, exec_lo, s57
	v_add_nc_u32_e32 v15, s29, v15
	v_add_nc_u32_e32 v14, s48, v14
	;; [unrolled: 1-line block ×3, first 2 shown]
	s_delay_alu instid0(VALU_DEP_3) | instskip(SKIP_1) | instid1(SALU_CYCLE_1)
	v_cmp_le_u32_e32 vcc_lo, s24, v15
	s_or_b32 s7, vcc_lo, s7
	s_and_not1_b32 exec_lo, exec_lo, s7
	s_cbranch_execz .LBB52_58
.LBB52_48:                              ;   Parent Loop BB52_3 Depth=1
                                        ;     Parent Loop BB52_8 Depth=2
                                        ;       Parent Loop BB52_23 Depth=3
                                        ; =>      This Loop Header: Depth=4
                                        ;           Child Loop BB52_51 Depth 5
	s_and_saveexec_b32 s57, s1
	s_cbranch_execz .LBB52_47
; %bb.49:                               ;   in Loop: Header=BB52_48 Depth=4
	v_dual_mov_b32 v28, v20 :: v_dual_add_nc_u32 v5, s24, v15
	v_dual_mov_b32 v8, v4 :: v_dual_add_nc_u32 v7, s55, v15
	v_add_nc_u32_e32 v3, v15, v24
	v_mul_lo_u32 v16, v15, s33
	s_delay_alu instid0(VALU_DEP_4) | instskip(NEXT) | instid1(VALU_DEP_4)
	v_mul_lo_u32 v27, v5, s33
	v_cmp_gt_u32_e64 s2, s25, v7
	v_lshlrev_b64 v[7:8], 3, v[7:8]
	v_lshlrev_b64 v[5:6], 3, v[3:4]
	v_mov_b32_e32 v29, v26
	s_mov_b32 s58, 0
	s_mov_b32 s59, 0
	s_branch .LBB52_51
.LBB52_50:                              ;   in Loop: Header=BB52_51 Depth=5
	s_or_b32 exec_lo, exec_lo, s60
	s_add_i32 s59, s59, s27
	v_add_nc_u32_e32 v29, s27, v29
	v_add_nc_u32_e32 v3, s59, v0
	;; [unrolled: 1-line block ×3, first 2 shown]
	s_delay_alu instid0(VALU_DEP_2) | instskip(SKIP_1) | instid1(SALU_CYCLE_1)
	v_cmp_le_u32_e32 vcc_lo, s24, v3
	s_or_b32 s58, vcc_lo, s58
	s_and_not1_b32 exec_lo, exec_lo, s58
	s_cbranch_execz .LBB52_47
.LBB52_51:                              ;   Parent Loop BB52_3 Depth=1
                                        ;     Parent Loop BB52_8 Depth=2
                                        ;       Parent Loop BB52_23 Depth=3
                                        ;         Parent Loop BB52_48 Depth=4
                                        ; =>        This Inner Loop Header: Depth=5
	s_delay_alu instid0(VALU_DEP_1) | instskip(SKIP_3) | instid1(VALU_DEP_3)
	v_mul_hi_u32 v3, v19, v29
	v_add_nc_u32_e32 v10, s59, v0
	v_add_nc_u32_e32 v30, s59, v25
	s_mov_b32 s60, exec_lo
	v_mul_lo_u32 v9, s24, v3
	v_not_b32_e32 v3, v3
	s_delay_alu instid0(VALU_DEP_1) | instskip(NEXT) | instid1(VALU_DEP_3)
	v_mul_lo_u32 v3, s24, v3
	v_sub_nc_u32_e32 v9, s56, v9
	s_delay_alu instid0(VALU_DEP_1) | instskip(NEXT) | instid1(VALU_DEP_3)
	v_add_nc_u32_e32 v9, v10, v9
	v_add3_u32 v3, s56, v3, v10
	s_delay_alu instid0(VALU_DEP_2) | instskip(NEXT) | instid1(VALU_DEP_2)
	v_cmp_le_u32_e32 vcc_lo, s24, v9
	v_cndmask_b32_e32 v3, v9, v3, vcc_lo
	s_delay_alu instid0(VALU_DEP_1) | instskip(SKIP_1) | instid1(VALU_DEP_2)
	v_subrev_nc_u32_e32 v9, s24, v3
	v_cmp_le_u32_e32 vcc_lo, s24, v3
	v_cndmask_b32_e32 v32, v3, v9, vcc_lo
	s_delay_alu instid0(VALU_DEP_1) | instskip(NEXT) | instid1(VALU_DEP_1)
	v_add_nc_u32_e32 v31, s55, v32
	v_max_u32_e32 v3, v30, v31
	s_delay_alu instid0(VALU_DEP_1)
	v_cmpx_gt_u32_e64 s25, v3
	s_cbranch_execz .LBB52_50
; %bb.52:                               ;   in Loop: Header=BB52_51 Depth=5
	v_add_nc_u32_e32 v3, s31, v28
	s_and_not1_b32 vcc_lo, exec_lo, s54
	ds_load_b64 v[9:10], v28
	ds_load_b64 v[11:12], v3
	s_cbranch_vccnz .LBB52_56
; %bb.53:                               ;   in Loop: Header=BB52_51 Depth=5
	v_add_nc_u32_e32 v3, s59, v14
	v_add_nc_u32_e32 v32, s24, v32
	s_delay_alu instid0(VALU_DEP_2) | instskip(NEXT) | instid1(VALU_DEP_2)
	v_lshlrev_b64 v[33:34], 3, v[3:4]
	v_add_nc_u32_e32 v3, v32, v16
	s_delay_alu instid0(VALU_DEP_1) | instskip(NEXT) | instid1(VALU_DEP_1)
	v_lshlrev_b64 v[35:36], 3, v[3:4]
	v_add_co_u32 v35, vcc_lo, s52, v35
	s_delay_alu instid0(VALU_DEP_2)
	v_add_co_ci_u32_e32 v36, vcc_lo, s19, v36, vcc_lo
	v_add_co_u32 v33, vcc_lo, s52, v33
	v_add_co_ci_u32_e32 v34, vcc_lo, s19, v34, vcc_lo
	s_clause 0x1
	flat_load_b64 v[37:38], v[35:36]
	flat_load_b64 v[39:40], v[33:34]
	s_waitcnt vmcnt(1) lgkmcnt(1)
	v_mul_f64 v[41:42], v[11:12], v[37:38]
	s_waitcnt vmcnt(0) lgkmcnt(0)
	v_mul_f64 v[43:44], v[11:12], v[39:40]
	s_delay_alu instid0(VALU_DEP_2) | instskip(NEXT) | instid1(VALU_DEP_2)
	v_fma_f64 v[39:40], v[9:10], v[39:40], v[41:42]
	v_fma_f64 v[37:38], v[9:10], v[37:38], -v[43:44]
	s_clause 0x1
	flat_store_b64 v[33:34], v[39:40]
	flat_store_b64 v[35:36], v[37:38]
	s_and_saveexec_b32 s61, s2
	s_cbranch_execz .LBB52_55
; %bb.54:                               ;   in Loop: Header=BB52_51 Depth=5
	v_add_nc_u32_e32 v3, s59, v13
	s_delay_alu instid0(VALU_DEP_1) | instskip(SKIP_1) | instid1(VALU_DEP_1)
	v_lshlrev_b64 v[33:34], 3, v[3:4]
	v_add_nc_u32_e32 v3, v32, v27
	v_lshlrev_b64 v[35:36], 3, v[3:4]
	s_delay_alu instid0(VALU_DEP_1) | instskip(NEXT) | instid1(VALU_DEP_2)
	v_add_co_u32 v35, vcc_lo, s52, v35
	v_add_co_ci_u32_e32 v36, vcc_lo, s19, v36, vcc_lo
	v_add_co_u32 v32, vcc_lo, s52, v33
	v_add_co_ci_u32_e32 v33, vcc_lo, s19, v34, vcc_lo
	s_clause 0x1
	flat_load_b64 v[37:38], v[35:36]
	flat_load_b64 v[39:40], v[32:33]
	s_waitcnt vmcnt(1) lgkmcnt(1)
	v_mul_f64 v[41:42], v[11:12], v[37:38]
	s_waitcnt vmcnt(0) lgkmcnt(0)
	v_mul_f64 v[43:44], v[11:12], v[39:40]
	s_delay_alu instid0(VALU_DEP_2) | instskip(NEXT) | instid1(VALU_DEP_2)
	v_fma_f64 v[39:40], v[9:10], v[39:40], v[41:42]
	v_fma_f64 v[37:38], v[9:10], v[37:38], -v[43:44]
	s_clause 0x1
	flat_store_b64 v[32:33], v[39:40]
	flat_store_b64 v[35:36], v[37:38]
.LBB52_55:                              ;   in Loop: Header=BB52_51 Depth=5
	s_or_b32 exec_lo, exec_lo, s61
.LBB52_56:                              ;   in Loop: Header=BB52_51 Depth=5
	v_mad_u64_u32 v[32:33], null, v31, s23, 0
	v_mad_u64_u32 v[34:35], null, v30, s23, 0
	s_delay_alu instid0(VALU_DEP_2) | instskip(NEXT) | instid1(VALU_DEP_2)
	v_mov_b32_e32 v3, v33
	v_mov_b32_e32 v33, v35
	s_delay_alu instid0(VALU_DEP_2) | instskip(NEXT) | instid1(VALU_DEP_2)
	v_mad_u64_u32 v[35:36], null, v31, s40, v[3:4]
	v_mad_u64_u32 v[36:37], null, v30, s40, v[33:34]
	s_delay_alu instid0(VALU_DEP_2) | instskip(NEXT) | instid1(VALU_DEP_2)
	v_mov_b32_e32 v33, v35
	v_mov_b32_e32 v35, v36
	s_delay_alu instid0(VALU_DEP_2) | instskip(NEXT) | instid1(VALU_DEP_2)
	v_lshlrev_b64 v[31:32], 3, v[32:33]
	v_lshlrev_b64 v[33:34], 3, v[34:35]
	s_delay_alu instid0(VALU_DEP_2) | instskip(NEXT) | instid1(VALU_DEP_3)
	v_add_co_u32 v31, vcc_lo, s50, v31
	v_add_co_ci_u32_e32 v32, vcc_lo, s51, v32, vcc_lo
	s_delay_alu instid0(VALU_DEP_3) | instskip(NEXT) | instid1(VALU_DEP_4)
	v_add_co_u32 v3, vcc_lo, s50, v33
	v_add_co_ci_u32_e32 v30, vcc_lo, s51, v34, vcc_lo
	s_delay_alu instid0(VALU_DEP_4) | instskip(NEXT) | instid1(VALU_DEP_4)
	v_add_co_u32 v33, vcc_lo, v31, v5
	v_add_co_ci_u32_e32 v34, vcc_lo, v32, v6, vcc_lo
	s_delay_alu instid0(VALU_DEP_4) | instskip(NEXT) | instid1(VALU_DEP_4)
	v_add_co_u32 v35, vcc_lo, v3, v5
	v_add_co_ci_u32_e32 v36, vcc_lo, v30, v6, vcc_lo
	s_clause 0x1
	global_load_b64 v[37:38], v[33:34], off
	global_load_b64 v[39:40], v[35:36], off
	s_waitcnt vmcnt(1) lgkmcnt(0)
	v_mul_f64 v[41:42], v[11:12], v[37:38]
	s_waitcnt vmcnt(0)
	v_mul_f64 v[43:44], v[11:12], v[39:40]
	s_delay_alu instid0(VALU_DEP_2) | instskip(NEXT) | instid1(VALU_DEP_2)
	v_fma_f64 v[39:40], v[9:10], v[39:40], v[41:42]
	v_fma_f64 v[37:38], v[9:10], v[37:38], -v[43:44]
	s_clause 0x1
	global_store_b64 v[35:36], v[39:40], off
	global_store_b64 v[33:34], v[37:38], off
	s_and_b32 exec_lo, exec_lo, s2
	s_cbranch_execz .LBB52_50
; %bb.57:                               ;   in Loop: Header=BB52_51 Depth=5
	v_add_co_u32 v31, vcc_lo, v31, v7
	v_add_co_ci_u32_e32 v32, vcc_lo, v32, v8, vcc_lo
	v_add_co_u32 v33, vcc_lo, v3, v7
	v_add_co_ci_u32_e32 v34, vcc_lo, v30, v8, vcc_lo
	s_clause 0x1
	global_load_b64 v[35:36], v[31:32], off
	global_load_b64 v[37:38], v[33:34], off
	s_waitcnt vmcnt(1)
	v_mul_f64 v[39:40], v[11:12], v[35:36]
	s_waitcnt vmcnt(0)
	v_mul_f64 v[11:12], v[11:12], v[37:38]
	s_delay_alu instid0(VALU_DEP_2) | instskip(NEXT) | instid1(VALU_DEP_2)
	v_fma_f64 v[37:38], v[9:10], v[37:38], v[39:40]
	v_fma_f64 v[9:10], v[9:10], v[35:36], -v[11:12]
	s_clause 0x1
	global_store_b64 v[33:34], v[37:38], off
	global_store_b64 v[31:32], v[9:10], off
	s_branch .LBB52_50
.LBB52_58:                              ;   in Loop: Header=BB52_23 Depth=3
	s_or_b32 exec_lo, exec_lo, s3
	s_waitcnt_vscnt null, 0x0
	s_barrier
	buffer_gl0_inv
	s_and_saveexec_b32 s3, s0
	s_cbranch_execz .LBB52_67
; %bb.59:                               ;   in Loop: Header=BB52_23 Depth=3
	v_mov_b32_e32 v13, v17
	s_mov_b32 s7, 0
	s_branch .LBB52_61
.LBB52_60:                              ;   in Loop: Header=BB52_61 Depth=4
	s_or_b32 exec_lo, exec_lo, s57
	v_add_nc_u32_e32 v13, s29, v13
	s_delay_alu instid0(VALU_DEP_1) | instskip(SKIP_1) | instid1(SALU_CYCLE_1)
	v_cmp_le_u32_e32 vcc_lo, s24, v13
	s_or_b32 s7, vcc_lo, s7
	s_and_not1_b32 exec_lo, exec_lo, s7
	s_cbranch_execz .LBB52_67
.LBB52_61:                              ;   Parent Loop BB52_3 Depth=1
                                        ;     Parent Loop BB52_8 Depth=2
                                        ;       Parent Loop BB52_23 Depth=3
                                        ; =>      This Loop Header: Depth=4
                                        ;           Child Loop BB52_64 Depth 5
	s_and_saveexec_b32 s57, s1
	s_cbranch_execz .LBB52_60
; %bb.62:                               ;   in Loop: Header=BB52_61 Depth=4
	v_add_nc_u32_e32 v10, v13, v24
	v_dual_mov_b32 v14, v20 :: v_dual_add_nc_u32 v11, s55, v13
	s_mov_b32 s58, 0
	s_mov_b32 s59, 0
	s_delay_alu instid0(VALU_DEP_2) | instskip(NEXT) | instid1(VALU_DEP_2)
	v_mad_u64_u32 v[5:6], null, v10, s23, 0
	v_mad_u64_u32 v[7:8], null, v11, s23, 0
	v_mov_b32_e32 v29, v26
	s_delay_alu instid0(VALU_DEP_2) | instskip(SKIP_1) | instid1(VALU_DEP_2)
	v_dual_mov_b32 v3, v6 :: v_dual_mov_b32 v6, v8
	v_cmp_gt_u32_e32 vcc_lo, s25, v11
	v_mad_u64_u32 v[8:9], null, v10, s40, v[3:4]
	s_delay_alu instid0(VALU_DEP_3) | instskip(NEXT) | instid1(VALU_DEP_2)
	v_mad_u64_u32 v[9:10], null, v11, s40, v[6:7]
	v_mov_b32_e32 v6, v8
	s_delay_alu instid0(VALU_DEP_2) | instskip(NEXT) | instid1(VALU_DEP_2)
	v_mov_b32_e32 v8, v9
	v_lshlrev_b64 v[5:6], 3, v[5:6]
	s_delay_alu instid0(VALU_DEP_2) | instskip(NEXT) | instid1(VALU_DEP_2)
	v_lshlrev_b64 v[7:8], 3, v[7:8]
	v_add_co_u32 v15, s2, s50, v5
	s_delay_alu instid0(VALU_DEP_1) | instskip(NEXT) | instid1(VALU_DEP_3)
	v_add_co_ci_u32_e64 v16, s2, s51, v6, s2
	v_add_co_u32 v27, s2, s50, v7
	s_delay_alu instid0(VALU_DEP_1)
	v_add_co_ci_u32_e64 v28, s2, s51, v8, s2
	s_branch .LBB52_64
.LBB52_63:                              ;   in Loop: Header=BB52_64 Depth=5
	s_or_b32 exec_lo, exec_lo, s60
	s_add_i32 s59, s59, s27
	v_add_nc_u32_e32 v29, s27, v29
	v_add_nc_u32_e32 v3, s59, v0
	v_add_nc_u32_e32 v14, s49, v14
	s_delay_alu instid0(VALU_DEP_2) | instskip(NEXT) | instid1(VALU_DEP_1)
	v_cmp_le_u32_e64 s2, s24, v3
	s_or_b32 s58, s2, s58
	s_delay_alu instid0(SALU_CYCLE_1)
	s_and_not1_b32 exec_lo, exec_lo, s58
	s_cbranch_execz .LBB52_60
.LBB52_64:                              ;   Parent Loop BB52_3 Depth=1
                                        ;     Parent Loop BB52_8 Depth=2
                                        ;       Parent Loop BB52_23 Depth=3
                                        ;         Parent Loop BB52_61 Depth=4
                                        ; =>        This Inner Loop Header: Depth=5
	v_mul_hi_u32 v3, v19, v29
	v_add_nc_u32_e32 v6, s59, v0
	s_mov_b32 s60, exec_lo
	s_delay_alu instid0(VALU_DEP_2) | instskip(SKIP_1) | instid1(VALU_DEP_1)
	v_mul_lo_u32 v5, s24, v3
	v_not_b32_e32 v3, v3
	v_mul_lo_u32 v3, s24, v3
	s_delay_alu instid0(VALU_DEP_3) | instskip(NEXT) | instid1(VALU_DEP_1)
	v_sub_nc_u32_e32 v5, s56, v5
	v_add_nc_u32_e32 v5, v6, v5
	s_delay_alu instid0(VALU_DEP_3) | instskip(NEXT) | instid1(VALU_DEP_2)
	v_add3_u32 v3, s56, v3, v6
	v_cmp_le_u32_e64 s2, s24, v5
	s_delay_alu instid0(VALU_DEP_1) | instskip(NEXT) | instid1(VALU_DEP_1)
	v_cndmask_b32_e64 v3, v5, v3, s2
	v_subrev_nc_u32_e32 v5, s24, v3
	v_cmp_le_u32_e64 s2, s24, v3
	s_delay_alu instid0(VALU_DEP_1) | instskip(SKIP_1) | instid1(VALU_DEP_2)
	v_cndmask_b32_e64 v5, v3, v5, s2
	v_add_nc_u32_e32 v3, s59, v25
	v_add_nc_u32_e32 v5, s55, v5
	s_delay_alu instid0(VALU_DEP_1) | instskip(NEXT) | instid1(VALU_DEP_1)
	v_max_u32_e32 v6, v3, v5
	v_cmpx_gt_u32_e64 s25, v6
	s_cbranch_execz .LBB52_63
; %bb.65:                               ;   in Loop: Header=BB52_64 Depth=5
	v_mov_b32_e32 v6, v4
	s_delay_alu instid0(VALU_DEP_1) | instskip(SKIP_2) | instid1(VALU_DEP_3)
	v_lshlrev_b64 v[7:8], 3, v[5:6]
	v_lshlrev_b64 v[5:6], 3, v[3:4]
	v_add_nc_u32_e32 v3, s31, v14
	v_add_co_u32 v30, s2, v15, v7
	s_delay_alu instid0(VALU_DEP_1) | instskip(NEXT) | instid1(VALU_DEP_4)
	v_add_co_ci_u32_e64 v31, s2, v16, v8, s2
	v_add_co_u32 v32, s2, v15, v5
	s_delay_alu instid0(VALU_DEP_1)
	v_add_co_ci_u32_e64 v33, s2, v16, v6, s2
	s_clause 0x1
	global_load_b64 v[34:35], v[30:31], off
	global_load_b64 v[36:37], v[32:33], off
	ds_load_b64 v[9:10], v3
	ds_load_b64 v[11:12], v14
	s_waitcnt vmcnt(1) lgkmcnt(1)
	v_mul_f64 v[38:39], v[9:10], v[34:35]
	s_waitcnt vmcnt(0)
	v_mul_f64 v[40:41], v[9:10], v[36:37]
	s_waitcnt lgkmcnt(0)
	s_delay_alu instid0(VALU_DEP_2) | instskip(NEXT) | instid1(VALU_DEP_2)
	v_fma_f64 v[36:37], v[11:12], v[36:37], v[38:39]
	v_fma_f64 v[34:35], v[11:12], v[34:35], -v[40:41]
	s_clause 0x1
	global_store_b64 v[32:33], v[36:37], off
	global_store_b64 v[30:31], v[34:35], off
	s_and_b32 exec_lo, exec_lo, vcc_lo
	s_cbranch_execz .LBB52_63
; %bb.66:                               ;   in Loop: Header=BB52_64 Depth=5
	v_add_co_u32 v7, s2, v27, v7
	s_delay_alu instid0(VALU_DEP_1) | instskip(SKIP_1) | instid1(VALU_DEP_1)
	v_add_co_ci_u32_e64 v8, s2, v28, v8, s2
	v_add_co_u32 v5, s2, v27, v5
	v_add_co_ci_u32_e64 v6, s2, v28, v6, s2
	s_clause 0x1
	global_load_b64 v[30:31], v[7:8], off
	global_load_b64 v[32:33], v[5:6], off
	s_waitcnt vmcnt(1)
	v_mul_f64 v[34:35], v[9:10], v[30:31]
	s_waitcnt vmcnt(0)
	v_mul_f64 v[9:10], v[9:10], v[32:33]
	s_delay_alu instid0(VALU_DEP_2) | instskip(NEXT) | instid1(VALU_DEP_2)
	v_fma_f64 v[32:33], v[11:12], v[32:33], v[34:35]
	v_fma_f64 v[9:10], v[11:12], v[30:31], -v[9:10]
	s_clause 0x1
	global_store_b64 v[5:6], v[32:33], off
	global_store_b64 v[7:8], v[9:10], off
	s_branch .LBB52_63
.LBB52_67:                              ;   in Loop: Header=BB52_23 Depth=3
	s_or_b32 exec_lo, exec_lo, s3
	s_waitcnt_vscnt null, 0x0
	s_barrier
	buffer_gl0_inv
	s_and_saveexec_b32 s3, s0
	s_cbranch_execz .LBB52_22
; %bb.68:                               ;   in Loop: Header=BB52_23 Depth=3
	v_mov_b32_e32 v7, v17
	s_mov_b32 s57, 0
	s_branch .LBB52_70
.LBB52_69:                              ;   in Loop: Header=BB52_70 Depth=4
	s_or_b32 exec_lo, exec_lo, s58
	v_add_nc_u32_e32 v7, s29, v7
	s_delay_alu instid0(VALU_DEP_1) | instskip(SKIP_1) | instid1(SALU_CYCLE_1)
	v_cmp_le_u32_e32 vcc_lo, s24, v7
	s_or_b32 s57, vcc_lo, s57
	s_and_not1_b32 exec_lo, exec_lo, s57
	s_cbranch_execz .LBB52_22
.LBB52_70:                              ;   Parent Loop BB52_3 Depth=1
                                        ;     Parent Loop BB52_8 Depth=2
                                        ;       Parent Loop BB52_23 Depth=3
                                        ; =>      This Loop Header: Depth=4
                                        ;           Child Loop BB52_73 Depth 5
	s_and_saveexec_b32 s58, s1
	s_cbranch_execz .LBB52_69
; %bb.71:                               ;   in Loop: Header=BB52_70 Depth=4
	v_cmp_eq_u32_e32 vcc_lo, 0, v7
	v_dual_mov_b32 v8, v26 :: v_dual_mov_b32 v9, v0
	s_mov_b32 s59, 0
	s_branch .LBB52_73
.LBB52_72:                              ;   in Loop: Header=BB52_73 Depth=5
	s_or_b32 exec_lo, exec_lo, s60
	v_add_nc_u32_e32 v9, s27, v9
	v_add_nc_u32_e32 v8, s27, v8
	s_delay_alu instid0(VALU_DEP_2) | instskip(NEXT) | instid1(VALU_DEP_1)
	v_cmp_le_u32_e64 s2, s24, v9
	s_or_b32 s59, s2, s59
	s_delay_alu instid0(SALU_CYCLE_1)
	s_and_not1_b32 exec_lo, exec_lo, s59
	s_cbranch_execz .LBB52_69
.LBB52_73:                              ;   Parent Loop BB52_3 Depth=1
                                        ;     Parent Loop BB52_8 Depth=2
                                        ;       Parent Loop BB52_23 Depth=3
                                        ;         Parent Loop BB52_70 Depth=4
                                        ; =>        This Inner Loop Header: Depth=5
	s_delay_alu instid0(VALU_DEP_1) | instskip(NEXT) | instid1(VALU_DEP_2)
	v_mul_hi_u32 v10, v19, v8
	v_add_nc_u32_e32 v3, s56, v9
	s_delay_alu instid0(VALU_DEP_2) | instskip(NEXT) | instid1(VALU_DEP_2)
	v_not_b32_e32 v12, v10
	v_mad_u64_u32 v[5:6], null, s45, v10, v[3:4]
	s_delay_alu instid0(VALU_DEP_2) | instskip(NEXT) | instid1(VALU_DEP_2)
	v_mad_u64_u32 v[10:11], null, s24, v12, v[3:4]
	v_cmp_le_u32_e64 s2, s24, v5
	s_delay_alu instid0(VALU_DEP_1) | instskip(NEXT) | instid1(VALU_DEP_1)
	v_cndmask_b32_e64 v3, v5, v10, s2
	v_subrev_nc_u32_e32 v5, s24, v3
	v_cmp_le_u32_e64 s2, s24, v3
	s_delay_alu instid0(VALU_DEP_1) | instskip(NEXT) | instid1(VALU_DEP_1)
	v_cndmask_b32_e64 v3, v3, v5, s2
	v_add_nc_u32_e32 v5, s55, v3
	s_delay_alu instid0(VALU_DEP_1) | instskip(NEXT) | instid1(VALU_DEP_1)
	v_cmp_gt_u32_e64 s2, s25, v5
	s_and_b32 s2, vcc_lo, s2
	s_delay_alu instid0(SALU_CYCLE_1)
	s_and_saveexec_b32 s60, s2
	s_cbranch_execz .LBB52_72
; %bb.74:                               ;   in Loop: Header=BB52_73 Depth=5
	v_mad_u64_u32 v[10:11], null, v5, s23, 0
	v_add_nc_u32_e32 v3, v24, v9
	s_mov_b32 s7, s6
	s_delay_alu instid0(VALU_DEP_2) | instskip(NEXT) | instid1(VALU_DEP_2)
	v_mov_b32_e32 v6, v11
	v_mad_u64_u32 v[12:13], null, v3, s23, 0
	v_lshlrev_b64 v[27:28], 3, v[3:4]
	s_delay_alu instid0(VALU_DEP_2) | instskip(NEXT) | instid1(VALU_DEP_4)
	v_mov_b32_e32 v11, v13
	v_mad_u64_u32 v[13:14], null, v5, s40, v[6:7]
	v_mov_b32_e32 v6, v4
	s_delay_alu instid0(VALU_DEP_3) | instskip(NEXT) | instid1(VALU_DEP_2)
	v_mad_u64_u32 v[14:15], null, v3, s40, v[11:12]
	v_lshlrev_b64 v[5:6], 3, v[5:6]
	s_delay_alu instid0(VALU_DEP_4) | instskip(NEXT) | instid1(VALU_DEP_3)
	v_mov_b32_e32 v11, v13
	v_mov_b32_e32 v13, v14
	v_dual_mov_b32 v15, s7 :: v_dual_mov_b32 v14, s6
	s_delay_alu instid0(VALU_DEP_3) | instskip(NEXT) | instid1(VALU_DEP_3)
	v_lshlrev_b64 v[10:11], 3, v[10:11]
	v_lshlrev_b64 v[12:13], 3, v[12:13]
	s_delay_alu instid0(VALU_DEP_2) | instskip(NEXT) | instid1(VALU_DEP_1)
	v_add_co_u32 v3, s2, s50, v10
	v_add_co_ci_u32_e64 v11, s2, s51, v11, s2
	s_delay_alu instid0(VALU_DEP_3) | instskip(NEXT) | instid1(VALU_DEP_1)
	v_add_co_u32 v12, s2, s50, v12
	v_add_co_ci_u32_e64 v13, s2, s51, v13, s2
	s_delay_alu instid0(VALU_DEP_4) | instskip(NEXT) | instid1(VALU_DEP_1)
	v_add_co_u32 v10, s2, v3, v27
	v_add_co_ci_u32_e64 v11, s2, v11, v28, s2
	s_delay_alu instid0(VALU_DEP_4) | instskip(NEXT) | instid1(VALU_DEP_1)
	v_add_co_u32 v5, s2, v12, v5
	v_add_co_ci_u32_e64 v6, s2, v13, v6, s2
	s_clause 0x1
	global_store_b64 v[10:11], v[14:15], off
	global_store_b64 v[5:6], v[14:15], off
	s_branch .LBB52_72
.LBB52_75:                              ;   in Loop: Header=BB52_8 Depth=2
	s_or_b32 s2, s53, s47
	s_delay_alu instid0(SALU_CYCLE_1)
	s_and_not1_b32 vcc_lo, exec_lo, s2
	s_cbranch_vccz .LBB52_7
; %bb.76:                               ;   in Loop: Header=BB52_8 Depth=2
	s_mov_b32 s7, exec_lo
	s_waitcnt_vscnt null, 0x0
	s_barrier
	buffer_gl0_inv
	v_cmpx_lt_u32_e64 v17, v23
	s_cbranch_execz .LBB52_6
; %bb.77:                               ;   in Loop: Header=BB52_8 Depth=2
	v_cmp_lt_u32_e32 vcc_lo, v0, v23
	v_dual_mov_b32 v5, v18 :: v_dual_mov_b32 v6, v17
	s_mov_b32 s53, 0
	s_set_inst_prefetch_distance 0x1
	s_branch .LBB52_79
	.p2align	6
.LBB52_78:                              ;   in Loop: Header=BB52_79 Depth=3
	s_or_b32 exec_lo, exec_lo, s54
	v_add_nc_u32_e32 v6, s29, v6
	v_add_nc_u32_e32 v5, s48, v5
	s_delay_alu instid0(VALU_DEP_2) | instskip(NEXT) | instid1(VALU_DEP_1)
	v_cmp_ge_u32_e64 s2, v6, v23
	s_or_b32 s53, s2, s53
	s_delay_alu instid0(SALU_CYCLE_1)
	s_and_not1_b32 exec_lo, exec_lo, s53
	s_cbranch_execz .LBB52_6
.LBB52_79:                              ;   Parent Loop BB52_3 Depth=1
                                        ;     Parent Loop BB52_8 Depth=2
                                        ; =>    This Loop Header: Depth=3
                                        ;         Child Loop BB52_81 Depth 4
	s_and_saveexec_b32 s54, vcc_lo
	s_cbranch_execz .LBB52_78
; %bb.80:                               ;   in Loop: Header=BB52_79 Depth=3
	v_mov_b32_e32 v7, v0
	s_mov_b32 s55, 0
	.p2align	6
.LBB52_81:                              ;   Parent Loop BB52_3 Depth=1
                                        ;     Parent Loop BB52_8 Depth=2
                                        ;       Parent Loop BB52_79 Depth=3
                                        ; =>      This Inner Loop Header: Depth=4
	s_delay_alu instid0(VALU_DEP_1) | instskip(SKIP_1) | instid1(VALU_DEP_2)
	v_add_nc_u32_e32 v3, v5, v7
	v_add_nc_u32_e32 v7, s27, v7
	v_lshlrev_b64 v[8:9], 3, v[3:4]
	s_delay_alu instid0(VALU_DEP_1) | instskip(NEXT) | instid1(VALU_DEP_1)
	v_add_co_u32 v10, s2, s52, v8
	v_add_co_ci_u32_e64 v11, s2, s19, v9, s2
	s_delay_alu instid0(VALU_DEP_4)
	v_cmp_ge_u32_e64 s2, v7, v23
	v_add_co_u32 v8, s3, s20, v8
	flat_load_b64 v[10:11], v[10:11]
	v_add_co_ci_u32_e64 v9, s3, s21, v9, s3
	s_or_b32 s55, s2, s55
	s_waitcnt vmcnt(0) lgkmcnt(0)
	flat_store_b64 v[8:9], v[10:11]
	s_and_not1_b32 exec_lo, exec_lo, s55
	s_cbranch_execnz .LBB52_81
	s_branch .LBB52_78
.LBB52_82:
	s_nop 0
	s_sendmsg sendmsg(MSG_DEALLOC_VGPRS)
	s_endpgm
	.section	.rodata,"a",@progbits
	.p2align	6, 0x0
	.amdhsa_kernel _ZN9rocsolver6v33100L17syevj_offd_kernelIddPdEEviiT1_iilT0_PT_PiS7_S7_i
		.amdhsa_group_segment_fixed_size 0
		.amdhsa_private_segment_fixed_size 0
		.amdhsa_kernarg_size 336
		.amdhsa_user_sgpr_count 14
		.amdhsa_user_sgpr_dispatch_ptr 0
		.amdhsa_user_sgpr_queue_ptr 0
		.amdhsa_user_sgpr_kernarg_segment_ptr 1
		.amdhsa_user_sgpr_dispatch_id 0
		.amdhsa_user_sgpr_private_segment_size 0
		.amdhsa_wavefront_size32 1
		.amdhsa_uses_dynamic_stack 0
		.amdhsa_enable_private_segment 0
		.amdhsa_system_sgpr_workgroup_id_x 1
		.amdhsa_system_sgpr_workgroup_id_y 0
		.amdhsa_system_sgpr_workgroup_id_z 1
		.amdhsa_system_sgpr_workgroup_info 0
		.amdhsa_system_vgpr_workitem_id 1
		.amdhsa_next_free_vgpr 45
		.amdhsa_next_free_sgpr 66
		.amdhsa_reserve_vcc 1
		.amdhsa_float_round_mode_32 0
		.amdhsa_float_round_mode_16_64 0
		.amdhsa_float_denorm_mode_32 3
		.amdhsa_float_denorm_mode_16_64 3
		.amdhsa_dx10_clamp 1
		.amdhsa_ieee_mode 1
		.amdhsa_fp16_overflow 0
		.amdhsa_workgroup_processor_mode 1
		.amdhsa_memory_ordered 1
		.amdhsa_forward_progress 0
		.amdhsa_shared_vgpr_count 0
		.amdhsa_exception_fp_ieee_invalid_op 0
		.amdhsa_exception_fp_denorm_src 0
		.amdhsa_exception_fp_ieee_div_zero 0
		.amdhsa_exception_fp_ieee_overflow 0
		.amdhsa_exception_fp_ieee_underflow 0
		.amdhsa_exception_fp_ieee_inexact 0
		.amdhsa_exception_int_div_zero 0
	.end_amdhsa_kernel
	.section	.text._ZN9rocsolver6v33100L17syevj_offd_kernelIddPdEEviiT1_iilT0_PT_PiS7_S7_i,"axG",@progbits,_ZN9rocsolver6v33100L17syevj_offd_kernelIddPdEEviiT1_iilT0_PT_PiS7_S7_i,comdat
.Lfunc_end52:
	.size	_ZN9rocsolver6v33100L17syevj_offd_kernelIddPdEEviiT1_iilT0_PT_PiS7_S7_i, .Lfunc_end52-_ZN9rocsolver6v33100L17syevj_offd_kernelIddPdEEviiT1_iilT0_PT_PiS7_S7_i
                                        ; -- End function
	.section	.AMDGPU.csdata,"",@progbits
; Kernel info:
; codeLenInByte = 5752
; NumSgprs: 68
; NumVgprs: 45
; ScratchSize: 0
; MemoryBound: 0
; FloatMode: 240
; IeeeMode: 1
; LDSByteSize: 0 bytes/workgroup (compile time only)
; SGPRBlocks: 8
; VGPRBlocks: 5
; NumSGPRsForWavesPerEU: 68
; NumVGPRsForWavesPerEU: 45
; Occupancy: 16
; WaveLimiterHint : 1
; COMPUTE_PGM_RSRC2:SCRATCH_EN: 0
; COMPUTE_PGM_RSRC2:USER_SGPR: 14
; COMPUTE_PGM_RSRC2:TRAP_HANDLER: 0
; COMPUTE_PGM_RSRC2:TGID_X_EN: 1
; COMPUTE_PGM_RSRC2:TGID_Y_EN: 0
; COMPUTE_PGM_RSRC2:TGID_Z_EN: 1
; COMPUTE_PGM_RSRC2:TIDIG_COMP_CNT: 1
	.section	.text._ZN9rocsolver6v33100L21syevj_offd_rotate_orgILb0EddPdEEvbiiT2_iilPT0_PiS6_S6_,"axG",@progbits,_ZN9rocsolver6v33100L21syevj_offd_rotate_orgILb0EddPdEEvbiiT2_iilPT0_PiS6_S6_,comdat
	.globl	_ZN9rocsolver6v33100L21syevj_offd_rotate_orgILb0EddPdEEvbiiT2_iilPT0_PiS6_S6_ ; -- Begin function _ZN9rocsolver6v33100L21syevj_offd_rotate_orgILb0EddPdEEvbiiT2_iilPT0_PiS6_S6_
	.p2align	8
	.type	_ZN9rocsolver6v33100L21syevj_offd_rotate_orgILb0EddPdEEvbiiT2_iilPT0_PiS6_S6_,@function
_ZN9rocsolver6v33100L21syevj_offd_rotate_orgILb0EddPdEEvbiiT2_iilPT0_PiS6_S6_: ; @_ZN9rocsolver6v33100L21syevj_offd_rotate_orgILb0EddPdEEvbiiT2_iilPT0_PiS6_S6_
; %bb.0:
	s_load_b64 s[2:3], s[0:1], 0x40
	s_mov_b32 s12, s15
	s_mov_b32 s16, s13
	s_ashr_i32 s13, s15, 31
	s_delay_alu instid0(SALU_CYCLE_1)
	s_lshl_b64 s[4:5], s[12:13], 2
	s_waitcnt lgkmcnt(0)
	s_add_u32 s2, s2, s4
	s_addc_u32 s3, s3, s5
	s_load_b32 s2, s[2:3], 0x4
	s_waitcnt lgkmcnt(0)
	s_cmp_lg_u32 s2, 0
	s_cbranch_scc0 .LBB53_2
.LBB53_1:
	s_endpgm
.LBB53_2:
	s_load_b256 s[4:11], s[0:1], 0x20
	s_ashr_i32 s17, s16, 31
	s_delay_alu instid0(SALU_CYCLE_1)
	s_lshl_b64 s[2:3], s[16:17], 2
	s_waitcnt lgkmcnt(0)
	s_add_u32 s8, s8, s2
	s_addc_u32 s9, s9, s3
	s_add_u32 s2, s10, s2
	s_addc_u32 s3, s11, s3
	s_load_b32 s15, s[8:9], 0x0
	s_load_b32 s17, s[2:3], 0x0
	s_load_b128 s[8:11], s[0:1], 0x0
	s_waitcnt lgkmcnt(0)
	s_max_i32 s11, s15, s17
	s_delay_alu instid0(SALU_CYCLE_1)
	s_cmp_ge_i32 s11, s9
	s_cbranch_scc1 .LBB53_1
; %bb.3:
	s_add_u32 s2, s0, 0x48
	s_addc_u32 s3, s1, 0
	s_bitcmp1_b32 s8, 0
	s_cselect_b32 s8, -1, 0
	s_min_i32 s15, s15, s17
	s_xor_b32 s8, s8, -1
	s_delay_alu instid0(SALU_CYCLE_1)
	s_and_b32 vcc_lo, exec_lo, s8
	s_cbranch_vccnz .LBB53_5
; %bb.4:
	s_lshr_b32 s8, s14, 31
	s_delay_alu instid0(SALU_CYCLE_1) | instskip(NEXT) | instid1(SALU_CYCLE_1)
	s_add_i32 s8, s14, s8
	s_ashr_i32 s8, s8, 1
	s_delay_alu instid0(SALU_CYCLE_1) | instskip(SKIP_3) | instid1(SALU_CYCLE_1)
	s_cmp_lg_u32 s8, s15
	s_cselect_b32 s9, -1, 0
	s_cmp_lg_u32 s8, s11
	s_cselect_b32 s8, -1, 0
	s_and_b32 s8, s9, s8
.LBB53_5:
	s_delay_alu instid0(SALU_CYCLE_1)
	s_and_not1_b32 vcc_lo, exec_lo, s8
	s_cbranch_vccnz .LBB53_1
; %bb.6:
	s_load_b32 s17, s[2:3], 0xc
	v_bfe_u32 v9, v0, 10, 10
	s_waitcnt lgkmcnt(0)
	s_bfe_u32 s8, s17, 0xf0001
	s_delay_alu instid0(SALU_CYCLE_1) | instskip(NEXT) | instid1(SALU_CYCLE_1)
	s_mul_i32 s2, s15, s8
	v_dual_mov_b32 v1, s2 :: v_dual_and_b32 v8, 0x3ff, v0
	s_mul_i32 s9, s11, s8
	s_delay_alu instid0(SALU_CYCLE_1) | instskip(NEXT) | instid1(VALU_DEP_1)
	s_sub_i32 s2, s9, s8
	v_cmp_gt_u32_e32 vcc_lo, s8, v8
	s_delay_alu instid0(VALU_DEP_2) | instskip(SKIP_1) | instid1(SALU_CYCLE_1)
	v_cndmask_b32_e32 v1, s2, v1, vcc_lo
	s_lshr_b32 s2, s17, 16
	s_mul_i32 s14, s14, s2
	s_mov_b32 s2, exec_lo
	s_delay_alu instid0(VALU_DEP_1) | instskip(SKIP_1) | instid1(VALU_DEP_1)
	v_add_nc_u32_e32 v7, v1, v8
	v_add_nc_u32_e32 v0, s14, v9
	v_max_i32_e32 v1, v7, v0
	s_delay_alu instid0(VALU_DEP_1)
	v_cmpx_gt_i32_e64 s10, v1
	s_cbranch_execz .LBB53_1
; %bb.7:
	s_clause 0x1
	s_load_b32 s20, s[0:1], 0x48
	s_load_b128 s[0:3], s[0:1], 0x10
	s_mul_i32 s5, s12, s5
	s_mul_hi_u32 s18, s12, s4
	s_mul_i32 s13, s13, s4
	s_add_i32 s5, s18, s5
	s_mul_i32 s18, s12, s4
	s_add_i32 s19, s5, s13
	s_and_b32 s17, s17, 0xffff
	s_lshl_b64 s[18:19], s[18:19], 3
	s_lshl_b32 s4, s8, 1
	v_mov_b32_e32 v1, 0
	v_mov_b32_e32 v2, 0
	s_waitcnt lgkmcnt(0)
	s_mul_i32 s5, s20, s12
	s_ashr_i32 s13, s2, 31
	s_mov_b32 s12, s2
	s_add_i32 s2, s5, s16
	s_add_u32 s5, s0, s18
	s_mul_i32 s2, s2, s8
	s_addc_u32 s16, s1, s19
	s_lshl_b64 s[0:1], s[12:13], 3
	s_mul_i32 s2, s2, s8
	s_add_u32 s0, s5, s0
	s_addc_u32 s1, s16, s1
	s_lshl_b32 s12, s2, 2
	s_delay_alu instid0(SALU_CYCLE_1) | instskip(NEXT) | instid1(SALU_CYCLE_1)
	s_ashr_i32 s13, s12, 31
	s_lshl_b64 s[12:13], s[12:13], 3
	s_delay_alu instid0(SALU_CYCLE_1)
	s_add_u32 s2, s6, s12
	s_addc_u32 s5, s7, s13
	s_cmp_lt_u32 s17, 2
	s_cbranch_scc1 .LBB53_10
; %bb.8:
	s_mul_i32 s6, s3, s15
	v_dual_mov_b32 v1, 0 :: v_dual_mov_b32 v4, 0
	s_mul_i32 s6, s6, s8
	v_dual_mov_b32 v2, 0 :: v_dual_mov_b32 v3, v8
	v_add3_u32 v5, s14, s6, v9
	s_mov_b32 s6, s8
	.p2align	6
.LBB53_9:                               ; =>This Inner Loop Header: Depth=1
	s_delay_alu instid0(VALU_DEP_1) | instskip(NEXT) | instid1(VALU_DEP_3)
	v_ashrrev_i32_e32 v6, 31, v5
	v_lshlrev_b64 v[10:11], 3, v[3:4]
	v_add_nc_u32_e32 v3, s4, v3
	s_add_i32 s6, s6, -1
	s_delay_alu instid0(SALU_CYCLE_1) | instskip(SKIP_1) | instid1(VALU_DEP_3)
	s_cmp_eq_u32 s6, 0
	v_lshlrev_b64 v[12:13], 3, v[5:6]
	v_add_co_u32 v10, vcc_lo, s2, v10
	v_add_co_ci_u32_e32 v11, vcc_lo, s5, v11, vcc_lo
	v_add_nc_u32_e32 v5, s3, v5
	s_delay_alu instid0(VALU_DEP_4)
	v_add_co_u32 v12, vcc_lo, s0, v12
	v_add_co_ci_u32_e32 v13, vcc_lo, s1, v13, vcc_lo
	global_load_b64 v[10:11], v[10:11], off
	global_load_b64 v[12:13], v[12:13], off
	s_waitcnt vmcnt(0)
	v_fma_f64 v[1:2], v[10:11], v[12:13], v[1:2]
	s_cbranch_scc0 .LBB53_9
.LBB53_10:
	s_sub_i32 s6, s10, s9
	s_delay_alu instid0(SALU_CYCLE_1) | instskip(NEXT) | instid1(SALU_CYCLE_1)
	s_min_i32 s6, s6, s8
	s_cmp_lt_i32 s6, 1
	s_cbranch_scc1 .LBB53_13
; %bb.11:
	s_mul_i32 s7, s3, s11
	s_mul_i32 s9, s8, s8
	;; [unrolled: 1-line block ×3, first 2 shown]
	v_lshl_add_u32 v3, s9, 1, v8
	v_add3_u32 v5, s14, s7, v9
	v_mov_b32_e32 v4, 0
	.p2align	6
.LBB53_12:                              ; =>This Inner Loop Header: Depth=1
	s_delay_alu instid0(VALU_DEP_2) | instskip(NEXT) | instid1(VALU_DEP_2)
	v_ashrrev_i32_e32 v6, 31, v5
	v_lshlrev_b64 v[8:9], 3, v[3:4]
	v_add_nc_u32_e32 v3, s4, v3
	s_add_i32 s6, s6, -1
	s_delay_alu instid0(SALU_CYCLE_1) | instskip(SKIP_1) | instid1(VALU_DEP_3)
	s_cmp_lg_u32 s6, 0
	v_lshlrev_b64 v[10:11], 3, v[5:6]
	v_add_co_u32 v8, vcc_lo, s2, v8
	v_add_co_ci_u32_e32 v9, vcc_lo, s5, v9, vcc_lo
	v_add_nc_u32_e32 v5, s3, v5
	s_delay_alu instid0(VALU_DEP_4)
	v_add_co_u32 v10, vcc_lo, s0, v10
	v_add_co_ci_u32_e32 v11, vcc_lo, s1, v11, vcc_lo
	global_load_b64 v[8:9], v[8:9], off
	global_load_b64 v[10:11], v[10:11], off
	s_waitcnt vmcnt(0)
	v_fma_f64 v[1:2], v[8:9], v[10:11], v[1:2]
	s_cbranch_scc1 .LBB53_12
.LBB53_13:
	s_delay_alu instid0(VALU_DEP_1) | instskip(SKIP_3) | instid1(VALU_DEP_1)
	v_mad_u64_u32 v[3:4], null, v7, s3, v[0:1]
	s_barrier
	buffer_gl0_inv
	v_ashrrev_i32_e32 v4, 31, v3
	v_lshlrev_b64 v[3:4], 3, v[3:4]
	s_delay_alu instid0(VALU_DEP_1) | instskip(NEXT) | instid1(VALU_DEP_2)
	v_add_co_u32 v3, vcc_lo, s0, v3
	v_add_co_ci_u32_e32 v4, vcc_lo, s1, v4, vcc_lo
	global_store_b64 v[3:4], v[1:2], off
	s_nop 0
	s_sendmsg sendmsg(MSG_DEALLOC_VGPRS)
	s_endpgm
	.section	.rodata,"a",@progbits
	.p2align	6, 0x0
	.amdhsa_kernel _ZN9rocsolver6v33100L21syevj_offd_rotate_orgILb0EddPdEEvbiiT2_iilPT0_PiS6_S6_
		.amdhsa_group_segment_fixed_size 0
		.amdhsa_private_segment_fixed_size 0
		.amdhsa_kernarg_size 328
		.amdhsa_user_sgpr_count 13
		.amdhsa_user_sgpr_dispatch_ptr 0
		.amdhsa_user_sgpr_queue_ptr 0
		.amdhsa_user_sgpr_kernarg_segment_ptr 1
		.amdhsa_user_sgpr_dispatch_id 0
		.amdhsa_user_sgpr_private_segment_size 0
		.amdhsa_wavefront_size32 1
		.amdhsa_uses_dynamic_stack 0
		.amdhsa_enable_private_segment 0
		.amdhsa_system_sgpr_workgroup_id_x 1
		.amdhsa_system_sgpr_workgroup_id_y 1
		.amdhsa_system_sgpr_workgroup_id_z 1
		.amdhsa_system_sgpr_workgroup_info 0
		.amdhsa_system_vgpr_workitem_id 1
		.amdhsa_next_free_vgpr 14
		.amdhsa_next_free_sgpr 21
		.amdhsa_reserve_vcc 1
		.amdhsa_float_round_mode_32 0
		.amdhsa_float_round_mode_16_64 0
		.amdhsa_float_denorm_mode_32 3
		.amdhsa_float_denorm_mode_16_64 3
		.amdhsa_dx10_clamp 1
		.amdhsa_ieee_mode 1
		.amdhsa_fp16_overflow 0
		.amdhsa_workgroup_processor_mode 1
		.amdhsa_memory_ordered 1
		.amdhsa_forward_progress 0
		.amdhsa_shared_vgpr_count 0
		.amdhsa_exception_fp_ieee_invalid_op 0
		.amdhsa_exception_fp_denorm_src 0
		.amdhsa_exception_fp_ieee_div_zero 0
		.amdhsa_exception_fp_ieee_overflow 0
		.amdhsa_exception_fp_ieee_underflow 0
		.amdhsa_exception_fp_ieee_inexact 0
		.amdhsa_exception_int_div_zero 0
	.end_amdhsa_kernel
	.section	.text._ZN9rocsolver6v33100L21syevj_offd_rotate_orgILb0EddPdEEvbiiT2_iilPT0_PiS6_S6_,"axG",@progbits,_ZN9rocsolver6v33100L21syevj_offd_rotate_orgILb0EddPdEEvbiiT2_iilPT0_PiS6_S6_,comdat
.Lfunc_end53:
	.size	_ZN9rocsolver6v33100L21syevj_offd_rotate_orgILb0EddPdEEvbiiT2_iilPT0_PiS6_S6_, .Lfunc_end53-_ZN9rocsolver6v33100L21syevj_offd_rotate_orgILb0EddPdEEvbiiT2_iilPT0_PiS6_S6_
                                        ; -- End function
	.section	.AMDGPU.csdata,"",@progbits
; Kernel info:
; codeLenInByte = 876
; NumSgprs: 23
; NumVgprs: 14
; ScratchSize: 0
; MemoryBound: 0
; FloatMode: 240
; IeeeMode: 1
; LDSByteSize: 0 bytes/workgroup (compile time only)
; SGPRBlocks: 2
; VGPRBlocks: 1
; NumSGPRsForWavesPerEU: 23
; NumVGPRsForWavesPerEU: 14
; Occupancy: 16
; WaveLimiterHint : 0
; COMPUTE_PGM_RSRC2:SCRATCH_EN: 0
; COMPUTE_PGM_RSRC2:USER_SGPR: 13
; COMPUTE_PGM_RSRC2:TRAP_HANDLER: 0
; COMPUTE_PGM_RSRC2:TGID_X_EN: 1
; COMPUTE_PGM_RSRC2:TGID_Y_EN: 1
; COMPUTE_PGM_RSRC2:TGID_Z_EN: 1
; COMPUTE_PGM_RSRC2:TIDIG_COMP_CNT: 1
	.section	.text._ZN9rocsolver6v33100L17syevj_offd_rotateILb0EddPdEEvbiiT2_iilPT0_PiS6_S6_i,"axG",@progbits,_ZN9rocsolver6v33100L17syevj_offd_rotateILb0EddPdEEvbiiT2_iilPT0_PiS6_S6_i,comdat
	.globl	_ZN9rocsolver6v33100L17syevj_offd_rotateILb0EddPdEEvbiiT2_iilPT0_PiS6_S6_i ; -- Begin function _ZN9rocsolver6v33100L17syevj_offd_rotateILb0EddPdEEvbiiT2_iilPT0_PiS6_S6_i
	.p2align	8
	.type	_ZN9rocsolver6v33100L17syevj_offd_rotateILb0EddPdEEvbiiT2_iilPT0_PiS6_S6_i,@function
_ZN9rocsolver6v33100L17syevj_offd_rotateILb0EddPdEEvbiiT2_iilPT0_PiS6_S6_i: ; @_ZN9rocsolver6v33100L17syevj_offd_rotateILb0EddPdEEvbiiT2_iilPT0_PiS6_S6_i
; %bb.0:
	s_clause 0x1
	s_load_b128 s[16:19], s[0:1], 0x0
	s_load_b32 s12, s[0:1], 0x48
	s_waitcnt lgkmcnt(0)
	s_abs_i32 s2, s17
	s_cmp_ge_u32 s15, s12
	v_cvt_f32_u32_e32 v1, s2
	s_delay_alu instid0(VALU_DEP_1) | instskip(SKIP_2) | instid1(VALU_DEP_1)
	v_rcp_iflag_f32_e32 v1, v1
	s_waitcnt_depctr 0xfff
	v_mul_f32_e32 v1, 0x4f7ffffe, v1
	v_cvt_u32_f32_e32 v1, v1
	s_delay_alu instid0(VALU_DEP_1)
	v_readfirstlane_b32 s3, v1
	s_cbranch_scc1 .LBB54_35
; %bb.1:
	s_sub_i32 s5, 0, s2
	s_add_i32 s4, s18, -1
	s_delay_alu instid0(VALU_DEP_1)
	s_mul_i32 s5, s5, s3
	s_ashr_i32 s6, s4, 31
	s_mul_hi_u32 s5, s3, s5
	s_ashr_i32 s7, s17, 31
	s_abs_i32 s4, s4
	s_add_i32 s3, s3, s5
	s_bitcmp1_b32 s16, 0
	s_mul_hi_u32 s3, s4, s3
	s_cselect_b32 s5, -1, 0
	s_mov_b32 s24, s15
	v_cndmask_b32_e64 v6, 0, 1, s5
	s_xor_b32 s15, s5, -1
	s_mul_i32 s5, s3, s2
	s_xor_b32 s6, s6, s7
	s_sub_i32 s4, s4, s5
	s_add_i32 s5, s3, 1
	s_sub_i32 s7, s4, s2
	s_cmp_ge_u32 s4, s2
	s_load_b128 s[20:23], s[0:1], 0x50
	s_cselect_b32 s3, s5, s3
	s_cselect_b32 s4, s7, s4
	s_add_i32 s5, s3, 1
	s_cmp_ge_u32 s4, s2
	s_load_b128 s[44:47], s[0:1], 0x10
	s_cselect_b32 s2, s5, s3
	s_lshl_b32 s28, s17, 1
	s_xor_b32 s2, s2, s6
	v_and_b32_e32 v1, 0x3ff, v0
	s_sub_i32 s16, s2, s6
	s_load_b64 s[2:3], s[0:1], 0x40
	s_add_i32 s26, s16, 1
	v_bfe_u32 v0, v0, 10, 10
	s_lshr_b32 s4, s26, 31
	v_lshl_add_u32 v9, v1, 3, 0
	s_add_i32 s25, s26, s4
	s_load_b256 s[4:11], s[0:1], 0x20
	s_and_b32 s0, s25, -2
	v_mov_b32_e32 v3, 0
	s_sub_i32 s0, s26, s0
	s_waitcnt lgkmcnt(0)
	s_lshr_b32 s27, s23, 16
	s_add_i32 s0, s0, s26
	s_and_b32 s23, s23, 0xffff
	s_lshr_b32 s1, s0, 31
	v_mad_u32_u24 v7, v0, s23, v1
	s_add_i32 s0, s0, s1
	s_mul_i32 s1, s28, s17
	s_ashr_i32 s29, s0, 1
	s_lshl_b32 s0, s1, 3
	s_mul_i32 s25, s1, 3
	s_add_i32 s30, s0, 0
	s_mov_b64 s[0:1], src_shared_base
	s_cmpk_lt_u32 s25, 0x2001
	s_mov_b32 s31, s1
	s_mul_i32 s1, s17, s17
	s_cselect_b32 s33, -1, 0
	s_ashr_i32 s43, s46, 31
	s_lshl_b32 s34, s1, 2
	s_cmp_lt_u32 s13, s29
	s_mul_i32 s0, s16, s17
	s_cselect_b32 s35, -1, 0
	s_sub_i32 s36, s18, s0
	s_cmp_lt_u32 s14, s26
	s_mov_b32 s42, s46
	s_cselect_b32 s38, -1, 0
	s_ashr_i32 s39, s47, 31
	s_add_u32 s40, s2, 4
	s_addc_u32 s41, s3, 0
	s_lshl_b64 s[2:3], s[42:43], 3
	v_lshlrev_b32_e32 v2, 3, v7
	s_add_u32 s42, s44, s2
	s_addc_u32 s43, s45, s3
	s_lshl_b32 s1, s1, 4
	v_cmp_gt_u32_e64 s0, s34, v7
	v_add3_u32 v8, 0, s1, v2
	s_mul_i32 s37, s27, s23
	s_mov_b32 s19, 0
	s_mov_b32 s44, s47
	s_lshl_b32 s45, s37, 3
	s_mul_i32 s46, s14, s17
	s_mul_i32 s47, s21, s17
	s_lshl_b32 s48, s27, 3
	s_lshl_b32 s49, s23, 3
	s_branch .LBB54_3
.LBB54_2:                               ;   in Loop: Header=BB54_3 Depth=1
	s_add_i32 s24, s24, s22
	s_delay_alu instid0(SALU_CYCLE_1)
	s_cmp_ge_u32 s24, s12
	s_cbranch_scc1 .LBB54_35
.LBB54_3:                               ; =>This Loop Header: Depth=1
                                        ;     Child Loop BB54_7 Depth 2
                                        ;       Child Loop BB54_11 Depth 3
                                        ;       Child Loop BB54_17 Depth 3
                                        ;         Child Loop BB54_23 Depth 4
                                        ;           Child Loop BB54_25 Depth 5
                                        ;         Child Loop BB54_29 Depth 4
                                        ;           Child Loop BB54_32 Depth 5
                                        ;             Child Loop BB54_34 Depth 6
	s_mov_b32 s25, s19
	s_delay_alu instid0(SALU_CYCLE_1) | instskip(NEXT) | instid1(SALU_CYCLE_1)
	s_lshl_b64 s[2:3], s[24:25], 2
	s_add_u32 s2, s40, s2
	s_addc_u32 s3, s41, s3
	s_load_b32 s1, s[2:3], 0x0
	s_waitcnt lgkmcnt(0)
	s_cmp_lg_u32 s1, 0
	s_cbranch_scc1 .LBB54_2
; %bb.4:                                ;   in Loop: Header=BB54_3 Depth=1
	s_and_not1_b32 vcc_lo, exec_lo, s35
	s_cbranch_vccnz .LBB54_2
; %bb.5:                                ;   in Loop: Header=BB54_3 Depth=1
	s_mul_i32 s1, s24, s5
	s_mul_hi_u32 s3, s24, s4
	s_mul_i32 s2, s24, s4
	s_add_i32 s3, s3, s1
	s_mul_i32 s25, s24, s29
	s_lshl_b64 s[2:3], s[2:3], 3
	s_mov_b32 s18, s13
	s_add_u32 s50, s42, s2
	s_addc_u32 s51, s43, s3
	s_branch .LBB54_7
.LBB54_6:                               ;   in Loop: Header=BB54_7 Depth=2
	s_add_i32 s18, s18, s20
	s_delay_alu instid0(SALU_CYCLE_1)
	s_cmp_lt_u32 s18, s29
	s_cbranch_scc0 .LBB54_2
.LBB54_7:                               ;   Parent Loop BB54_3 Depth=1
                                        ; =>  This Loop Header: Depth=2
                                        ;       Child Loop BB54_11 Depth 3
                                        ;       Child Loop BB54_17 Depth 3
                                        ;         Child Loop BB54_23 Depth 4
                                        ;           Child Loop BB54_25 Depth 5
                                        ;         Child Loop BB54_29 Depth 4
                                        ;           Child Loop BB54_32 Depth 5
                                        ;             Child Loop BB54_34 Depth 6
	s_lshl_b64 s[2:3], s[18:19], 2
	s_delay_alu instid0(SALU_CYCLE_1)
	s_add_u32 s52, s8, s2
	s_addc_u32 s53, s9, s3
	s_add_u32 s2, s10, s2
	s_addc_u32 s3, s11, s3
	s_clause 0x1
	global_load_b32 v2, v3, s[2:3]
	global_load_b32 v4, v3, s[52:53]
	s_waitcnt vmcnt(1)
	v_readfirstlane_b32 s1, v2
	s_waitcnt vmcnt(0)
	v_readfirstlane_b32 s2, v4
	s_delay_alu instid0(VALU_DEP_1) | instskip(NEXT) | instid1(SALU_CYCLE_1)
	s_max_i32 s52, s2, s1
	s_cmp_gt_i32 s52, s16
	s_cbranch_scc1 .LBB54_6
; %bb.8:                                ;   in Loop: Header=BB54_7 Depth=2
	s_add_i32 s3, s18, s25
	s_mov_b32 s55, s19
	s_mul_i32 s54, s34, s3
	s_delay_alu instid0(SALU_CYCLE_1) | instskip(NEXT) | instid1(SALU_CYCLE_1)
	s_lshl_b64 s[54:55], s[54:55], 3
	s_add_u32 s3, s6, s54
	s_addc_u32 s56, s7, s55
	s_and_not1_b32 vcc_lo, exec_lo, s33
	s_cbranch_vccnz .LBB54_13
; %bb.9:                                ;   in Loop: Header=BB54_7 Depth=2
	s_barrier
	buffer_gl0_inv
	s_and_saveexec_b32 s53, s0
	s_cbranch_execz .LBB54_12
; %bb.10:                               ;   in Loop: Header=BB54_7 Depth=2
	v_mov_b32_e32 v4, v8
	v_mov_b32_e32 v2, v7
	s_mov_b32 s54, 0
.LBB54_11:                              ;   Parent Loop BB54_3 Depth=1
                                        ;     Parent Loop BB54_7 Depth=2
                                        ; =>    This Inner Loop Header: Depth=3
	s_delay_alu instid0(VALU_DEP_1) | instskip(SKIP_1) | instid1(VALU_DEP_2)
	v_lshlrev_b64 v[10:11], 3, v[2:3]
	v_add_nc_u32_e32 v2, s37, v2
	v_add_co_u32 v10, vcc_lo, s3, v10
	s_delay_alu instid0(VALU_DEP_3) | instskip(NEXT) | instid1(VALU_DEP_3)
	v_add_co_ci_u32_e32 v11, vcc_lo, s56, v11, vcc_lo
	v_cmp_le_u32_e32 vcc_lo, s34, v2
	global_load_b64 v[10:11], v[10:11], off
	s_or_b32 s54, vcc_lo, s54
	s_waitcnt vmcnt(0)
	ds_store_b64 v4, v[10:11]
	v_add_nc_u32_e32 v4, s45, v4
	s_and_not1_b32 exec_lo, exec_lo, s54
	s_cbranch_execnz .LBB54_11
.LBB54_12:                              ;   in Loop: Header=BB54_7 Depth=2
	s_or_b32 exec_lo, exec_lo, s53
	s_waitcnt lgkmcnt(0)
	s_barrier
	buffer_gl0_inv
.LBB54_13:                              ;   in Loop: Header=BB54_7 Depth=2
	s_and_not1_b32 vcc_lo, exec_lo, s38
	s_cbranch_vccnz .LBB54_6
; %bb.14:                               ;   in Loop: Header=BB54_7 Depth=2
	s_min_i32 s53, s1, s2
	s_mul_i32 s2, s52, s17
	s_cmp_eq_u32 s16, s53
	s_mul_i32 s60, s53, s17
	s_cselect_b32 s54, s36, s17
	s_cmp_eq_u32 s16, s52
	s_mov_b32 s61, s46
	s_cselect_b32 s1, s36, s17
	s_mov_b32 s62, s14
	s_add_i32 s55, s54, s1
	s_and_b32 s1, s33, exec_lo
	s_cselect_b32 s56, s31, s56
	s_cselect_b32 s57, s30, s3
	s_sub_i32 s58, s2, s54
	v_cmp_gt_u32_e64 s1, s55, v0
	s_cmp_gt_i32 s55, 0
	s_cselect_b32 s59, -1, 0
	s_branch .LBB54_17
.LBB54_15:                              ;   in Loop: Header=BB54_17 Depth=3
	s_or_b32 exec_lo, exec_lo, s64
	s_waitcnt_vscnt null, 0x0
	s_barrier
	buffer_gl0_inv
.LBB54_16:                              ;   in Loop: Header=BB54_17 Depth=3
	s_add_i32 s62, s62, s21
	s_add_i32 s61, s61, s47
	s_cmp_lt_u32 s62, s26
	s_cbranch_scc0 .LBB54_6
.LBB54_17:                              ;   Parent Loop BB54_3 Depth=1
                                        ;     Parent Loop BB54_7 Depth=2
                                        ; =>    This Loop Header: Depth=3
                                        ;         Child Loop BB54_23 Depth 4
                                        ;           Child Loop BB54_25 Depth 5
                                        ;         Child Loop BB54_29 Depth 4
                                        ;           Child Loop BB54_32 Depth 5
                                        ;             Child Loop BB54_34 Depth 6
	v_cmp_ne_u32_e32 vcc_lo, 1, v6
	s_mov_b32 s2, s15
	s_cbranch_vccz .LBB54_19
; %bb.18:                               ;   in Loop: Header=BB54_17 Depth=3
	s_and_not1_b32 vcc_lo, exec_lo, s2
	s_cbranch_vccnz .LBB54_16
	s_branch .LBB54_20
.LBB54_19:                              ;   in Loop: Header=BB54_17 Depth=3
	s_cmp_lg_u32 s62, s53
	s_cselect_b32 s2, -1, 0
	s_cmp_lg_u32 s62, s52
	s_cselect_b32 s3, -1, 0
	s_delay_alu instid0(SALU_CYCLE_1) | instskip(NEXT) | instid1(SALU_CYCLE_1)
	s_and_b32 s2, s2, s3
	s_and_not1_b32 vcc_lo, exec_lo, s2
	s_cbranch_vccnz .LBB54_16
.LBB54_20:                              ;   in Loop: Header=BB54_17 Depth=3
	s_cmp_eq_u32 s16, s62
	s_cselect_b32 s63, s36, s17
	s_barrier
	buffer_gl0_inv
	s_and_saveexec_b32 s3, s1
	s_cbranch_execz .LBB54_26
; %bb.21:                               ;   in Loop: Header=BB54_17 Depth=3
	v_mad_u64_u32 v[4:5], null, v0, s63, v[1:2]
	v_cmp_gt_u32_e32 vcc_lo, s63, v1
	v_mov_b32_e32 v5, v0
	s_mul_i32 s64, s48, s63
	s_mov_b32 s65, 0
	s_delay_alu instid0(VALU_DEP_3)
	v_lshl_add_u32 v4, v4, 3, 0
	s_branch .LBB54_23
.LBB54_22:                              ;   in Loop: Header=BB54_23 Depth=4
	s_or_b32 exec_lo, exec_lo, s66
	v_add_nc_u32_e32 v5, s27, v5
	v_add_nc_u32_e32 v4, s64, v4
	s_delay_alu instid0(VALU_DEP_2) | instskip(NEXT) | instid1(VALU_DEP_1)
	v_cmp_le_u32_e64 s2, s55, v5
	s_or_b32 s65, s2, s65
	s_delay_alu instid0(SALU_CYCLE_1)
	s_and_not1_b32 exec_lo, exec_lo, s65
	s_cbranch_execz .LBB54_26
.LBB54_23:                              ;   Parent Loop BB54_3 Depth=1
                                        ;     Parent Loop BB54_7 Depth=2
                                        ;       Parent Loop BB54_17 Depth=3
                                        ; =>      This Loop Header: Depth=4
                                        ;           Child Loop BB54_25 Depth 5
	s_and_saveexec_b32 s66, vcc_lo
	s_cbranch_execz .LBB54_22
; %bb.24:                               ;   in Loop: Header=BB54_23 Depth=4
	v_mov_b32_e32 v2, s60
	v_cmp_gt_u32_e64 s2, s54, v5
	s_mov_b32 s67, 0
	s_delay_alu instid0(VALU_DEP_1) | instskip(NEXT) | instid1(VALU_DEP_1)
	v_cndmask_b32_e64 v2, s58, v2, s2
	v_add_nc_u32_e32 v13, v5, v2
	s_delay_alu instid0(VALU_DEP_1) | instskip(NEXT) | instid1(VALU_DEP_1)
	v_mad_u64_u32 v[10:11], null, v13, s44, 0
	v_mov_b32_e32 v2, v11
	s_delay_alu instid0(VALU_DEP_1) | instskip(SKIP_1) | instid1(VALU_DEP_2)
	v_mad_u64_u32 v[11:12], null, v13, s39, v[2:3]
	v_mov_b32_e32 v13, v1
	v_lshlrev_b64 v[11:12], 3, v[10:11]
	v_mov_b32_e32 v10, v4
	s_delay_alu instid0(VALU_DEP_2) | instskip(NEXT) | instid1(VALU_DEP_1)
	v_add_co_u32 v11, s2, s50, v11
	v_add_co_ci_u32_e64 v12, s2, s51, v12, s2
	.p2align	6
.LBB54_25:                              ;   Parent Loop BB54_3 Depth=1
                                        ;     Parent Loop BB54_7 Depth=2
                                        ;       Parent Loop BB54_17 Depth=3
                                        ;         Parent Loop BB54_23 Depth=4
                                        ; =>        This Inner Loop Header: Depth=5
	v_add_nc_u32_e32 v2, s61, v13
	v_add_nc_u32_e32 v13, s23, v13
	s_delay_alu instid0(VALU_DEP_2) | instskip(NEXT) | instid1(VALU_DEP_1)
	v_lshlrev_b64 v[14:15], 3, v[2:3]
	v_add_co_u32 v14, s2, v11, v14
	s_delay_alu instid0(VALU_DEP_1) | instskip(NEXT) | instid1(VALU_DEP_4)
	v_add_co_ci_u32_e64 v15, s2, v12, v15, s2
	v_cmp_le_u32_e64 s2, s63, v13
	global_load_b64 v[14:15], v[14:15], off
	s_or_b32 s67, s2, s67
	s_waitcnt vmcnt(0)
	ds_store_b64 v10, v[14:15]
	v_add_nc_u32_e32 v10, s49, v10
	s_and_not1_b32 exec_lo, exec_lo, s67
	s_cbranch_execnz .LBB54_25
	s_branch .LBB54_22
.LBB54_26:                              ;   in Loop: Header=BB54_17 Depth=3
	s_or_b32 exec_lo, exec_lo, s3
	s_waitcnt lgkmcnt(0)
	s_barrier
	buffer_gl0_inv
	s_and_saveexec_b32 s64, s1
	s_cbranch_execz .LBB54_15
; %bb.27:                               ;   in Loop: Header=BB54_17 Depth=3
	v_cmp_gt_u32_e64 s2, s63, v1
	v_mov_b32_e32 v10, v0
	s_mul_i32 s65, s62, s17
	s_lshl_b32 s66, s63, 3
	s_mov_b32 s67, 0
	s_branch .LBB54_29
.LBB54_28:                              ;   in Loop: Header=BB54_29 Depth=4
	s_set_inst_prefetch_distance 0x2
	s_or_b32 exec_lo, exec_lo, s68
	v_add_nc_u32_e32 v10, s27, v10
	s_delay_alu instid0(VALU_DEP_1) | instskip(SKIP_1) | instid1(SALU_CYCLE_1)
	v_cmp_le_u32_e32 vcc_lo, s55, v10
	s_or_b32 s67, vcc_lo, s67
	s_and_not1_b32 exec_lo, exec_lo, s67
	s_cbranch_execz .LBB54_15
.LBB54_29:                              ;   Parent Loop BB54_3 Depth=1
                                        ;     Parent Loop BB54_7 Depth=2
                                        ;       Parent Loop BB54_17 Depth=3
                                        ; =>      This Loop Header: Depth=4
                                        ;           Child Loop BB54_32 Depth 5
                                        ;             Child Loop BB54_34 Depth 6
	s_and_saveexec_b32 s68, s2
	s_cbranch_execz .LBB54_28
; %bb.30:                               ;   in Loop: Header=BB54_29 Depth=4
	v_mov_b32_e32 v2, s60
	v_cmp_gt_u32_e32 vcc_lo, s54, v10
	v_mov_b32_e32 v14, v1
	s_mov_b32 s69, 0
	s_delay_alu instid0(VALU_DEP_3) | instskip(NEXT) | instid1(VALU_DEP_1)
	v_cndmask_b32_e32 v2, s58, v2, vcc_lo
	v_add_nc_u32_e32 v13, v10, v2
	s_delay_alu instid0(VALU_DEP_1) | instskip(NEXT) | instid1(VALU_DEP_1)
	v_mad_u64_u32 v[4:5], null, v13, s44, 0
	v_mov_b32_e32 v2, v5
	s_delay_alu instid0(VALU_DEP_1) | instskip(NEXT) | instid1(VALU_DEP_1)
	v_mad_u64_u32 v[11:12], null, v13, s39, v[2:3]
	v_mov_b32_e32 v5, v11
	v_mov_b32_e32 v11, v9
	s_delay_alu instid0(VALU_DEP_2) | instskip(NEXT) | instid1(VALU_DEP_1)
	v_lshlrev_b64 v[4:5], 3, v[4:5]
	v_add_co_u32 v12, vcc_lo, s50, v4
	s_delay_alu instid0(VALU_DEP_2)
	v_add_co_ci_u32_e32 v13, vcc_lo, s51, v5, vcc_lo
	s_set_inst_prefetch_distance 0x1
	s_branch .LBB54_32
	.p2align	6
.LBB54_31:                              ;   in Loop: Header=BB54_32 Depth=5
	v_add_nc_u32_e32 v2, s65, v14
	v_add_nc_u32_e32 v14, s23, v14
	;; [unrolled: 1-line block ×3, first 2 shown]
	s_delay_alu instid0(VALU_DEP_3) | instskip(NEXT) | instid1(VALU_DEP_3)
	v_lshlrev_b64 v[15:16], 3, v[2:3]
	v_cmp_le_u32_e32 vcc_lo, s63, v14
	s_or_b32 s69, vcc_lo, s69
	s_delay_alu instid0(VALU_DEP_2) | instskip(NEXT) | instid1(VALU_DEP_1)
	v_add_co_u32 v15, s3, v12, v15
	v_add_co_ci_u32_e64 v16, s3, v13, v16, s3
	global_store_b64 v[15:16], v[4:5], off
	s_and_not1_b32 exec_lo, exec_lo, s69
	s_cbranch_execz .LBB54_28
.LBB54_32:                              ;   Parent Loop BB54_3 Depth=1
                                        ;     Parent Loop BB54_7 Depth=2
                                        ;       Parent Loop BB54_17 Depth=3
                                        ;         Parent Loop BB54_29 Depth=4
                                        ; =>        This Loop Header: Depth=5
                                        ;             Child Loop BB54_34 Depth 6
	v_mov_b32_e32 v4, 0
	v_mov_b32_e32 v5, 0
	s_and_not1_b32 vcc_lo, exec_lo, s59
	s_cbranch_vccnz .LBB54_31
; %bb.33:                               ;   in Loop: Header=BB54_32 Depth=5
	v_dual_mov_b32 v2, v10 :: v_dual_mov_b32 v15, v11
	s_mov_b32 s3, s55
	.p2align	6
.LBB54_34:                              ;   Parent Loop BB54_3 Depth=1
                                        ;     Parent Loop BB54_7 Depth=2
                                        ;       Parent Loop BB54_17 Depth=3
                                        ;         Parent Loop BB54_29 Depth=4
                                        ;           Parent Loop BB54_32 Depth=5
                                        ; =>          This Inner Loop Header: Depth=6
	s_delay_alu instid0(VALU_DEP_1) | instskip(SKIP_4) | instid1(SALU_CYCLE_1)
	v_lshlrev_b64 v[16:17], 3, v[2:3]
	ds_load_b64 v[18:19], v15
	v_add_nc_u32_e32 v15, s66, v15
	v_add_nc_u32_e32 v2, s28, v2
	s_add_i32 s3, s3, -1
	s_cmp_eq_u32 s3, 0
	v_add_co_u32 v16, vcc_lo, s57, v16
	v_add_co_ci_u32_e32 v17, vcc_lo, s56, v17, vcc_lo
	flat_load_b64 v[16:17], v[16:17]
	s_waitcnt vmcnt(0) lgkmcnt(0)
	v_fma_f64 v[4:5], v[18:19], v[16:17], v[4:5]
	s_cbranch_scc0 .LBB54_34
	s_branch .LBB54_31
.LBB54_35:
	s_endpgm
	.section	.rodata,"a",@progbits
	.p2align	6, 0x0
	.amdhsa_kernel _ZN9rocsolver6v33100L17syevj_offd_rotateILb0EddPdEEvbiiT2_iilPT0_PiS6_S6_i
		.amdhsa_group_segment_fixed_size 0
		.amdhsa_private_segment_fixed_size 0
		.amdhsa_kernarg_size 336
		.amdhsa_user_sgpr_count 13
		.amdhsa_user_sgpr_dispatch_ptr 0
		.amdhsa_user_sgpr_queue_ptr 0
		.amdhsa_user_sgpr_kernarg_segment_ptr 1
		.amdhsa_user_sgpr_dispatch_id 0
		.amdhsa_user_sgpr_private_segment_size 0
		.amdhsa_wavefront_size32 1
		.amdhsa_uses_dynamic_stack 0
		.amdhsa_enable_private_segment 0
		.amdhsa_system_sgpr_workgroup_id_x 1
		.amdhsa_system_sgpr_workgroup_id_y 1
		.amdhsa_system_sgpr_workgroup_id_z 1
		.amdhsa_system_sgpr_workgroup_info 0
		.amdhsa_system_vgpr_workitem_id 1
		.amdhsa_next_free_vgpr 20
		.amdhsa_next_free_sgpr 70
		.amdhsa_reserve_vcc 1
		.amdhsa_float_round_mode_32 0
		.amdhsa_float_round_mode_16_64 0
		.amdhsa_float_denorm_mode_32 3
		.amdhsa_float_denorm_mode_16_64 3
		.amdhsa_dx10_clamp 1
		.amdhsa_ieee_mode 1
		.amdhsa_fp16_overflow 0
		.amdhsa_workgroup_processor_mode 1
		.amdhsa_memory_ordered 1
		.amdhsa_forward_progress 0
		.amdhsa_shared_vgpr_count 0
		.amdhsa_exception_fp_ieee_invalid_op 0
		.amdhsa_exception_fp_denorm_src 0
		.amdhsa_exception_fp_ieee_div_zero 0
		.amdhsa_exception_fp_ieee_overflow 0
		.amdhsa_exception_fp_ieee_underflow 0
		.amdhsa_exception_fp_ieee_inexact 0
		.amdhsa_exception_int_div_zero 0
	.end_amdhsa_kernel
	.section	.text._ZN9rocsolver6v33100L17syevj_offd_rotateILb0EddPdEEvbiiT2_iilPT0_PiS6_S6_i,"axG",@progbits,_ZN9rocsolver6v33100L17syevj_offd_rotateILb0EddPdEEvbiiT2_iilPT0_PiS6_S6_i,comdat
.Lfunc_end54:
	.size	_ZN9rocsolver6v33100L17syevj_offd_rotateILb0EddPdEEvbiiT2_iilPT0_PiS6_S6_i, .Lfunc_end54-_ZN9rocsolver6v33100L17syevj_offd_rotateILb0EddPdEEvbiiT2_iilPT0_PiS6_S6_i
                                        ; -- End function
	.section	.AMDGPU.csdata,"",@progbits
; Kernel info:
; codeLenInByte = 1672
; NumSgprs: 72
; NumVgprs: 20
; ScratchSize: 0
; MemoryBound: 0
; FloatMode: 240
; IeeeMode: 1
; LDSByteSize: 0 bytes/workgroup (compile time only)
; SGPRBlocks: 8
; VGPRBlocks: 2
; NumSGPRsForWavesPerEU: 72
; NumVGPRsForWavesPerEU: 20
; Occupancy: 16
; WaveLimiterHint : 1
; COMPUTE_PGM_RSRC2:SCRATCH_EN: 0
; COMPUTE_PGM_RSRC2:USER_SGPR: 13
; COMPUTE_PGM_RSRC2:TRAP_HANDLER: 0
; COMPUTE_PGM_RSRC2:TGID_X_EN: 1
; COMPUTE_PGM_RSRC2:TGID_Y_EN: 1
; COMPUTE_PGM_RSRC2:TGID_Z_EN: 1
; COMPUTE_PGM_RSRC2:TIDIG_COMP_CNT: 1
	.section	.text._ZN9rocsolver6v33100L21syevj_offd_rotate_orgILb1EddPdEEvbiiT2_iilPT0_PiS6_S6_,"axG",@progbits,_ZN9rocsolver6v33100L21syevj_offd_rotate_orgILb1EddPdEEvbiiT2_iilPT0_PiS6_S6_,comdat
	.globl	_ZN9rocsolver6v33100L21syevj_offd_rotate_orgILb1EddPdEEvbiiT2_iilPT0_PiS6_S6_ ; -- Begin function _ZN9rocsolver6v33100L21syevj_offd_rotate_orgILb1EddPdEEvbiiT2_iilPT0_PiS6_S6_
	.p2align	8
	.type	_ZN9rocsolver6v33100L21syevj_offd_rotate_orgILb1EddPdEEvbiiT2_iilPT0_PiS6_S6_,@function
_ZN9rocsolver6v33100L21syevj_offd_rotate_orgILb1EddPdEEvbiiT2_iilPT0_PiS6_S6_: ; @_ZN9rocsolver6v33100L21syevj_offd_rotate_orgILb1EddPdEEvbiiT2_iilPT0_PiS6_S6_
; %bb.0:
	s_load_b64 s[2:3], s[0:1], 0x40
	s_mov_b32 s12, s15
	s_mov_b32 s16, s13
	s_ashr_i32 s13, s15, 31
	s_delay_alu instid0(SALU_CYCLE_1)
	s_lshl_b64 s[4:5], s[12:13], 2
	s_waitcnt lgkmcnt(0)
	s_add_u32 s2, s2, s4
	s_addc_u32 s3, s3, s5
	s_load_b32 s2, s[2:3], 0x4
	s_waitcnt lgkmcnt(0)
	s_cmp_lg_u32 s2, 0
	s_cbranch_scc0 .LBB55_2
.LBB55_1:
	s_endpgm
.LBB55_2:
	s_load_b256 s[4:11], s[0:1], 0x20
	s_ashr_i32 s17, s16, 31
	s_delay_alu instid0(SALU_CYCLE_1)
	s_lshl_b64 s[2:3], s[16:17], 2
	s_waitcnt lgkmcnt(0)
	s_add_u32 s8, s8, s2
	s_addc_u32 s9, s9, s3
	s_add_u32 s2, s10, s2
	s_addc_u32 s3, s11, s3
	s_load_b32 s17, s[8:9], 0x0
	s_load_b32 s18, s[2:3], 0x0
	s_load_b128 s[8:11], s[0:1], 0x0
	s_waitcnt lgkmcnt(0)
	s_max_i32 s15, s17, s18
	s_delay_alu instid0(SALU_CYCLE_1)
	s_cmp_ge_i32 s15, s9
	s_cbranch_scc1 .LBB55_1
; %bb.3:
	s_add_u32 s2, s0, 0x48
	s_addc_u32 s3, s1, 0
	s_bitcmp1_b32 s8, 0
	s_cselect_b32 s8, -1, 0
	s_min_i32 s11, s17, s18
	s_xor_b32 s8, s8, -1
	s_delay_alu instid0(SALU_CYCLE_1)
	s_and_b32 vcc_lo, exec_lo, s8
	s_cbranch_vccnz .LBB55_5
; %bb.4:
	s_lshr_b32 s8, s14, 31
	s_delay_alu instid0(SALU_CYCLE_1) | instskip(NEXT) | instid1(SALU_CYCLE_1)
	s_add_i32 s8, s14, s8
	s_ashr_i32 s8, s8, 1
	s_delay_alu instid0(SALU_CYCLE_1) | instskip(SKIP_3) | instid1(SALU_CYCLE_1)
	s_cmp_lg_u32 s8, s11
	s_cselect_b32 s9, -1, 0
	s_cmp_lg_u32 s8, s15
	s_cselect_b32 s8, -1, 0
	s_and_b32 s8, s9, s8
.LBB55_5:
	s_delay_alu instid0(SALU_CYCLE_1)
	s_and_not1_b32 vcc_lo, exec_lo, s8
	s_cbranch_vccnz .LBB55_1
; %bb.6:
	s_load_b32 s17, s[2:3], 0xc
	v_and_b32_e32 v7, 0x3ff, v0
	v_bfe_u32 v2, v0, 10, 10
	s_waitcnt lgkmcnt(0)
	s_bfe_u32 s8, s17, 0xf0001
	s_lshr_b32 s2, s17, 16
	s_mul_i32 s11, s11, s8
	v_cmp_gt_u32_e32 vcc_lo, s8, v7
	v_mov_b32_e32 v1, s11
	s_mul_i32 s9, s15, s8
	s_delay_alu instid0(SALU_CYCLE_1)
	s_sub_i32 s3, s9, s8
	s_delay_alu instid0(VALU_DEP_1) | instid1(SALU_CYCLE_1)
	v_cndmask_b32_e32 v3, s3, v1, vcc_lo
	s_delay_alu instid0(VALU_DEP_1) | instskip(SKIP_2) | instid1(VALU_DEP_1)
	v_add_nc_u32_e32 v6, v3, v7
	v_mad_u64_u32 v[0:1], null, s14, s2, v[2:3]
	s_mov_b32 s2, exec_lo
	v_max_i32_e32 v1, v6, v0
	s_delay_alu instid0(VALU_DEP_1)
	v_cmpx_gt_i32_e64 s10, v1
	s_cbranch_execz .LBB55_1
; %bb.7:
	s_clause 0x1
	s_load_b32 s18, s[0:1], 0x48
	s_load_b128 s[0:3], s[0:1], 0x10
	s_mul_i32 s5, s12, s5
	s_mul_hi_u32 s14, s12, s4
	s_mul_i32 s13, s13, s4
	s_add_i32 s5, s14, s5
	s_mul_i32 s14, s12, s4
	s_add_i32 s15, s5, s13
	s_and_b32 s17, s17, 0xffff
	s_lshl_b64 s[14:15], s[14:15], 3
	s_lshl_b32 s4, s8, 1
	s_waitcnt lgkmcnt(0)
	s_mul_i32 s5, s18, s12
	s_ashr_i32 s13, s2, 31
	s_mov_b32 s12, s2
	s_add_i32 s2, s5, s16
	s_add_u32 s5, s0, s14
	s_mul_i32 s2, s2, s8
	s_addc_u32 s14, s1, s15
	s_lshl_b64 s[0:1], s[12:13], 3
	s_mul_i32 s2, s2, s8
	s_add_u32 s0, s5, s0
	s_addc_u32 s1, s14, s1
	s_lshl_b32 s12, s2, 2
	v_mul_lo_u32 v9, v0, s3
	s_ashr_i32 s13, s12, 31
	s_delay_alu instid0(SALU_CYCLE_1) | instskip(NEXT) | instid1(SALU_CYCLE_1)
	s_lshl_b64 s[12:13], s[12:13], 3
	s_add_u32 s2, s6, s12
	s_addc_u32 s5, s7, s13
	s_cmp_gt_u32 s17, 1
	s_cbranch_scc0 .LBB55_11
; %bb.8:
	v_mul_lo_u32 v8, v0, s3
	v_dual_mov_b32 v0, 0 :: v_dual_mov_b32 v3, 0
	v_dual_mov_b32 v1, 0 :: v_dual_mov_b32 v2, v7
	s_mov_b32 s3, s8
	s_delay_alu instid0(VALU_DEP_3)
	v_add_nc_u32_e32 v4, s11, v8
	.p2align	6
.LBB55_9:                               ; =>This Inner Loop Header: Depth=1
	s_delay_alu instid0(VALU_DEP_1) | instskip(NEXT) | instid1(VALU_DEP_3)
	v_ashrrev_i32_e32 v5, 31, v4
	v_lshlrev_b64 v[10:11], 3, v[2:3]
	v_add_nc_u32_e32 v2, s4, v2
	s_add_i32 s3, s3, -1
	s_delay_alu instid0(SALU_CYCLE_1) | instskip(SKIP_1) | instid1(VALU_DEP_3)
	s_cmp_eq_u32 s3, 0
	v_lshlrev_b64 v[12:13], 3, v[4:5]
	v_add_co_u32 v10, vcc_lo, s2, v10
	v_add_co_ci_u32_e32 v11, vcc_lo, s5, v11, vcc_lo
	v_add_nc_u32_e32 v4, 1, v4
	s_delay_alu instid0(VALU_DEP_4)
	v_add_co_u32 v12, vcc_lo, s0, v12
	v_add_co_ci_u32_e32 v13, vcc_lo, s1, v13, vcc_lo
	global_load_b64 v[10:11], v[10:11], off
	global_load_b64 v[12:13], v[12:13], off
	s_waitcnt vmcnt(0)
	v_fma_f64 v[0:1], v[10:11], v[12:13], v[0:1]
	s_cbranch_scc0 .LBB55_9
; %bb.10:
	s_mov_b32 s3, 0
	s_branch .LBB55_12
.LBB55_11:
	s_mov_b32 s3, -1
                                        ; implicit-def: $vgpr0_vgpr1
                                        ; implicit-def: $vgpr8
.LBB55_12:
	s_delay_alu instid0(SALU_CYCLE_1)
	s_and_b32 vcc_lo, exec_lo, s3
	s_cbranch_vccz .LBB55_14
; %bb.13:
	v_mov_b32_e32 v0, 0
	v_dual_mov_b32 v1, 0 :: v_dual_mov_b32 v8, v9
.LBB55_14:
	s_sub_i32 s3, s10, s9
	s_delay_alu instid0(SALU_CYCLE_1) | instskip(NEXT) | instid1(SALU_CYCLE_1)
	s_min_i32 s3, s3, s8
	s_cmp_lt_i32 s3, 1
	s_cbranch_scc1 .LBB55_17
; %bb.15:
	s_mul_i32 s8, s8, s8
	v_dual_mov_b32 v5, 0 :: v_dual_add_nc_u32 v2, s9, v8
	v_lshl_add_u32 v4, s8, 1, v7
	.p2align	6
.LBB55_16:                              ; =>This Inner Loop Header: Depth=1
	s_delay_alu instid0(VALU_DEP_2) | instskip(NEXT) | instid1(VALU_DEP_2)
	v_ashrrev_i32_e32 v3, 31, v2
	v_lshlrev_b64 v[9:10], 3, v[4:5]
	v_add_nc_u32_e32 v4, s4, v4
	s_add_i32 s3, s3, -1
	s_delay_alu instid0(SALU_CYCLE_1) | instskip(SKIP_1) | instid1(VALU_DEP_3)
	s_cmp_lg_u32 s3, 0
	v_lshlrev_b64 v[11:12], 3, v[2:3]
	v_add_co_u32 v9, vcc_lo, s2, v9
	v_add_co_ci_u32_e32 v10, vcc_lo, s5, v10, vcc_lo
	v_add_nc_u32_e32 v2, 1, v2
	s_delay_alu instid0(VALU_DEP_4)
	v_add_co_u32 v11, vcc_lo, s0, v11
	v_add_co_ci_u32_e32 v12, vcc_lo, s1, v12, vcc_lo
	global_load_b64 v[9:10], v[9:10], off
	global_load_b64 v[11:12], v[11:12], off
	s_waitcnt vmcnt(0)
	v_fma_f64 v[0:1], v[9:10], v[11:12], v[0:1]
	s_cbranch_scc1 .LBB55_16
.LBB55_17:
	v_add_nc_u32_e32 v2, v6, v8
	s_barrier
	buffer_gl0_inv
	v_ashrrev_i32_e32 v3, 31, v2
	s_delay_alu instid0(VALU_DEP_1) | instskip(NEXT) | instid1(VALU_DEP_1)
	v_lshlrev_b64 v[2:3], 3, v[2:3]
	v_add_co_u32 v2, vcc_lo, s0, v2
	s_delay_alu instid0(VALU_DEP_2)
	v_add_co_ci_u32_e32 v3, vcc_lo, s1, v3, vcc_lo
	global_store_b64 v[2:3], v[0:1], off
	s_nop 0
	s_sendmsg sendmsg(MSG_DEALLOC_VGPRS)
	s_endpgm
	.section	.rodata,"a",@progbits
	.p2align	6, 0x0
	.amdhsa_kernel _ZN9rocsolver6v33100L21syevj_offd_rotate_orgILb1EddPdEEvbiiT2_iilPT0_PiS6_S6_
		.amdhsa_group_segment_fixed_size 0
		.amdhsa_private_segment_fixed_size 0
		.amdhsa_kernarg_size 328
		.amdhsa_user_sgpr_count 13
		.amdhsa_user_sgpr_dispatch_ptr 0
		.amdhsa_user_sgpr_queue_ptr 0
		.amdhsa_user_sgpr_kernarg_segment_ptr 1
		.amdhsa_user_sgpr_dispatch_id 0
		.amdhsa_user_sgpr_private_segment_size 0
		.amdhsa_wavefront_size32 1
		.amdhsa_uses_dynamic_stack 0
		.amdhsa_enable_private_segment 0
		.amdhsa_system_sgpr_workgroup_id_x 1
		.amdhsa_system_sgpr_workgroup_id_y 1
		.amdhsa_system_sgpr_workgroup_id_z 1
		.amdhsa_system_sgpr_workgroup_info 0
		.amdhsa_system_vgpr_workitem_id 1
		.amdhsa_next_free_vgpr 14
		.amdhsa_next_free_sgpr 19
		.amdhsa_reserve_vcc 1
		.amdhsa_float_round_mode_32 0
		.amdhsa_float_round_mode_16_64 0
		.amdhsa_float_denorm_mode_32 3
		.amdhsa_float_denorm_mode_16_64 3
		.amdhsa_dx10_clamp 1
		.amdhsa_ieee_mode 1
		.amdhsa_fp16_overflow 0
		.amdhsa_workgroup_processor_mode 1
		.amdhsa_memory_ordered 1
		.amdhsa_forward_progress 0
		.amdhsa_shared_vgpr_count 0
		.amdhsa_exception_fp_ieee_invalid_op 0
		.amdhsa_exception_fp_denorm_src 0
		.amdhsa_exception_fp_ieee_div_zero 0
		.amdhsa_exception_fp_ieee_overflow 0
		.amdhsa_exception_fp_ieee_underflow 0
		.amdhsa_exception_fp_ieee_inexact 0
		.amdhsa_exception_int_div_zero 0
	.end_amdhsa_kernel
	.section	.text._ZN9rocsolver6v33100L21syevj_offd_rotate_orgILb1EddPdEEvbiiT2_iilPT0_PiS6_S6_,"axG",@progbits,_ZN9rocsolver6v33100L21syevj_offd_rotate_orgILb1EddPdEEvbiiT2_iilPT0_PiS6_S6_,comdat
.Lfunc_end55:
	.size	_ZN9rocsolver6v33100L21syevj_offd_rotate_orgILb1EddPdEEvbiiT2_iilPT0_PiS6_S6_, .Lfunc_end55-_ZN9rocsolver6v33100L21syevj_offd_rotate_orgILb1EddPdEEvbiiT2_iilPT0_PiS6_S6_
                                        ; -- End function
	.section	.AMDGPU.csdata,"",@progbits
; Kernel info:
; codeLenInByte = 888
; NumSgprs: 21
; NumVgprs: 14
; ScratchSize: 0
; MemoryBound: 0
; FloatMode: 240
; IeeeMode: 1
; LDSByteSize: 0 bytes/workgroup (compile time only)
; SGPRBlocks: 2
; VGPRBlocks: 1
; NumSGPRsForWavesPerEU: 21
; NumVGPRsForWavesPerEU: 14
; Occupancy: 16
; WaveLimiterHint : 0
; COMPUTE_PGM_RSRC2:SCRATCH_EN: 0
; COMPUTE_PGM_RSRC2:USER_SGPR: 13
; COMPUTE_PGM_RSRC2:TRAP_HANDLER: 0
; COMPUTE_PGM_RSRC2:TGID_X_EN: 1
; COMPUTE_PGM_RSRC2:TGID_Y_EN: 1
; COMPUTE_PGM_RSRC2:TGID_Z_EN: 1
; COMPUTE_PGM_RSRC2:TIDIG_COMP_CNT: 1
	.section	.text._ZN9rocsolver6v33100L17syevj_offd_rotateILb1EddPdEEvbiiT2_iilPT0_PiS6_S6_i,"axG",@progbits,_ZN9rocsolver6v33100L17syevj_offd_rotateILb1EddPdEEvbiiT2_iilPT0_PiS6_S6_i,comdat
	.globl	_ZN9rocsolver6v33100L17syevj_offd_rotateILb1EddPdEEvbiiT2_iilPT0_PiS6_S6_i ; -- Begin function _ZN9rocsolver6v33100L17syevj_offd_rotateILb1EddPdEEvbiiT2_iilPT0_PiS6_S6_i
	.p2align	8
	.type	_ZN9rocsolver6v33100L17syevj_offd_rotateILb1EddPdEEvbiiT2_iilPT0_PiS6_S6_i,@function
_ZN9rocsolver6v33100L17syevj_offd_rotateILb1EddPdEEvbiiT2_iilPT0_PiS6_S6_i: ; @_ZN9rocsolver6v33100L17syevj_offd_rotateILb1EddPdEEvbiiT2_iilPT0_PiS6_S6_i
; %bb.0:
	s_clause 0x1
	s_load_b128 s[16:19], s[0:1], 0x0
	s_load_b32 s3, s[0:1], 0x48
	s_waitcnt lgkmcnt(0)
	s_abs_i32 s2, s17
	s_cmp_ge_u32 s15, s3
	v_cvt_f32_u32_e32 v1, s2
	s_delay_alu instid0(VALU_DEP_1) | instskip(SKIP_2) | instid1(VALU_DEP_1)
	v_rcp_iflag_f32_e32 v1, v1
	s_waitcnt_depctr 0xfff
	v_mul_f32_e32 v1, 0x4f7ffffe, v1
	v_cvt_u32_f32_e32 v1, v1
	s_delay_alu instid0(VALU_DEP_1)
	v_readfirstlane_b32 s4, v1
	s_cbranch_scc1 .LBB56_35
; %bb.1:
	s_sub_i32 s6, 0, s2
	s_add_i32 s5, s18, -1
	s_delay_alu instid0(VALU_DEP_1)
	s_mul_i32 s6, s6, s4
	s_ashr_i32 s7, s5, 31
	s_mul_hi_u32 s6, s4, s6
	s_ashr_i32 s8, s17, 31
	s_abs_i32 s5, s5
	s_add_i32 s4, s4, s6
	s_bitcmp1_b32 s16, 0
	s_mul_hi_u32 s4, s5, s4
	s_cselect_b32 s6, -1, 0
	s_xor_b32 s7, s7, s8
	v_cndmask_b32_e64 v7, 0, 1, s6
	s_xor_b32 s12, s6, -1
	s_mul_i32 s6, s4, s2
	s_mov_b32 s24, s15
	s_sub_i32 s5, s5, s6
	s_add_i32 s6, s4, 1
	s_sub_i32 s8, s5, s2
	s_cmp_ge_u32 s5, s2
	s_clause 0x1
	s_load_b128 s[20:23], s[0:1], 0x50
	s_load_b64 s[40:41], s[0:1], 0x40
	s_cselect_b32 s4, s6, s4
	s_cselect_b32 s5, s8, s5
	s_add_i32 s6, s4, 1
	s_cmp_ge_u32 s5, s2
	s_load_b128 s[44:47], s[0:1], 0x10
	s_cselect_b32 s2, s6, s4
	s_lshl_b32 s27, s17, 1
	s_xor_b32 s2, s2, s7
	v_and_b32_e32 v1, 0x3ff, v0
	s_sub_i32 s15, s2, s7
	s_load_b256 s[4:11], s[0:1], 0x20
	s_add_i32 s16, s15, 1
	v_bfe_u32 v0, v0, 10, 10
	s_lshr_b32 s2, s16, 31
	v_mov_b32_e32 v3, 0
	s_add_i32 s2, s16, s2
	s_mov_b32 s19, 0
	s_and_b32 s0, s2, -2
	s_waitcnt lgkmcnt(0)
	s_lshr_b32 s26, s23, 16
	s_sub_i32 s0, s16, s0
	s_and_b32 s23, s23, 0xffff
	s_add_i32 s0, s0, s16
	v_mad_u32_u24 v8, v0, s23, v1
	s_lshr_b32 s1, s0, 31
	s_mov_b32 s42, s46
	s_add_i32 s0, s0, s1
	s_mul_i32 s1, s27, s17
	s_ashr_i32 s28, s0, 1
	s_lshl_b32 s0, s1, 3
	s_mul_i32 s2, s1, 3
	s_add_i32 s29, s0, 0
	s_mov_b64 s[0:1], src_shared_base
	s_cmpk_lt_u32 s2, 0x2001
	s_mov_b32 s30, s1
	s_mul_i32 s1, s17, s17
	s_cselect_b32 s31, -1, 0
	s_ashr_i32 s43, s46, 31
	s_lshl_b32 s33, s1, 2
	s_cmp_lt_u32 s13, s28
	s_mul_i32 s0, s15, s17
	s_cselect_b32 s34, -1, 0
	s_sub_i32 s35, s18, s0
	s_cmp_lt_u32 s14, s16
	v_lshlrev_b32_e32 v2, 3, v8
	s_cselect_b32 s37, -1, 0
	s_ashr_i32 s38, s47, 31
	s_add_u32 s39, s40, 4
	s_addc_u32 s40, s41, 0
	s_lshl_b64 s[42:43], s[42:43], 3
	v_cmp_gt_u32_e64 s0, s33, v8
	s_add_u32 s41, s44, s42
	s_addc_u32 s42, s45, s43
	s_lshl_b32 s1, s1, 4
	v_lshlrev_b32_e32 v10, 3, v0
	v_add3_u32 v9, 0, s1, v2
	s_mul_i32 s36, s26, s23
	s_mov_b32 s43, s47
	s_lshl_b32 s44, s36, 3
	s_lshl_b32 s45, s26, 3
	;; [unrolled: 1-line block ×3, first 2 shown]
	s_branch .LBB56_3
.LBB56_2:                               ;   in Loop: Header=BB56_3 Depth=1
	s_add_i32 s24, s24, s22
	s_delay_alu instid0(SALU_CYCLE_1)
	s_cmp_ge_u32 s24, s3
	s_cbranch_scc1 .LBB56_35
.LBB56_3:                               ; =>This Loop Header: Depth=1
                                        ;     Child Loop BB56_7 Depth 2
                                        ;       Child Loop BB56_11 Depth 3
                                        ;       Child Loop BB56_17 Depth 3
                                        ;         Child Loop BB56_23 Depth 4
                                        ;           Child Loop BB56_25 Depth 5
                                        ;         Child Loop BB56_29 Depth 4
                                        ;           Child Loop BB56_32 Depth 5
                                        ;             Child Loop BB56_34 Depth 6
	s_mov_b32 s25, s19
	s_delay_alu instid0(SALU_CYCLE_1) | instskip(NEXT) | instid1(SALU_CYCLE_1)
	s_lshl_b64 s[48:49], s[24:25], 2
	s_add_u32 s48, s39, s48
	s_addc_u32 s49, s40, s49
	s_load_b32 s1, s[48:49], 0x0
	s_waitcnt lgkmcnt(0)
	s_cmp_lg_u32 s1, 0
	s_cbranch_scc1 .LBB56_2
; %bb.4:                                ;   in Loop: Header=BB56_3 Depth=1
	s_and_not1_b32 vcc_lo, exec_lo, s34
	s_cbranch_vccnz .LBB56_2
; %bb.5:                                ;   in Loop: Header=BB56_3 Depth=1
	s_mul_i32 s1, s24, s5
	s_mul_hi_u32 s2, s24, s4
	s_mul_i32 s48, s24, s4
	s_add_i32 s49, s2, s1
	s_mul_i32 s25, s24, s28
	s_lshl_b64 s[48:49], s[48:49], 3
	s_mov_b32 s18, s13
	s_add_u32 s47, s41, s48
	s_addc_u32 s48, s42, s49
	s_branch .LBB56_7
.LBB56_6:                               ;   in Loop: Header=BB56_7 Depth=2
	s_add_i32 s18, s18, s20
	s_delay_alu instid0(SALU_CYCLE_1)
	s_cmp_lt_u32 s18, s28
	s_cbranch_scc0 .LBB56_2
.LBB56_7:                               ;   Parent Loop BB56_3 Depth=1
                                        ; =>  This Loop Header: Depth=2
                                        ;       Child Loop BB56_11 Depth 3
                                        ;       Child Loop BB56_17 Depth 3
                                        ;         Child Loop BB56_23 Depth 4
                                        ;           Child Loop BB56_25 Depth 5
                                        ;         Child Loop BB56_29 Depth 4
                                        ;           Child Loop BB56_32 Depth 5
                                        ;             Child Loop BB56_34 Depth 6
	s_lshl_b64 s[50:51], s[18:19], 2
	s_delay_alu instid0(SALU_CYCLE_1)
	s_add_u32 s52, s8, s50
	s_addc_u32 s53, s9, s51
	s_add_u32 s50, s10, s50
	s_addc_u32 s51, s11, s51
	s_clause 0x1
	global_load_b32 v2, v3, s[50:51]
	global_load_b32 v4, v3, s[52:53]
	s_waitcnt vmcnt(1)
	v_readfirstlane_b32 s50, v2
	s_waitcnt vmcnt(0)
	v_readfirstlane_b32 s51, v4
	s_delay_alu instid0(VALU_DEP_1) | instskip(NEXT) | instid1(SALU_CYCLE_1)
	s_max_i32 s49, s51, s50
	s_cmp_gt_i32 s49, s15
	s_cbranch_scc1 .LBB56_6
; %bb.8:                                ;   in Loop: Header=BB56_7 Depth=2
	s_add_i32 s1, s18, s25
	s_mov_b32 s53, s19
	s_mul_i32 s52, s33, s1
	s_delay_alu instid0(SALU_CYCLE_1) | instskip(NEXT) | instid1(SALU_CYCLE_1)
	s_lshl_b64 s[52:53], s[52:53], 3
	s_add_u32 s1, s6, s52
	s_addc_u32 s2, s7, s53
	s_and_not1_b32 vcc_lo, exec_lo, s31
	s_cbranch_vccnz .LBB56_13
; %bb.9:                                ;   in Loop: Header=BB56_7 Depth=2
	s_barrier
	buffer_gl0_inv
	s_and_saveexec_b32 s52, s0
	s_cbranch_execz .LBB56_12
; %bb.10:                               ;   in Loop: Header=BB56_7 Depth=2
	v_mov_b32_e32 v4, v9
	v_mov_b32_e32 v2, v8
	s_mov_b32 s53, 0
.LBB56_11:                              ;   Parent Loop BB56_3 Depth=1
                                        ;     Parent Loop BB56_7 Depth=2
                                        ; =>    This Inner Loop Header: Depth=3
	s_delay_alu instid0(VALU_DEP_1) | instskip(SKIP_1) | instid1(VALU_DEP_2)
	v_lshlrev_b64 v[5:6], 3, v[2:3]
	v_add_nc_u32_e32 v2, s36, v2
	v_add_co_u32 v5, vcc_lo, s1, v5
	s_delay_alu instid0(VALU_DEP_3) | instskip(NEXT) | instid1(VALU_DEP_3)
	v_add_co_ci_u32_e32 v6, vcc_lo, s2, v6, vcc_lo
	v_cmp_le_u32_e32 vcc_lo, s33, v2
	global_load_b64 v[5:6], v[5:6], off
	s_or_b32 s53, vcc_lo, s53
	s_waitcnt vmcnt(0)
	ds_store_b64 v4, v[5:6]
	v_add_nc_u32_e32 v4, s44, v4
	s_and_not1_b32 exec_lo, exec_lo, s53
	s_cbranch_execnz .LBB56_11
.LBB56_12:                              ;   in Loop: Header=BB56_7 Depth=2
	s_or_b32 exec_lo, exec_lo, s52
	s_waitcnt lgkmcnt(0)
	s_barrier
	buffer_gl0_inv
.LBB56_13:                              ;   in Loop: Header=BB56_7 Depth=2
	s_and_not1_b32 vcc_lo, exec_lo, s37
	s_cbranch_vccnz .LBB56_6
; %bb.14:                               ;   in Loop: Header=BB56_7 Depth=2
	s_min_i32 s50, s50, s51
	s_mov_b32 s56, s19
	s_cmp_eq_u32 s15, s50
	s_mul_i32 s55, s49, s17
	s_cselect_b32 s51, s35, s17
	s_cmp_eq_u32 s15, s49
	s_mov_b32 s59, s14
	s_cselect_b32 s52, s35, s17
	s_delay_alu instid0(SALU_CYCLE_1)
	s_add_i32 s52, s51, s52
	s_and_b32 s53, s31, exec_lo
	v_mad_u64_u32 v[11:12], null, v0, s52, v[1:2]
	v_mad_u64_u32 v[4:5], null, v10, s52, s[56:57]
	s_cselect_b32 s53, s30, s2
	s_cselect_b32 s54, s29, s1
	v_cmp_gt_u32_e64 s1, s52, v1
	s_sub_i32 s55, s55, s51
	s_delay_alu instid0(VALU_DEP_3)
	v_lshl_add_u32 v11, v11, 3, 0
	s_cmp_gt_i32 s52, 0
	s_mul_i32 s57, s50, s17
	s_cselect_b32 s56, -1, 0
	s_mul_i32 s58, s45, s52
	s_branch .LBB56_17
.LBB56_15:                              ;   in Loop: Header=BB56_17 Depth=3
	s_or_b32 exec_lo, exec_lo, s62
	s_waitcnt_vscnt null, 0x0
	s_barrier
	buffer_gl0_inv
.LBB56_16:                              ;   in Loop: Header=BB56_17 Depth=3
	s_add_i32 s59, s59, s21
	s_delay_alu instid0(SALU_CYCLE_1)
	s_cmp_lt_u32 s59, s16
	s_cbranch_scc0 .LBB56_6
.LBB56_17:                              ;   Parent Loop BB56_3 Depth=1
                                        ;     Parent Loop BB56_7 Depth=2
                                        ; =>    This Loop Header: Depth=3
                                        ;         Child Loop BB56_23 Depth 4
                                        ;           Child Loop BB56_25 Depth 5
                                        ;         Child Loop BB56_29 Depth 4
                                        ;           Child Loop BB56_32 Depth 5
                                        ;             Child Loop BB56_34 Depth 6
	v_cmp_ne_u32_e32 vcc_lo, 1, v7
	s_mov_b32 s2, s12
	s_cbranch_vccz .LBB56_19
; %bb.18:                               ;   in Loop: Header=BB56_17 Depth=3
	s_and_not1_b32 vcc_lo, exec_lo, s2
	s_cbranch_vccnz .LBB56_16
	s_branch .LBB56_20
.LBB56_19:                              ;   in Loop: Header=BB56_17 Depth=3
	s_cmp_lg_u32 s59, s50
	s_cselect_b32 s2, -1, 0
	s_cmp_lg_u32 s59, s49
	s_cselect_b32 s60, -1, 0
	s_delay_alu instid0(SALU_CYCLE_1) | instskip(NEXT) | instid1(SALU_CYCLE_1)
	s_and_b32 s2, s2, s60
	s_and_not1_b32 vcc_lo, exec_lo, s2
	s_cbranch_vccnz .LBB56_16
.LBB56_20:                              ;   in Loop: Header=BB56_17 Depth=3
	s_cmp_eq_u32 s15, s59
	s_mul_i32 s61, s59, s17
	s_cselect_b32 s60, s35, s17
	s_delay_alu instid0(SALU_CYCLE_1)
	v_cmp_gt_u32_e32 vcc_lo, s60, v0
	s_barrier
	buffer_gl0_inv
	s_and_saveexec_b32 s62, vcc_lo
	s_cbranch_execz .LBB56_26
; %bb.21:                               ;   in Loop: Header=BB56_17 Depth=3
	v_dual_mov_b32 v5, v11 :: v_dual_mov_b32 v6, v0
	s_mov_b32 s63, 0
	s_branch .LBB56_23
.LBB56_22:                              ;   in Loop: Header=BB56_23 Depth=4
	s_or_b32 exec_lo, exec_lo, s64
	v_add_nc_u32_e32 v6, s26, v6
	v_add_nc_u32_e32 v5, s58, v5
	s_delay_alu instid0(VALU_DEP_2) | instskip(NEXT) | instid1(VALU_DEP_1)
	v_cmp_le_u32_e64 s2, s60, v6
	s_or_b32 s63, s2, s63
	s_delay_alu instid0(SALU_CYCLE_1)
	s_and_not1_b32 exec_lo, exec_lo, s63
	s_cbranch_execz .LBB56_26
.LBB56_23:                              ;   Parent Loop BB56_3 Depth=1
                                        ;     Parent Loop BB56_7 Depth=2
                                        ;       Parent Loop BB56_17 Depth=3
                                        ; =>      This Loop Header: Depth=4
                                        ;           Child Loop BB56_25 Depth 5
	s_and_saveexec_b32 s64, s1
	s_cbranch_execz .LBB56_22
; %bb.24:                               ;   in Loop: Header=BB56_23 Depth=4
	v_add_nc_u32_e32 v15, s61, v6
	s_mov_b32 s65, 0
	s_delay_alu instid0(VALU_DEP_1) | instskip(NEXT) | instid1(VALU_DEP_1)
	v_mad_u64_u32 v[12:13], null, v15, s43, 0
	v_mov_b32_e32 v2, v13
	s_delay_alu instid0(VALU_DEP_1) | instskip(SKIP_1) | instid1(VALU_DEP_2)
	v_mad_u64_u32 v[13:14], null, v15, s38, v[2:3]
	v_mov_b32_e32 v15, v1
	v_lshlrev_b64 v[13:14], 3, v[12:13]
	v_mov_b32_e32 v12, v5
	s_delay_alu instid0(VALU_DEP_2) | instskip(NEXT) | instid1(VALU_DEP_1)
	v_add_co_u32 v13, s2, s47, v13
	v_add_co_ci_u32_e64 v14, s2, s48, v14, s2
	.p2align	6
.LBB56_25:                              ;   Parent Loop BB56_3 Depth=1
                                        ;     Parent Loop BB56_7 Depth=2
                                        ;       Parent Loop BB56_17 Depth=3
                                        ;         Parent Loop BB56_23 Depth=4
                                        ; =>        This Inner Loop Header: Depth=5
	v_mov_b32_e32 v2, s57
	v_cmp_gt_u32_e64 s2, s51, v15
	s_delay_alu instid0(VALU_DEP_1) | instskip(NEXT) | instid1(VALU_DEP_1)
	v_cndmask_b32_e64 v2, s55, v2, s2
	v_add_nc_u32_e32 v2, v2, v15
	v_add_nc_u32_e32 v15, s23, v15
	s_delay_alu instid0(VALU_DEP_2) | instskip(NEXT) | instid1(VALU_DEP_1)
	v_lshlrev_b64 v[16:17], 3, v[2:3]
	v_add_co_u32 v16, s2, v13, v16
	s_delay_alu instid0(VALU_DEP_1) | instskip(NEXT) | instid1(VALU_DEP_4)
	v_add_co_ci_u32_e64 v17, s2, v14, v17, s2
	v_cmp_le_u32_e64 s2, s52, v15
	global_load_b64 v[16:17], v[16:17], off
	s_or_b32 s65, s2, s65
	s_waitcnt vmcnt(0)
	ds_store_b64 v12, v[16:17]
	v_add_nc_u32_e32 v12, s46, v12
	s_and_not1_b32 exec_lo, exec_lo, s65
	s_cbranch_execnz .LBB56_25
	s_branch .LBB56_22
.LBB56_26:                              ;   in Loop: Header=BB56_17 Depth=3
	s_or_b32 exec_lo, exec_lo, s62
	s_waitcnt lgkmcnt(0)
	s_barrier
	buffer_gl0_inv
	s_and_saveexec_b32 s62, vcc_lo
	s_cbranch_execz .LBB56_15
; %bb.27:                               ;   in Loop: Header=BB56_17 Depth=3
	v_mov_b32_e32 v12, v4
	v_mov_b32_e32 v13, v0
	s_mov_b32 s63, 0
	s_branch .LBB56_29
.LBB56_28:                              ;   in Loop: Header=BB56_29 Depth=4
	s_set_inst_prefetch_distance 0x2
	s_or_b32 exec_lo, exec_lo, s64
	v_add_nc_u32_e32 v13, s26, v13
	v_add_nc_u32_e32 v12, s58, v12
	s_delay_alu instid0(VALU_DEP_2) | instskip(SKIP_1) | instid1(SALU_CYCLE_1)
	v_cmp_le_u32_e32 vcc_lo, s60, v13
	s_or_b32 s63, vcc_lo, s63
	s_and_not1_b32 exec_lo, exec_lo, s63
	s_cbranch_execz .LBB56_15
.LBB56_29:                              ;   Parent Loop BB56_3 Depth=1
                                        ;     Parent Loop BB56_7 Depth=2
                                        ;       Parent Loop BB56_17 Depth=3
                                        ; =>      This Loop Header: Depth=4
                                        ;           Child Loop BB56_32 Depth 5
                                        ;             Child Loop BB56_34 Depth 6
	s_and_saveexec_b32 s64, s1
	s_cbranch_execz .LBB56_28
; %bb.30:                               ;   in Loop: Header=BB56_29 Depth=4
	v_add_nc_u32_e32 v16, s61, v13
	s_mov_b32 s65, 0
	s_delay_alu instid0(VALU_DEP_1) | instskip(NEXT) | instid1(VALU_DEP_1)
	v_mad_u64_u32 v[5:6], null, v16, s43, 0
	v_mov_b32_e32 v2, v6
	s_delay_alu instid0(VALU_DEP_1) | instskip(SKIP_1) | instid1(VALU_DEP_2)
	v_mad_u64_u32 v[14:15], null, v16, s38, v[2:3]
	v_mov_b32_e32 v16, v1
	v_mov_b32_e32 v6, v14
	s_delay_alu instid0(VALU_DEP_1) | instskip(NEXT) | instid1(VALU_DEP_1)
	v_lshlrev_b64 v[5:6], 3, v[5:6]
	v_add_co_u32 v14, vcc_lo, s47, v5
	s_delay_alu instid0(VALU_DEP_2)
	v_add_co_ci_u32_e32 v15, vcc_lo, s48, v6, vcc_lo
	s_set_inst_prefetch_distance 0x1
	s_branch .LBB56_32
	.p2align	6
.LBB56_31:                              ;   in Loop: Header=BB56_32 Depth=5
	v_mov_b32_e32 v2, s57
	v_cmp_gt_u32_e32 vcc_lo, s51, v16
	s_delay_alu instid0(VALU_DEP_2) | instskip(NEXT) | instid1(VALU_DEP_1)
	v_cndmask_b32_e32 v2, s55, v2, vcc_lo
	v_add_nc_u32_e32 v2, v16, v2
	v_add_nc_u32_e32 v16, s23, v16
	s_delay_alu instid0(VALU_DEP_2) | instskip(NEXT) | instid1(VALU_DEP_2)
	v_lshlrev_b64 v[17:18], 3, v[2:3]
	v_cmp_le_u32_e32 vcc_lo, s52, v16
	s_or_b32 s65, vcc_lo, s65
	s_delay_alu instid0(VALU_DEP_2) | instskip(NEXT) | instid1(VALU_DEP_1)
	v_add_co_u32 v17, s2, v14, v17
	v_add_co_ci_u32_e64 v18, s2, v15, v18, s2
	global_store_b64 v[17:18], v[5:6], off
	s_and_not1_b32 exec_lo, exec_lo, s65
	s_cbranch_execz .LBB56_28
.LBB56_32:                              ;   Parent Loop BB56_3 Depth=1
                                        ;     Parent Loop BB56_7 Depth=2
                                        ;       Parent Loop BB56_17 Depth=3
                                        ;         Parent Loop BB56_29 Depth=4
                                        ; =>        This Loop Header: Depth=5
                                        ;             Child Loop BB56_34 Depth 6
	v_mov_b32_e32 v5, 0
	v_mov_b32_e32 v6, 0
	s_and_not1_b32 vcc_lo, exec_lo, s56
	s_cbranch_vccnz .LBB56_31
; %bb.33:                               ;   in Loop: Header=BB56_32 Depth=5
	v_mov_b32_e32 v17, v12
	v_mov_b32_e32 v2, v16
	s_mov_b32 s2, s52
	.p2align	6
.LBB56_34:                              ;   Parent Loop BB56_3 Depth=1
                                        ;     Parent Loop BB56_7 Depth=2
                                        ;       Parent Loop BB56_17 Depth=3
                                        ;         Parent Loop BB56_29 Depth=4
                                        ;           Parent Loop BB56_32 Depth=5
                                        ; =>          This Inner Loop Header: Depth=6
	s_delay_alu instid0(VALU_DEP_1) | instskip(SKIP_4) | instid1(SALU_CYCLE_1)
	v_lshlrev_b64 v[18:19], 3, v[2:3]
	ds_load_b64 v[20:21], v17
	v_add_nc_u32_e32 v2, s27, v2
	v_add_nc_u32_e32 v17, 8, v17
	s_add_i32 s2, s2, -1
	s_cmp_eq_u32 s2, 0
	v_add_co_u32 v18, vcc_lo, s54, v18
	v_add_co_ci_u32_e32 v19, vcc_lo, s53, v19, vcc_lo
	flat_load_b64 v[18:19], v[18:19]
	s_waitcnt vmcnt(0) lgkmcnt(0)
	v_fma_f64 v[5:6], v[18:19], v[20:21], v[5:6]
	s_cbranch_scc0 .LBB56_34
	s_branch .LBB56_31
.LBB56_35:
	s_endpgm
	.section	.rodata,"a",@progbits
	.p2align	6, 0x0
	.amdhsa_kernel _ZN9rocsolver6v33100L17syevj_offd_rotateILb1EddPdEEvbiiT2_iilPT0_PiS6_S6_i
		.amdhsa_group_segment_fixed_size 0
		.amdhsa_private_segment_fixed_size 0
		.amdhsa_kernarg_size 336
		.amdhsa_user_sgpr_count 13
		.amdhsa_user_sgpr_dispatch_ptr 0
		.amdhsa_user_sgpr_queue_ptr 0
		.amdhsa_user_sgpr_kernarg_segment_ptr 1
		.amdhsa_user_sgpr_dispatch_id 0
		.amdhsa_user_sgpr_private_segment_size 0
		.amdhsa_wavefront_size32 1
		.amdhsa_uses_dynamic_stack 0
		.amdhsa_enable_private_segment 0
		.amdhsa_system_sgpr_workgroup_id_x 1
		.amdhsa_system_sgpr_workgroup_id_y 1
		.amdhsa_system_sgpr_workgroup_id_z 1
		.amdhsa_system_sgpr_workgroup_info 0
		.amdhsa_system_vgpr_workitem_id 1
		.amdhsa_next_free_vgpr 22
		.amdhsa_next_free_sgpr 66
		.amdhsa_reserve_vcc 1
		.amdhsa_float_round_mode_32 0
		.amdhsa_float_round_mode_16_64 0
		.amdhsa_float_denorm_mode_32 3
		.amdhsa_float_denorm_mode_16_64 3
		.amdhsa_dx10_clamp 1
		.amdhsa_ieee_mode 1
		.amdhsa_fp16_overflow 0
		.amdhsa_workgroup_processor_mode 1
		.amdhsa_memory_ordered 1
		.amdhsa_forward_progress 0
		.amdhsa_shared_vgpr_count 0
		.amdhsa_exception_fp_ieee_invalid_op 0
		.amdhsa_exception_fp_denorm_src 0
		.amdhsa_exception_fp_ieee_div_zero 0
		.amdhsa_exception_fp_ieee_overflow 0
		.amdhsa_exception_fp_ieee_underflow 0
		.amdhsa_exception_fp_ieee_inexact 0
		.amdhsa_exception_int_div_zero 0
	.end_amdhsa_kernel
	.section	.text._ZN9rocsolver6v33100L17syevj_offd_rotateILb1EddPdEEvbiiT2_iilPT0_PiS6_S6_i,"axG",@progbits,_ZN9rocsolver6v33100L17syevj_offd_rotateILb1EddPdEEvbiiT2_iilPT0_PiS6_S6_i,comdat
.Lfunc_end56:
	.size	_ZN9rocsolver6v33100L17syevj_offd_rotateILb1EddPdEEvbiiT2_iilPT0_PiS6_S6_i, .Lfunc_end56-_ZN9rocsolver6v33100L17syevj_offd_rotateILb1EddPdEEvbiiT2_iilPT0_PiS6_S6_i
                                        ; -- End function
	.section	.AMDGPU.csdata,"",@progbits
; Kernel info:
; codeLenInByte = 1672
; NumSgprs: 68
; NumVgprs: 22
; ScratchSize: 0
; MemoryBound: 0
; FloatMode: 240
; IeeeMode: 1
; LDSByteSize: 0 bytes/workgroup (compile time only)
; SGPRBlocks: 8
; VGPRBlocks: 2
; NumSGPRsForWavesPerEU: 68
; NumVGPRsForWavesPerEU: 22
; Occupancy: 16
; WaveLimiterHint : 1
; COMPUTE_PGM_RSRC2:SCRATCH_EN: 0
; COMPUTE_PGM_RSRC2:USER_SGPR: 13
; COMPUTE_PGM_RSRC2:TRAP_HANDLER: 0
; COMPUTE_PGM_RSRC2:TGID_X_EN: 1
; COMPUTE_PGM_RSRC2:TGID_Y_EN: 1
; COMPUTE_PGM_RSRC2:TGID_Z_EN: 1
; COMPUTE_PGM_RSRC2:TIDIG_COMP_CNT: 1
	.section	.text._ZN9rocsolver6v33100L17syevj_cycle_pairsIdEEviPiS2_,"axG",@progbits,_ZN9rocsolver6v33100L17syevj_cycle_pairsIdEEviPiS2_,comdat
	.globl	_ZN9rocsolver6v33100L17syevj_cycle_pairsIdEEviPiS2_ ; -- Begin function _ZN9rocsolver6v33100L17syevj_cycle_pairsIdEEviPiS2_
	.p2align	8
	.type	_ZN9rocsolver6v33100L17syevj_cycle_pairsIdEEviPiS2_,@function
_ZN9rocsolver6v33100L17syevj_cycle_pairsIdEEviPiS2_: ; @_ZN9rocsolver6v33100L17syevj_cycle_pairsIdEEviPiS2_
; %bb.0:
	s_clause 0x2
	s_load_b32 s2, s[0:1], 0x0
	s_load_b128 s[4:7], s[0:1], 0x8
	s_load_b32 s0, s[0:1], 0x24
	s_mov_b32 s8, -1
	s_mov_b32 s3, exec_lo
	s_waitcnt lgkmcnt(0)
	s_add_i32 s1, s2, -1
	v_cmpx_eq_u32_e32 0, v0
	s_cbranch_execz .LBB57_6
; %bb.1:
	s_lshl_b32 s9, s1, 1
	s_bfe_i32 s11, s1, 0x1001e
	s_or_b32 s10, s9, 1
	s_delay_alu instid0(SALU_CYCLE_1) | instskip(NEXT) | instid1(SALU_CYCLE_1)
	s_add_i32 s12, s10, s11
	s_xor_b32 s11, s12, s11
	s_load_b32 s12, s[6:7], 0x0
	v_cvt_f32_u32_e32 v1, s11
	s_sub_i32 s14, 0, s11
	s_delay_alu instid0(VALU_DEP_1) | instskip(SKIP_4) | instid1(VALU_DEP_1)
	v_rcp_iflag_f32_e32 v1, v1
	s_waitcnt_depctr 0xfff
	v_mul_f32_e32 v1, 0x4f7ffffe, v1
	s_waitcnt lgkmcnt(0)
	s_add_i32 s12, s12, -1
	v_cvt_u32_f32_e32 v1, v1
	s_abs_i32 s15, s12
	s_ashr_i32 s12, s12, 31
	s_delay_alu instid0(VALU_DEP_1) | instskip(NEXT) | instid1(VALU_DEP_1)
	v_readfirstlane_b32 s13, v1
	s_mul_i32 s14, s14, s13
	s_delay_alu instid0(SALU_CYCLE_1) | instskip(NEXT) | instid1(SALU_CYCLE_1)
	s_mul_hi_u32 s14, s13, s14
	s_add_i32 s13, s13, s14
	s_delay_alu instid0(SALU_CYCLE_1) | instskip(NEXT) | instid1(SALU_CYCLE_1)
	s_mul_hi_u32 s13, s15, s13
	s_mul_i32 s13, s13, s11
	s_delay_alu instid0(SALU_CYCLE_1) | instskip(NEXT) | instid1(SALU_CYCLE_1)
	s_sub_i32 s13, s15, s13
	s_sub_i32 s14, s13, s11
	s_cmp_ge_u32 s13, s11
	s_cselect_b32 s13, s14, s13
	s_delay_alu instid0(SALU_CYCLE_1) | instskip(SKIP_2) | instid1(SALU_CYCLE_1)
	s_sub_i32 s14, s13, s11
	s_cmp_ge_u32 s13, s11
	s_cselect_b32 s11, s14, s13
	s_xor_b32 s11, s11, s12
	s_delay_alu instid0(SALU_CYCLE_1) | instskip(NEXT) | instid1(SALU_CYCLE_1)
	s_sub_i32 s11, s11, s12
                                        ; implicit-def: $sgpr12
	s_bitcmp0_b32 s11, 0
	s_cbranch_scc1 .LBB57_3
; %bb.2:
	s_add_i32 s8, s11, 3
	s_delay_alu instid0(SALU_CYCLE_1)
	s_cmp_gt_i32 s8, s9
	s_cselect_b32 s12, s10, s8
	s_mov_b32 s8, 0
.LBB57_3:
	s_delay_alu instid0(SALU_CYCLE_1)
	s_and_not1_b32 vcc_lo, exec_lo, s8
	s_cbranch_vccnz .LBB57_5
; %bb.4:
	s_add_i32 s8, s11, -1
	s_cmp_gt_i32 s11, 1
	s_cselect_b32 s12, s8, 2
.LBB57_5:
	s_delay_alu instid0(SALU_CYCLE_1)
	v_dual_mov_b32 v1, 0 :: v_dual_mov_b32 v2, s12
	global_store_b32 v1, v2, s[6:7]
.LBB57_6:
	s_or_b32 exec_lo, exec_lo, s3
	v_add_nc_u32_e32 v4, 1, v0
	s_mov_b32 s3, exec_lo
	s_delay_alu instid0(VALU_DEP_1)
	v_cmpx_gt_i32_e64 s2, v4
	s_cbranch_execz .LBB57_17
; %bb.7:
	s_lshl_b32 s1, s1, 1
	s_mov_b32 s9, 0
	s_or_b32 s3, s1, 1
	v_lshlrev_b32_e32 v0, 2, v0
	v_cvt_f32_u32_e32 v1, s3
	s_sub_i32 s8, 0, s3
	s_delay_alu instid0(VALU_DEP_1) | instskip(SKIP_2) | instid1(VALU_DEP_1)
	v_rcp_iflag_f32_e32 v1, v1
	s_waitcnt_depctr 0xfff
	v_mul_f32_e32 v1, 0x4f7ffffe, v1
	v_cvt_u32_f32_e32 v1, v1
	s_delay_alu instid0(VALU_DEP_1) | instskip(SKIP_1) | instid1(VALU_DEP_1)
	v_mul_lo_u32 v2, s8, v1
	v_add_co_u32 v6, s8, v0, 4
	v_add_co_ci_u32_e64 v7, null, 0, 0, s8
	s_and_b32 s8, 0xffff, s0
	s_delay_alu instid0(SALU_CYCLE_1) | instskip(NEXT) | instid1(VALU_DEP_3)
	s_lshl_b32 s10, s8, 2
	v_mul_hi_u32 v2, v1, v2
	s_delay_alu instid0(VALU_DEP_1)
	v_add_nc_u32_e32 v5, v1, v2
	s_branch .LBB57_9
.LBB57_8:                               ;   in Loop: Header=BB57_9 Depth=1
	s_or_b32 exec_lo, exec_lo, s0
	v_add_nc_u32_e32 v4, s8, v4
	v_add_co_u32 v6, s0, v6, s10
	s_delay_alu instid0(VALU_DEP_1) | instskip(NEXT) | instid1(VALU_DEP_3)
	v_add_co_ci_u32_e64 v7, s0, 0, v7, s0
	v_cmp_le_i32_e32 vcc_lo, s2, v4
	global_store_b32 v[0:1], v2, off
	s_or_b32 s9, vcc_lo, s9
	s_delay_alu instid0(SALU_CYCLE_1)
	s_and_not1_b32 exec_lo, exec_lo, s9
	s_cbranch_execz .LBB57_17
.LBB57_9:                               ; =>This Inner Loop Header: Depth=1
	v_add_co_u32 v2, vcc_lo, s4, v6
	v_add_co_ci_u32_e32 v3, vcc_lo, s5, v7, vcc_lo
	s_mov_b32 s0, exec_lo
	global_load_b32 v0, v[2:3], off
	s_waitcnt vmcnt(0)
	v_add_nc_u32_e32 v0, -1, v0
	s_delay_alu instid0(VALU_DEP_1) | instskip(NEXT) | instid1(VALU_DEP_1)
	v_sub_nc_u32_e32 v1, 0, v0
	v_max_i32_e32 v1, v0, v1
	v_ashrrev_i32_e32 v0, 31, v0
	s_delay_alu instid0(VALU_DEP_2) | instskip(NEXT) | instid1(VALU_DEP_1)
	v_mul_hi_u32 v8, v1, v5
	v_mul_lo_u32 v8, v8, s3
	s_delay_alu instid0(VALU_DEP_1) | instskip(NEXT) | instid1(VALU_DEP_1)
	v_sub_nc_u32_e32 v1, v1, v8
	v_subrev_nc_u32_e32 v8, s3, v1
	v_cmp_le_u32_e32 vcc_lo, s3, v1
	s_delay_alu instid0(VALU_DEP_2) | instskip(NEXT) | instid1(VALU_DEP_1)
	v_cndmask_b32_e32 v1, v1, v8, vcc_lo
	v_subrev_nc_u32_e32 v8, s3, v1
	v_cmp_le_u32_e32 vcc_lo, s3, v1
	s_delay_alu instid0(VALU_DEP_2) | instskip(NEXT) | instid1(VALU_DEP_1)
	v_cndmask_b32_e32 v1, v1, v8, vcc_lo
                                        ; implicit-def: $vgpr8
	v_xor_b32_e32 v1, v1, v0
	s_delay_alu instid0(VALU_DEP_1) | instskip(NEXT) | instid1(VALU_DEP_1)
	v_sub_nc_u32_e32 v0, v1, v0
	v_and_b32_e32 v1, 1, v0
	s_delay_alu instid0(VALU_DEP_1)
	v_cmpx_eq_u32_e32 1, v1
	s_xor_b32 s0, exec_lo, s0
; %bb.10:                               ;   in Loop: Header=BB57_9 Depth=1
	v_add_nc_u32_e32 v0, 3, v0
	s_delay_alu instid0(VALU_DEP_1)
	v_cmp_lt_i32_e32 vcc_lo, s1, v0
	v_cndmask_b32_e64 v8, v0, s3, vcc_lo
                                        ; implicit-def: $vgpr0
; %bb.11:                               ;   in Loop: Header=BB57_9 Depth=1
	s_and_not1_saveexec_b32 s0, s0
; %bb.12:                               ;   in Loop: Header=BB57_9 Depth=1
	v_add_nc_u32_e32 v1, -1, v0
	v_cmp_lt_i32_e32 vcc_lo, 1, v0
	s_delay_alu instid0(VALU_DEP_2)
	v_cndmask_b32_e32 v8, 2, v1, vcc_lo
; %bb.13:                               ;   in Loop: Header=BB57_9 Depth=1
	s_or_b32 exec_lo, exec_lo, s0
	v_add_co_u32 v0, vcc_lo, s6, v6
	v_add_co_ci_u32_e32 v1, vcc_lo, s7, v7, vcc_lo
	global_store_b32 v[2:3], v8, off
	global_load_b32 v2, v[0:1], off
	s_waitcnt vmcnt(0)
	v_add_nc_u32_e32 v2, -1, v2
	s_delay_alu instid0(VALU_DEP_1) | instskip(NEXT) | instid1(VALU_DEP_1)
	v_sub_nc_u32_e32 v3, 0, v2
	v_max_i32_e32 v3, v2, v3
	s_delay_alu instid0(VALU_DEP_1) | instskip(NEXT) | instid1(VALU_DEP_1)
	v_mul_hi_u32 v8, v3, v5
	v_mul_lo_u32 v8, v8, s3
	s_delay_alu instid0(VALU_DEP_1) | instskip(NEXT) | instid1(VALU_DEP_1)
	v_sub_nc_u32_e32 v3, v3, v8
	v_subrev_nc_u32_e32 v8, s3, v3
	v_cmp_le_u32_e32 vcc_lo, s3, v3
	s_delay_alu instid0(VALU_DEP_2) | instskip(SKIP_1) | instid1(VALU_DEP_2)
	v_cndmask_b32_e32 v3, v3, v8, vcc_lo
	v_ashrrev_i32_e32 v2, 31, v2
	v_subrev_nc_u32_e32 v8, s3, v3
	v_cmp_le_u32_e32 vcc_lo, s3, v3
	s_delay_alu instid0(VALU_DEP_2) | instskip(NEXT) | instid1(VALU_DEP_1)
	v_cndmask_b32_e32 v3, v3, v8, vcc_lo
	v_xor_b32_e32 v3, v3, v2
	s_delay_alu instid0(VALU_DEP_1) | instskip(NEXT) | instid1(VALU_DEP_1)
	v_sub_nc_u32_e32 v3, v3, v2
	v_and_b32_e32 v2, 1, v3
	s_delay_alu instid0(VALU_DEP_1) | instskip(SKIP_1) | instid1(SALU_CYCLE_1)
	v_cmp_eq_u32_e32 vcc_lo, 1, v2
                                        ; implicit-def: $vgpr2
	s_and_saveexec_b32 s0, vcc_lo
	s_xor_b32 s0, exec_lo, s0
; %bb.14:                               ;   in Loop: Header=BB57_9 Depth=1
	v_add_nc_u32_e32 v2, 3, v3
                                        ; implicit-def: $vgpr3
	s_delay_alu instid0(VALU_DEP_1)
	v_cmp_lt_i32_e32 vcc_lo, s1, v2
	v_cndmask_b32_e64 v2, v2, s3, vcc_lo
; %bb.15:                               ;   in Loop: Header=BB57_9 Depth=1
	s_and_not1_saveexec_b32 s0, s0
	s_cbranch_execz .LBB57_8
; %bb.16:                               ;   in Loop: Header=BB57_9 Depth=1
	v_add_nc_u32_e32 v2, -1, v3
	v_cmp_lt_i32_e32 vcc_lo, 1, v3
	s_delay_alu instid0(VALU_DEP_2)
	v_cndmask_b32_e32 v2, 2, v2, vcc_lo
	s_branch .LBB57_8
.LBB57_17:
	s_nop 0
	s_sendmsg sendmsg(MSG_DEALLOC_VGPRS)
	s_endpgm
	.section	.rodata,"a",@progbits
	.p2align	6, 0x0
	.amdhsa_kernel _ZN9rocsolver6v33100L17syevj_cycle_pairsIdEEviPiS2_
		.amdhsa_group_segment_fixed_size 0
		.amdhsa_private_segment_fixed_size 0
		.amdhsa_kernarg_size 280
		.amdhsa_user_sgpr_count 15
		.amdhsa_user_sgpr_dispatch_ptr 0
		.amdhsa_user_sgpr_queue_ptr 0
		.amdhsa_user_sgpr_kernarg_segment_ptr 1
		.amdhsa_user_sgpr_dispatch_id 0
		.amdhsa_user_sgpr_private_segment_size 0
		.amdhsa_wavefront_size32 1
		.amdhsa_uses_dynamic_stack 0
		.amdhsa_enable_private_segment 0
		.amdhsa_system_sgpr_workgroup_id_x 1
		.amdhsa_system_sgpr_workgroup_id_y 0
		.amdhsa_system_sgpr_workgroup_id_z 0
		.amdhsa_system_sgpr_workgroup_info 0
		.amdhsa_system_vgpr_workitem_id 0
		.amdhsa_next_free_vgpr 9
		.amdhsa_next_free_sgpr 16
		.amdhsa_reserve_vcc 1
		.amdhsa_float_round_mode_32 0
		.amdhsa_float_round_mode_16_64 0
		.amdhsa_float_denorm_mode_32 3
		.amdhsa_float_denorm_mode_16_64 3
		.amdhsa_dx10_clamp 1
		.amdhsa_ieee_mode 1
		.amdhsa_fp16_overflow 0
		.amdhsa_workgroup_processor_mode 1
		.amdhsa_memory_ordered 1
		.amdhsa_forward_progress 0
		.amdhsa_shared_vgpr_count 0
		.amdhsa_exception_fp_ieee_invalid_op 0
		.amdhsa_exception_fp_denorm_src 0
		.amdhsa_exception_fp_ieee_div_zero 0
		.amdhsa_exception_fp_ieee_overflow 0
		.amdhsa_exception_fp_ieee_underflow 0
		.amdhsa_exception_fp_ieee_inexact 0
		.amdhsa_exception_int_div_zero 0
	.end_amdhsa_kernel
	.section	.text._ZN9rocsolver6v33100L17syevj_cycle_pairsIdEEviPiS2_,"axG",@progbits,_ZN9rocsolver6v33100L17syevj_cycle_pairsIdEEviPiS2_,comdat
.Lfunc_end57:
	.size	_ZN9rocsolver6v33100L17syevj_cycle_pairsIdEEviPiS2_, .Lfunc_end57-_ZN9rocsolver6v33100L17syevj_cycle_pairsIdEEviPiS2_
                                        ; -- End function
	.section	.AMDGPU.csdata,"",@progbits
; Kernel info:
; codeLenInByte = 872
; NumSgprs: 18
; NumVgprs: 9
; ScratchSize: 0
; MemoryBound: 0
; FloatMode: 240
; IeeeMode: 1
; LDSByteSize: 0 bytes/workgroup (compile time only)
; SGPRBlocks: 2
; VGPRBlocks: 1
; NumSGPRsForWavesPerEU: 18
; NumVGPRsForWavesPerEU: 9
; Occupancy: 16
; WaveLimiterHint : 0
; COMPUTE_PGM_RSRC2:SCRATCH_EN: 0
; COMPUTE_PGM_RSRC2:USER_SGPR: 15
; COMPUTE_PGM_RSRC2:TRAP_HANDLER: 0
; COMPUTE_PGM_RSRC2:TGID_X_EN: 1
; COMPUTE_PGM_RSRC2:TGID_Y_EN: 0
; COMPUTE_PGM_RSRC2:TGID_Z_EN: 0
; COMPUTE_PGM_RSRC2:TIDIG_COMP_CNT: 0
	.section	.text._ZN9rocsolver6v33100L15syevj_calc_normIddEEviiPT0_PT_S3_Pi,"axG",@progbits,_ZN9rocsolver6v33100L15syevj_calc_normIddEEviiPT0_PT_S3_Pi,comdat
	.globl	_ZN9rocsolver6v33100L15syevj_calc_normIddEEviiPT0_PT_S3_Pi ; -- Begin function _ZN9rocsolver6v33100L15syevj_calc_normIddEEviiPT0_PT_S3_Pi
	.p2align	8
	.type	_ZN9rocsolver6v33100L15syevj_calc_normIddEEviiPT0_PT_S3_Pi,@function
_ZN9rocsolver6v33100L15syevj_calc_normIddEEviiPT0_PT_S3_Pi: ; @_ZN9rocsolver6v33100L15syevj_calc_normIddEEviiPT0_PT_S3_Pi
; %bb.0:
	s_load_b256 s[4:11], s[0:1], 0x8
	s_mov_b32 s14, s15
	s_ashr_i32 s15, s15, 31
	s_delay_alu instid0(SALU_CYCLE_1)
	s_lshl_b64 s[2:3], s[14:15], 2
	s_waitcnt lgkmcnt(0)
	s_add_u32 s2, s10, s2
	s_addc_u32 s3, s11, s3
	s_load_b32 s12, s[2:3], 0x4
	s_waitcnt lgkmcnt(0)
	s_cmp_lg_u32 s12, 0
	s_cbranch_scc0 .LBB58_2
.LBB58_1:
	s_nop 0
	s_sendmsg sendmsg(MSG_DEALLOC_VGPRS)
	s_endpgm
.LBB58_2:
	s_clause 0x1
	s_load_b64 s[12:13], s[0:1], 0x0
	s_load_b32 s0, s[0:1], 0x34
	v_mov_b32_e32 v1, 0
	v_mov_b32_e32 v2, 0
	s_mov_b32 s16, exec_lo
	s_waitcnt lgkmcnt(0)
	s_and_b32 s1, s0, 0xffff
	v_cmpx_gt_i32_e64 s12, v0
	s_cbranch_execz .LBB58_10
; %bb.3:
	s_mul_i32 s0, s14, s12
	v_lshlrev_b32_e32 v1, 3, v0
	s_mul_i32 s18, s0, s12
	s_mov_b32 s17, 0
	s_ashr_i32 s19, s18, 31
	v_mov_b32_e32 v7, v0
	s_lshl_b64 s[18:19], s[18:19], 3
	s_delay_alu instid0(SALU_CYCLE_1)
	s_add_u32 s0, s6, s18
	s_addc_u32 s6, s7, s19
	v_add_co_u32 v3, s0, s0, v1
	v_mov_b32_e32 v1, 0
	v_add_co_ci_u32_e64 v4, null, s6, 0, s0
	v_mov_b32_e32 v2, 0
	s_ashr_i32 s7, s12, 31
	s_mov_b32 s6, s12
	s_lshl_b32 s18, s1, 3
	s_lshl_b64 s[6:7], s[6:7], 3
	s_set_inst_prefetch_distance 0x1
	s_branch .LBB58_6
	.p2align	6
.LBB58_4:                               ;   in Loop: Header=BB58_6 Depth=1
	s_or_b32 exec_lo, exec_lo, s20
.LBB58_5:                               ;   in Loop: Header=BB58_6 Depth=1
	s_delay_alu instid0(SALU_CYCLE_1) | instskip(SKIP_2) | instid1(VALU_DEP_1)
	s_or_b32 exec_lo, exec_lo, s19
	v_add_nc_u32_e32 v7, s1, v7
	v_add_co_u32 v3, s0, v3, s18
	v_add_co_ci_u32_e64 v4, s0, 0, v4, s0
	s_delay_alu instid0(VALU_DEP_3) | instskip(SKIP_1) | instid1(SALU_CYCLE_1)
	v_cmp_le_i32_e32 vcc_lo, s12, v7
	s_or_b32 s17, vcc_lo, s17
	s_and_not1_b32 exec_lo, exec_lo, s17
	s_cbranch_execz .LBB58_9
.LBB58_6:                               ; =>This Loop Header: Depth=1
                                        ;     Child Loop BB58_8 Depth 2
	s_mov_b32 s19, exec_lo
	v_cmpx_ne_u32_e32 0, v7
	s_cbranch_execz .LBB58_5
; %bb.7:                                ;   in Loop: Header=BB58_6 Depth=1
	v_dual_mov_b32 v6, v4 :: v_dual_mov_b32 v5, v3
	s_mov_b32 s20, 0
	s_mov_b32 s21, 0
.LBB58_8:                               ;   Parent Loop BB58_6 Depth=1
                                        ; =>  This Inner Loop Header: Depth=2
	global_load_b64 v[8:9], v[5:6], off
	s_add_i32 s21, s21, 1
	v_add_co_u32 v5, s0, v5, s6
	v_cmp_ge_u32_e32 vcc_lo, s21, v7
	v_add_co_ci_u32_e64 v6, s0, s7, v6, s0
	s_or_b32 s20, vcc_lo, s20
	s_waitcnt vmcnt(0)
	v_mul_f64 v[8:9], v[8:9], v[8:9]
	s_delay_alu instid0(VALU_DEP_1)
	v_fma_f64 v[1:2], v[8:9], 2.0, v[1:2]
	s_and_not1_b32 exec_lo, exec_lo, s20
	s_cbranch_execnz .LBB58_8
	s_branch .LBB58_4
.LBB58_9:
	s_set_inst_prefetch_distance 0x2
	s_or_b32 exec_lo, exec_lo, s17
.LBB58_10:
	s_delay_alu instid0(SALU_CYCLE_1)
	s_or_b32 exec_lo, exec_lo, s16
	v_lshl_add_u32 v3, v0, 3, 0
	s_mov_b32 s0, exec_lo
	ds_store_b64 v3, v[1:2]
	s_waitcnt lgkmcnt(0)
	s_barrier
	buffer_gl0_inv
	v_cmpx_eq_u32_e32 0, v0
	s_cbranch_execz .LBB58_1
; %bb.11:
	s_min_i32 s0, s1, s12
	s_delay_alu instid0(SALU_CYCLE_1)
	s_cmp_lt_i32 s0, 2
	s_cbranch_scc1 .LBB58_20
; %bb.12:
	s_add_i32 s1, s0, -2
	s_add_i32 s0, s0, -1
	s_cmp_lt_u32 s1, 7
	s_cbranch_scc1 .LBB58_16
; %bb.13:
	s_mov_b32 s6, 0
	s_add_i32 s1, 0, 8
	s_and_b32 s7, s0, -8
	.p2align	6
.LBB58_14:                              ; =>This Inner Loop Header: Depth=1
	v_mov_b32_e32 v11, s1
	s_mov_b32 s12, s6
	s_add_i32 s6, s6, 8
	s_add_i32 s1, s1, 64
	s_cmp_lg_u32 s7, s6
	ds_load_2addr_b64 v[3:6], v11 offset1:1
	ds_load_2addr_b64 v[7:10], v11 offset0:2 offset1:3
	s_waitcnt lgkmcnt(1)
	v_add_f64 v[0:1], v[1:2], v[3:4]
	s_delay_alu instid0(VALU_DEP_1) | instskip(SKIP_1) | instid1(VALU_DEP_1)
	v_add_f64 v[0:1], v[0:1], v[5:6]
	s_waitcnt lgkmcnt(0)
	v_add_f64 v[0:1], v[0:1], v[7:8]
	s_delay_alu instid0(VALU_DEP_1) | instskip(SKIP_4) | instid1(VALU_DEP_1)
	v_add_f64 v[8:9], v[0:1], v[9:10]
	ds_load_2addr_b64 v[0:3], v11 offset0:4 offset1:5
	ds_load_2addr_b64 v[4:7], v11 offset0:6 offset1:7
	s_waitcnt lgkmcnt(1)
	v_add_f64 v[0:1], v[8:9], v[0:1]
	v_add_f64 v[0:1], v[0:1], v[2:3]
	s_waitcnt lgkmcnt(0)
	s_delay_alu instid0(VALU_DEP_1) | instskip(NEXT) | instid1(VALU_DEP_1)
	v_add_f64 v[0:1], v[0:1], v[4:5]
	v_add_f64 v[1:2], v[0:1], v[6:7]
	s_cbranch_scc1 .LBB58_14
; %bb.15:
	s_add_i32 s1, s12, 9
	s_branch .LBB58_17
.LBB58_16:
	s_mov_b32 s1, 1
.LBB58_17:
	s_and_b32 s0, s0, 7
	s_delay_alu instid0(SALU_CYCLE_1)
	s_cmp_eq_u32 s0, 0
	s_cbranch_scc1 .LBB58_20
; %bb.18:
	s_lshl_b32 s1, s1, 3
	s_delay_alu instid0(SALU_CYCLE_1)
	s_add_i32 s1, s1, 0
.LBB58_19:                              ; =>This Inner Loop Header: Depth=1
	s_delay_alu instid0(SALU_CYCLE_1)
	v_mov_b32_e32 v0, s1
	s_add_i32 s0, s0, -1
	s_add_i32 s1, s1, 8
	s_cmp_lg_u32 s0, 0
	ds_load_b64 v[3:4], v0
	s_waitcnt lgkmcnt(0)
	v_add_f64 v[1:2], v[1:2], v[3:4]
	s_cbranch_scc1 .LBB58_19
.LBB58_20:
	s_lshl_b64 s[0:1], s[14:15], 3
	v_mov_b32_e32 v0, 0
	s_add_u32 s4, s4, s0
	s_addc_u32 s5, s5, s1
	s_add_u32 s0, s8, s0
	s_addc_u32 s1, s9, s1
	global_store_b64 v0, v[1:2], s[4:5]
	global_load_b64 v[3:4], v0, s[0:1]
	s_waitcnt vmcnt(0)
	v_cmp_lt_f64_e32 vcc_lo, v[1:2], v[3:4]
	s_and_b32 exec_lo, exec_lo, vcc_lo
	s_cbranch_execz .LBB58_1
; %bb.21:
	s_mov_b32 s0, exec_lo
	s_add_i32 s1, s13, 1
	v_mbcnt_lo_u32_b32 v1, s0, 0
	v_mov_b32_e32 v2, s1
	s_delay_alu instid0(VALU_DEP_2) | instskip(SKIP_2) | instid1(SALU_CYCLE_1)
	v_cmp_eq_u32_e32 vcc_lo, 0, v1
	global_store_b32 v0, v2, s[2:3] offset:4
	s_and_b32 s1, exec_lo, vcc_lo
	s_mov_b32 exec_lo, s1
	s_cbranch_execz .LBB58_1
; %bb.22:
	s_bcnt1_i32_b32 s0, s0
	s_delay_alu instid0(SALU_CYCLE_1)
	v_dual_mov_b32 v0, 0 :: v_dual_mov_b32 v1, s0
	global_atomic_add_u32 v0, v1, s[10:11]
	s_nop 0
	s_sendmsg sendmsg(MSG_DEALLOC_VGPRS)
	s_endpgm
	.section	.rodata,"a",@progbits
	.p2align	6, 0x0
	.amdhsa_kernel _ZN9rocsolver6v33100L15syevj_calc_normIddEEviiPT0_PT_S3_Pi
		.amdhsa_group_segment_fixed_size 0
		.amdhsa_private_segment_fixed_size 0
		.amdhsa_kernarg_size 296
		.amdhsa_user_sgpr_count 14
		.amdhsa_user_sgpr_dispatch_ptr 0
		.amdhsa_user_sgpr_queue_ptr 0
		.amdhsa_user_sgpr_kernarg_segment_ptr 1
		.amdhsa_user_sgpr_dispatch_id 0
		.amdhsa_user_sgpr_private_segment_size 0
		.amdhsa_wavefront_size32 1
		.amdhsa_uses_dynamic_stack 0
		.amdhsa_enable_private_segment 0
		.amdhsa_system_sgpr_workgroup_id_x 1
		.amdhsa_system_sgpr_workgroup_id_y 1
		.amdhsa_system_sgpr_workgroup_id_z 0
		.amdhsa_system_sgpr_workgroup_info 0
		.amdhsa_system_vgpr_workitem_id 0
		.amdhsa_next_free_vgpr 12
		.amdhsa_next_free_sgpr 22
		.amdhsa_reserve_vcc 1
		.amdhsa_float_round_mode_32 0
		.amdhsa_float_round_mode_16_64 0
		.amdhsa_float_denorm_mode_32 3
		.amdhsa_float_denorm_mode_16_64 3
		.amdhsa_dx10_clamp 1
		.amdhsa_ieee_mode 1
		.amdhsa_fp16_overflow 0
		.amdhsa_workgroup_processor_mode 1
		.amdhsa_memory_ordered 1
		.amdhsa_forward_progress 0
		.amdhsa_shared_vgpr_count 0
		.amdhsa_exception_fp_ieee_invalid_op 0
		.amdhsa_exception_fp_denorm_src 0
		.amdhsa_exception_fp_ieee_div_zero 0
		.amdhsa_exception_fp_ieee_overflow 0
		.amdhsa_exception_fp_ieee_underflow 0
		.amdhsa_exception_fp_ieee_inexact 0
		.amdhsa_exception_int_div_zero 0
	.end_amdhsa_kernel
	.section	.text._ZN9rocsolver6v33100L15syevj_calc_normIddEEviiPT0_PT_S3_Pi,"axG",@progbits,_ZN9rocsolver6v33100L15syevj_calc_normIddEEviiPT0_PT_S3_Pi,comdat
.Lfunc_end58:
	.size	_ZN9rocsolver6v33100L15syevj_calc_normIddEEviiPT0_PT_S3_Pi, .Lfunc_end58-_ZN9rocsolver6v33100L15syevj_calc_normIddEEviiPT0_PT_S3_Pi
                                        ; -- End function
	.section	.AMDGPU.csdata,"",@progbits
; Kernel info:
; codeLenInByte = 840
; NumSgprs: 24
; NumVgprs: 12
; ScratchSize: 0
; MemoryBound: 0
; FloatMode: 240
; IeeeMode: 1
; LDSByteSize: 0 bytes/workgroup (compile time only)
; SGPRBlocks: 2
; VGPRBlocks: 1
; NumSGPRsForWavesPerEU: 24
; NumVGPRsForWavesPerEU: 12
; Occupancy: 16
; WaveLimiterHint : 0
; COMPUTE_PGM_RSRC2:SCRATCH_EN: 0
; COMPUTE_PGM_RSRC2:USER_SGPR: 14
; COMPUTE_PGM_RSRC2:TRAP_HANDLER: 0
; COMPUTE_PGM_RSRC2:TGID_X_EN: 1
; COMPUTE_PGM_RSRC2:TGID_Y_EN: 1
; COMPUTE_PGM_RSRC2:TGID_Z_EN: 0
; COMPUTE_PGM_RSRC2:TIDIG_COMP_CNT: 0
	.section	.text._ZN9rocsolver6v33100L14syevj_finalizeIddPdEEv14rocblas_esort_14rocblas_evect_iT1_iilPT0_iPiS7_lS8_PT_S8_,"axG",@progbits,_ZN9rocsolver6v33100L14syevj_finalizeIddPdEEv14rocblas_esort_14rocblas_evect_iT1_iilPT0_iPiS7_lS8_PT_S8_,comdat
	.globl	_ZN9rocsolver6v33100L14syevj_finalizeIddPdEEv14rocblas_esort_14rocblas_evect_iT1_iilPT0_iPiS7_lS8_PT_S8_ ; -- Begin function _ZN9rocsolver6v33100L14syevj_finalizeIddPdEEv14rocblas_esort_14rocblas_evect_iT1_iilPT0_iPiS7_lS8_PT_S8_
	.p2align	8
	.type	_ZN9rocsolver6v33100L14syevj_finalizeIddPdEEv14rocblas_esort_14rocblas_evect_iT1_iilPT0_iPiS7_lS8_PT_S8_,@function
_ZN9rocsolver6v33100L14syevj_finalizeIddPdEEv14rocblas_esort_14rocblas_evect_iT1_iilPT0_iPiS7_lS8_PT_S8_: ; @_ZN9rocsolver6v33100L14syevj_finalizeIddPdEEv14rocblas_esort_14rocblas_evect_iT1_iilPT0_iPiS7_lS8_PT_S8_
; %bb.0:
	s_clause 0x2
	s_load_b128 s[16:19], s[0:1], 0x20
	s_load_b256 s[4:11], s[0:1], 0x38
	s_load_b128 s[20:23], s[0:1], 0x58
	v_cmp_eq_u32_e64 s2, 0, v0
	s_mov_b32 s24, s15
	s_ashr_i32 s25, s15, 31
	s_delay_alu instid0(VALU_DEP_1)
	s_and_saveexec_b32 s3, s2
	s_cbranch_execz .LBB59_2
; %bb.1:
	s_lshl_b64 s[12:13], s[24:25], 2
	s_waitcnt lgkmcnt(0)
	s_add_u32 s14, s22, s12
	s_addc_u32 s15, s23, s13
	s_lshl_b64 s[22:23], s[24:25], 3
	s_delay_alu instid0(SALU_CYCLE_1)
	s_add_u32 s18, s18, s22
	s_addc_u32 s19, s19, s23
	s_load_b64 s[22:23], s[18:19], 0x0
	s_load_b32 s14, s[14:15], 0x4
	s_load_b32 s15, s[0:1], 0x30
	s_waitcnt lgkmcnt(0)
	v_cmp_gt_f64_e64 s26, 0x10000000, s[22:23]
	s_delay_alu instid0(VALU_DEP_1) | instskip(NEXT) | instid1(VALU_DEP_1)
	v_cndmask_b32_e64 v1, 0, 1, s26
	v_lshlrev_b32_e32 v1, 8, v1
	s_delay_alu instid0(VALU_DEP_1) | instskip(SKIP_2) | instid1(VALU_DEP_1)
	v_ldexp_f64 v[1:2], s[22:23], v1
	s_and_b32 s22, s26, exec_lo
	s_cselect_b32 s22, 0xffffff80, 0
	v_rsq_f64_e32 v[3:4], v[1:2]
	v_cmp_class_f64_e64 vcc_lo, v[1:2], 0x260
	s_waitcnt_depctr 0xfff
	v_mul_f64 v[5:6], v[1:2], v[3:4]
	v_mul_f64 v[3:4], v[3:4], 0.5
	s_delay_alu instid0(VALU_DEP_1) | instskip(NEXT) | instid1(VALU_DEP_1)
	v_fma_f64 v[7:8], -v[3:4], v[5:6], 0.5
	v_fma_f64 v[5:6], v[5:6], v[7:8], v[5:6]
	v_fma_f64 v[3:4], v[3:4], v[7:8], v[3:4]
	s_delay_alu instid0(VALU_DEP_2) | instskip(NEXT) | instid1(VALU_DEP_1)
	v_fma_f64 v[7:8], -v[5:6], v[5:6], v[1:2]
	v_fma_f64 v[5:6], v[7:8], v[3:4], v[5:6]
	s_delay_alu instid0(VALU_DEP_1) | instskip(NEXT) | instid1(VALU_DEP_1)
	v_fma_f64 v[7:8], -v[5:6], v[5:6], v[1:2]
	v_fma_f64 v[3:4], v[7:8], v[3:4], v[5:6]
	v_mov_b32_e32 v5, 0
	s_delay_alu instid0(VALU_DEP_2) | instskip(SKIP_3) | instid1(SALU_CYCLE_1)
	v_ldexp_f64 v[3:4], v[3:4], s22
	s_add_i32 s22, s14, -1
	s_cmp_lt_i32 s14, 1
	s_cselect_b32 s14, -1, 0
	v_cndmask_b32_e64 v6, 0, 1, s14
	s_and_b32 s14, s14, exec_lo
	s_cselect_b32 s14, s15, s22
	s_add_u32 s4, s4, s12
	s_addc_u32 s5, s5, s13
	s_add_u32 s10, s10, s12
	s_addc_u32 s11, s11, s13
	s_delay_alu instid0(VALU_DEP_2)
	v_dual_cndmask_b32 v2, v4, v2 :: v_dual_cndmask_b32 v1, v3, v1
	v_mov_b32_e32 v3, s14
	s_clause 0x2
	global_store_b64 v5, v[1:2], s[18:19]
	global_store_b32 v5, v3, s[4:5]
	global_store_b32 v5, v6, s[10:11]
.LBB59_2:
	s_or_b32 exec_lo, exec_lo, s3
	s_load_b128 s[12:15], s[0:1], 0x0
	s_waitcnt lgkmcnt(0)
	s_mul_i32 s3, s24, s9
	s_mul_hi_u32 s4, s24, s8
	s_delay_alu instid0(SALU_CYCLE_1) | instskip(SKIP_1) | instid1(SALU_CYCLE_1)
	s_add_i32 s3, s4, s3
	s_mul_i32 s4, s25, s8
	s_add_i32 s5, s3, s4
	s_mul_i32 s4, s24, s8
	s_delay_alu instid0(SALU_CYCLE_1) | instskip(NEXT) | instid1(SALU_CYCLE_1)
	s_lshl_b64 s[18:19], s[4:5], 3
	s_add_u32 s15, s6, s18
	s_addc_u32 s22, s7, s19
	v_cmp_gt_i32_e64 s3, s14, v0
	s_delay_alu instid0(VALU_DEP_1)
	s_and_saveexec_b32 s5, s3
	s_cbranch_execz .LBB59_5
; %bb.3:
	s_load_b32 s4, s[0:1], 0x74
	s_mul_i32 s8, s24, s14
	v_mad_u64_u32 v[1:2], null, v0, s14, v[0:1]
	s_mul_i32 s8, s8, s14
	v_mov_b32_e32 v3, v0
	s_ashr_i32 s9, s8, 31
	s_delay_alu instid0(SALU_CYCLE_1) | instskip(NEXT) | instid1(SALU_CYCLE_1)
	s_lshl_b64 s[8:9], s[8:9], 3
	s_add_u32 s8, s20, s8
	s_addc_u32 s9, s21, s9
	s_add_i32 s11, s14, 1
	s_mov_b32 s20, 0
	s_waitcnt lgkmcnt(0)
	s_and_b32 s10, s4, 0xffff
	s_delay_alu instid0(SALU_CYCLE_1)
	s_mul_i32 s11, s11, s10
	.p2align	6
.LBB59_4:                               ; =>This Inner Loop Header: Depth=1
	v_ashrrev_i32_e32 v2, 31, v1
	s_delay_alu instid0(VALU_DEP_1) | instskip(SKIP_1) | instid1(VALU_DEP_2)
	v_lshlrev_b64 v[4:5], 3, v[1:2]
	v_add_nc_u32_e32 v1, s11, v1
	v_add_co_u32 v4, vcc_lo, s8, v4
	s_delay_alu instid0(VALU_DEP_3) | instskip(SKIP_2) | instid1(VALU_DEP_1)
	v_add_co_ci_u32_e32 v5, vcc_lo, s9, v5, vcc_lo
	global_load_b64 v[5:6], v[4:5], off
	v_ashrrev_i32_e32 v4, 31, v3
	v_lshlrev_b64 v[7:8], 3, v[3:4]
	v_add_nc_u32_e32 v3, s10, v3
	s_delay_alu instid0(VALU_DEP_1) | instskip(NEXT) | instid1(VALU_DEP_3)
	v_cmp_le_i32_e32 vcc_lo, s14, v3
	v_add_co_u32 v7, s4, s15, v7
	s_delay_alu instid0(VALU_DEP_1)
	v_add_co_ci_u32_e64 v8, s4, s22, v8, s4
	s_or_b32 s20, vcc_lo, s20
	s_waitcnt vmcnt(0)
	global_store_b64 v[7:8], v[5:6], off
	s_and_not1_b32 exec_lo, exec_lo, s20
	s_cbranch_execnz .LBB59_4
.LBB59_5:
	s_or_b32 exec_lo, exec_lo, s5
	v_cmp_eq_u32_e32 vcc_lo, 0, v0
	s_cmpk_lg_i32 s13, 0xd5
	s_waitcnt_vscnt null, 0x0
	s_cselect_b32 s20, -1, 0
	s_barrier
	s_or_b32 s4, vcc_lo, s20
	s_cmpk_lg_i32 s12, 0xfb
	buffer_gl0_inv
	s_cselect_b32 s5, -1, 0
	s_delay_alu instid0(SALU_CYCLE_1) | instskip(SKIP_3) | instid1(SALU_CYCLE_1)
	s_and_b32 s4, s5, s4
	s_cmp_gt_i32 s14, 1
	s_mov_b32 s5, 0
	s_cselect_b32 s8, -1, 0
	s_and_b32 s4, s8, s4
	s_delay_alu instid0(SALU_CYCLE_1)
	s_and_saveexec_b32 s8, s4
	s_cbranch_execz .LBB59_18
; %bb.6:
	s_load_b128 s[8:11], s[0:1], 0x10
	s_mul_i32 s4, s24, s17
	s_mul_hi_u32 s13, s24, s16
	s_mul_i32 s17, s25, s16
	s_add_i32 s4, s13, s4
	s_mul_i32 s12, s24, s16
	s_add_i32 s13, s4, s17
	v_mov_b32_e32 v3, 0
	s_lshl_b64 s[12:13], s[12:13], 3
	s_waitcnt lgkmcnt(0)
	s_ashr_i32 s17, s10, 31
	s_mov_b32 s16, s10
	s_add_u32 s4, s8, s12
	s_addc_u32 s12, s9, s13
	s_lshl_b64 s[8:9], s[16:17], 3
	s_mov_b32 s10, 0
	s_add_u32 s21, s4, s8
	s_addc_u32 s23, s12, s9
	s_add_u32 s0, s0, 0x68
	s_addc_u32 s1, s1, 0
	s_add_i32 s24, s14, -2
	s_add_u32 s4, s18, s6
	s_addc_u32 s7, s19, s7
	s_add_u32 s6, s4, 8
	s_addc_u32 s7, s7, 0
	s_mov_b32 s18, 0
	s_branch .LBB59_9
.LBB59_7:                               ;   in Loop: Header=BB59_9 Depth=1
	s_or_b32 exec_lo, exec_lo, s9
	s_waitcnt_vscnt null, 0x0
	s_barrier
	buffer_gl0_inv
.LBB59_8:                               ;   in Loop: Header=BB59_9 Depth=1
	s_add_u32 s6, s6, 8
	s_addc_u32 s7, s7, 0
	s_add_i32 s10, s10, s11
	s_cmp_lg_u32 s4, s24
	s_cbranch_scc0 .LBB59_18
.LBB59_9:                               ; =>This Loop Header: Depth=1
                                        ;     Child Loop BB59_10 Depth 2
                                        ;     Child Loop BB59_17 Depth 2
	s_mov_b32 s4, s18
	s_mov_b64 s[16:17], s[6:7]
	s_lshl_b64 s[8:9], s[4:5], 3
	s_delay_alu instid0(SALU_CYCLE_1)
	s_add_u32 s12, s15, s8
	s_addc_u32 s13, s22, s9
	s_add_i32 s18, s18, 1
	global_load_b64 v[1:2], v3, s[12:13]
	s_mov_b32 s9, s18
	s_mov_b32 s8, s4
.LBB59_10:                              ;   Parent Loop BB59_9 Depth=1
                                        ; =>  This Inner Loop Header: Depth=2
	global_load_b64 v[4:5], v3, s[16:17]
	s_waitcnt vmcnt(0)
	v_cmp_lt_f64_e32 vcc_lo, v[4:5], v[1:2]
	s_and_b32 s19, vcc_lo, exec_lo
	v_dual_cndmask_b32 v2, v2, v5 :: v_dual_cndmask_b32 v1, v1, v4
	s_cselect_b32 s8, s9, s8
	s_add_i32 s9, s9, 1
	s_add_u32 s16, s16, 8
	s_addc_u32 s17, s17, 0
	s_cmp_lt_i32 s9, s14
	s_cbranch_scc1 .LBB59_10
; %bb.11:                               ;   in Loop: Header=BB59_9 Depth=1
	s_cmp_eq_u32 s8, s4
	s_waitcnt_vscnt null, 0x0
	s_barrier
	buffer_gl0_inv
	s_cbranch_scc1 .LBB59_8
; %bb.12:                               ;   in Loop: Header=BB59_9 Depth=1
	s_and_saveexec_b32 s16, s2
	s_cbranch_execz .LBB59_14
; %bb.13:                               ;   in Loop: Header=BB59_9 Depth=1
	global_load_b64 v[4:5], v3, s[12:13]
	s_ashr_i32 s9, s8, 31
	s_delay_alu instid0(SALU_CYCLE_1) | instskip(NEXT) | instid1(SALU_CYCLE_1)
	s_lshl_b64 s[26:27], s[8:9], 3
	s_add_u32 s26, s15, s26
	s_addc_u32 s27, s22, s27
	s_waitcnt vmcnt(0)
	s_clause 0x1
	global_store_b64 v3, v[4:5], s[26:27]
	global_store_b64 v3, v[1:2], s[12:13]
.LBB59_14:                              ;   in Loop: Header=BB59_9 Depth=1
	s_or_b32 exec_lo, exec_lo, s16
	s_delay_alu instid0(SALU_CYCLE_1)
	s_and_not1_b32 vcc_lo, exec_lo, s20
	s_cbranch_vccnz .LBB59_8
; %bb.15:                               ;   in Loop: Header=BB59_9 Depth=1
	s_and_saveexec_b32 s9, s3
	s_cbranch_execz .LBB59_7
; %bb.16:                               ;   in Loop: Header=BB59_9 Depth=1
	s_load_b32 s12, s[0:1], 0xc
	v_mov_b32_e32 v1, v0
	s_mul_i32 s8, s8, s11
	s_mov_b32 s13, 0
	s_waitcnt lgkmcnt(0)
	s_and_b32 s12, s12, 0xffff
	.p2align	6
.LBB59_17:                              ;   Parent Loop BB59_9 Depth=1
                                        ; =>  This Inner Loop Header: Depth=2
	v_add_nc_u32_e32 v4, s10, v1
	v_add_nc_u32_e32 v6, s8, v1
	;; [unrolled: 1-line block ×3, first 2 shown]
	s_delay_alu instid0(VALU_DEP_3) | instskip(NEXT) | instid1(VALU_DEP_3)
	v_ashrrev_i32_e32 v5, 31, v4
	v_ashrrev_i32_e32 v7, 31, v6
	s_delay_alu instid0(VALU_DEP_2) | instskip(NEXT) | instid1(VALU_DEP_2)
	v_lshlrev_b64 v[4:5], 3, v[4:5]
	v_lshlrev_b64 v[6:7], 3, v[6:7]
	s_delay_alu instid0(VALU_DEP_2) | instskip(NEXT) | instid1(VALU_DEP_3)
	v_add_co_u32 v4, vcc_lo, s21, v4
	v_add_co_ci_u32_e32 v5, vcc_lo, s23, v5, vcc_lo
	s_delay_alu instid0(VALU_DEP_3) | instskip(NEXT) | instid1(VALU_DEP_4)
	v_add_co_u32 v6, vcc_lo, s21, v6
	v_add_co_ci_u32_e32 v7, vcc_lo, s23, v7, vcc_lo
	v_cmp_le_i32_e32 vcc_lo, s14, v1
	s_clause 0x1
	global_load_b64 v[8:9], v[4:5], off
	global_load_b64 v[10:11], v[6:7], off
	s_waitcnt vmcnt(1)
	global_store_b64 v[6:7], v[8:9], off
	s_waitcnt vmcnt(0)
	global_store_b64 v[4:5], v[10:11], off
	s_or_b32 s13, vcc_lo, s13
	s_delay_alu instid0(SALU_CYCLE_1)
	s_and_not1_b32 exec_lo, exec_lo, s13
	s_cbranch_execnz .LBB59_17
	s_branch .LBB59_7
.LBB59_18:
	s_nop 0
	s_sendmsg sendmsg(MSG_DEALLOC_VGPRS)
	s_endpgm
	.section	.rodata,"a",@progbits
	.p2align	6, 0x0
	.amdhsa_kernel _ZN9rocsolver6v33100L14syevj_finalizeIddPdEEv14rocblas_esort_14rocblas_evect_iT1_iilPT0_iPiS7_lS8_PT_S8_
		.amdhsa_group_segment_fixed_size 0
		.amdhsa_private_segment_fixed_size 0
		.amdhsa_kernarg_size 360
		.amdhsa_user_sgpr_count 14
		.amdhsa_user_sgpr_dispatch_ptr 0
		.amdhsa_user_sgpr_queue_ptr 0
		.amdhsa_user_sgpr_kernarg_segment_ptr 1
		.amdhsa_user_sgpr_dispatch_id 0
		.amdhsa_user_sgpr_private_segment_size 0
		.amdhsa_wavefront_size32 1
		.amdhsa_uses_dynamic_stack 0
		.amdhsa_enable_private_segment 0
		.amdhsa_system_sgpr_workgroup_id_x 1
		.amdhsa_system_sgpr_workgroup_id_y 1
		.amdhsa_system_sgpr_workgroup_id_z 0
		.amdhsa_system_sgpr_workgroup_info 0
		.amdhsa_system_vgpr_workitem_id 0
		.amdhsa_next_free_vgpr 12
		.amdhsa_next_free_sgpr 28
		.amdhsa_reserve_vcc 1
		.amdhsa_float_round_mode_32 0
		.amdhsa_float_round_mode_16_64 0
		.amdhsa_float_denorm_mode_32 3
		.amdhsa_float_denorm_mode_16_64 3
		.amdhsa_dx10_clamp 1
		.amdhsa_ieee_mode 1
		.amdhsa_fp16_overflow 0
		.amdhsa_workgroup_processor_mode 1
		.amdhsa_memory_ordered 1
		.amdhsa_forward_progress 0
		.amdhsa_shared_vgpr_count 0
		.amdhsa_exception_fp_ieee_invalid_op 0
		.amdhsa_exception_fp_denorm_src 0
		.amdhsa_exception_fp_ieee_div_zero 0
		.amdhsa_exception_fp_ieee_overflow 0
		.amdhsa_exception_fp_ieee_underflow 0
		.amdhsa_exception_fp_ieee_inexact 0
		.amdhsa_exception_int_div_zero 0
	.end_amdhsa_kernel
	.section	.text._ZN9rocsolver6v33100L14syevj_finalizeIddPdEEv14rocblas_esort_14rocblas_evect_iT1_iilPT0_iPiS7_lS8_PT_S8_,"axG",@progbits,_ZN9rocsolver6v33100L14syevj_finalizeIddPdEEv14rocblas_esort_14rocblas_evect_iT1_iilPT0_iPiS7_lS8_PT_S8_,comdat
.Lfunc_end59:
	.size	_ZN9rocsolver6v33100L14syevj_finalizeIddPdEEv14rocblas_esort_14rocblas_evect_iT1_iilPT0_iPiS7_lS8_PT_S8_, .Lfunc_end59-_ZN9rocsolver6v33100L14syevj_finalizeIddPdEEv14rocblas_esort_14rocblas_evect_iT1_iilPT0_iPiS7_lS8_PT_S8_
                                        ; -- End function
	.section	.AMDGPU.csdata,"",@progbits
; Kernel info:
; codeLenInByte = 1272
; NumSgprs: 30
; NumVgprs: 12
; ScratchSize: 0
; MemoryBound: 0
; FloatMode: 240
; IeeeMode: 1
; LDSByteSize: 0 bytes/workgroup (compile time only)
; SGPRBlocks: 3
; VGPRBlocks: 1
; NumSGPRsForWavesPerEU: 30
; NumVGPRsForWavesPerEU: 12
; Occupancy: 16
; WaveLimiterHint : 0
; COMPUTE_PGM_RSRC2:SCRATCH_EN: 0
; COMPUTE_PGM_RSRC2:USER_SGPR: 14
; COMPUTE_PGM_RSRC2:TRAP_HANDLER: 0
; COMPUTE_PGM_RSRC2:TGID_X_EN: 1
; COMPUTE_PGM_RSRC2:TGID_Y_EN: 1
; COMPUTE_PGM_RSRC2:TGID_Z_EN: 0
; COMPUTE_PGM_RSRC2:TIDIG_COMP_CNT: 0
	.section	.text._ZN9rocsolver6v33100L18geqr2_kernel_smallILi256EdidPdEEvT1_S3_T3_lS3_lPT2_lPT0_l,"axG",@progbits,_ZN9rocsolver6v33100L18geqr2_kernel_smallILi256EdidPdEEvT1_S3_T3_lS3_lPT2_lPT0_l,comdat
	.globl	_ZN9rocsolver6v33100L18geqr2_kernel_smallILi256EdidPdEEvT1_S3_T3_lS3_lPT2_lPT0_l ; -- Begin function _ZN9rocsolver6v33100L18geqr2_kernel_smallILi256EdidPdEEvT1_S3_T3_lS3_lPT2_lPT0_l
	.p2align	8
	.type	_ZN9rocsolver6v33100L18geqr2_kernel_smallILi256EdidPdEEvT1_S3_T3_lS3_lPT2_lPT0_l,@function
_ZN9rocsolver6v33100L18geqr2_kernel_smallILi256EdidPdEEvT1_S3_T3_lS3_lPT2_lPT0_l: ; @_ZN9rocsolver6v33100L18geqr2_kernel_smallILi256EdidPdEEvT1_S3_T3_lS3_lPT2_lPT0_l
; %bb.0:
	s_clause 0x4
	s_load_b256 s[4:11], s[0:1], 0x20
	s_load_b64 s[12:13], s[0:1], 0x0
	s_load_b128 s[24:27], s[0:1], 0x8
	s_load_b32 s17, s[0:1], 0x18
	s_load_b64 s[2:3], s[0:1], 0x40
	s_ashr_i32 s21, s15, 31
	v_and_b32_e32 v1, 0x7f, v0
	v_lshrrev_b32_e32 v11, 7, v0
	s_delay_alu instid0(VALU_DEP_2)
	v_lshlrev_b32_e32 v12, 3, v1
	s_waitcnt lgkmcnt(0)
	s_mul_i32 s0, s15, s5
	s_mul_hi_u32 s1, s15, s4
	s_mul_i32 s5, s21, s4
	s_add_i32 s1, s1, s0
	s_mul_i32 s0, s15, s4
	s_add_i32 s1, s1, s5
	s_delay_alu instid0(SALU_CYCLE_1) | instskip(SKIP_4) | instid1(SALU_CYCLE_1)
	s_lshl_b64 s[4:5], s[0:1], 3
	v_cmp_gt_i32_e64 s0, s12, v1
	s_add_u32 s1, s24, s4
	s_addc_u32 s16, s25, s5
	s_lshl_b64 s[4:5], s[26:27], 3
	s_add_u32 s14, s1, s4
	s_addc_u32 s16, s16, s5
	s_and_saveexec_b32 s4, s0
	s_cbranch_execz .LBB60_6
; %bb.1:
	v_lshrrev_b32_e32 v5, 7, v0
	s_mov_b32 s5, 0
	s_lshl_b32 s18, s12, 4
	s_lshl_b32 s19, s17, 1
	v_mov_b32_e32 v7, v1
	v_mul_lo_u32 v2, s12, v5
	v_cmp_gt_i32_e32 vcc_lo, s13, v5
	s_delay_alu instid0(VALU_DEP_2) | instskip(SKIP_1) | instid1(VALU_DEP_2)
	v_lshlrev_b32_e32 v4, 3, v2
	v_mad_u64_u32 v[2:3], null, s17, v5, v[1:2]
	v_add3_u32 v6, v4, v12, 0
	s_set_inst_prefetch_distance 0x1
	s_branch .LBB60_3
	.p2align	6
.LBB60_2:                               ;   in Loop: Header=BB60_3 Depth=1
	s_or_b32 exec_lo, exec_lo, s20
	v_add_nc_u32_e32 v7, 0x80, v7
	v_add_nc_u32_e32 v6, 0x400, v6
	;; [unrolled: 1-line block ×3, first 2 shown]
	s_delay_alu instid0(VALU_DEP_3) | instskip(NEXT) | instid1(VALU_DEP_1)
	v_cmp_le_i32_e64 s1, s12, v7
	s_or_b32 s5, s1, s5
	s_delay_alu instid0(SALU_CYCLE_1)
	s_and_not1_b32 exec_lo, exec_lo, s5
	s_cbranch_execz .LBB60_6
.LBB60_3:                               ; =>This Loop Header: Depth=1
                                        ;     Child Loop BB60_5 Depth 2
	s_and_saveexec_b32 s20, vcc_lo
	s_cbranch_execz .LBB60_2
; %bb.4:                                ;   in Loop: Header=BB60_3 Depth=1
	s_delay_alu instid0(VALU_DEP_2)
	v_mov_b32_e32 v3, v2
	v_dual_mov_b32 v8, v6 :: v_dual_mov_b32 v9, v5
	s_mov_b32 s22, 0
	.p2align	6
.LBB60_5:                               ;   Parent Loop BB60_3 Depth=1
                                        ; =>  This Inner Loop Header: Depth=2
	s_delay_alu instid0(VALU_DEP_2) | instskip(NEXT) | instid1(VALU_DEP_2)
	v_ashrrev_i32_e32 v4, 31, v3
	v_add_nc_u32_e32 v9, 2, v9
	s_delay_alu instid0(VALU_DEP_2) | instskip(SKIP_1) | instid1(VALU_DEP_2)
	v_lshlrev_b64 v[13:14], 3, v[3:4]
	v_add_nc_u32_e32 v3, s19, v3
	v_add_co_u32 v13, s1, s14, v13
	s_delay_alu instid0(VALU_DEP_1)
	v_add_co_ci_u32_e64 v14, s1, s16, v14, s1
	v_cmp_le_i32_e64 s1, s13, v9
	global_load_b64 v[13:14], v[13:14], off
	s_or_b32 s22, s1, s22
	s_waitcnt vmcnt(0)
	ds_store_b64 v8, v[13:14]
	v_add_nc_u32_e32 v8, s18, v8
	s_and_not1_b32 exec_lo, exec_lo, s22
	s_cbranch_execnz .LBB60_5
	s_branch .LBB60_2
.LBB60_6:
	s_set_inst_prefetch_distance 0x2
	s_or_b32 exec_lo, exec_lo, s4
	s_min_i32 s18, s13, s12
	s_waitcnt lgkmcnt(0)
	s_cmp_lt_i32 s18, 1
	s_barrier
	buffer_gl0_inv
	s_cbranch_scc1 .LBB60_43
; %bb.7:
	v_mbcnt_lo_u32_b32 v2, -1, 0
	s_mul_i32 s1, s15, s9
	s_mul_hi_u32 s4, s15, s8
	s_mul_i32 s5, s21, s8
	s_add_i32 s1, s4, s1
	v_cmp_ne_u32_e32 vcc_lo, 31, v2
	s_mul_i32 s4, s15, s8
	s_add_i32 s5, s1, s5
	s_mul_i32 s1, s15, s3
	s_lshl_b64 s[4:5], s[4:5], 3
	v_add_co_ci_u32_e32 v3, vcc_lo, 0, v2, vcc_lo
	v_cmp_gt_u32_e32 vcc_lo, 30, v2
	s_mul_hi_u32 s3, s15, s2
	s_add_u32 s19, s6, s4
	s_addc_u32 s20, s7, s5
	s_add_i32 s1, s3, s1
	v_cndmask_b32_e64 v4, 0, 1, vcc_lo
	v_cmp_gt_u32_e32 vcc_lo, 28, v2
	s_mul_i32 s3, s21, s2
	s_mul_i32 s2, s15, s2
	s_add_i32 s3, s1, s3
	s_mul_i32 s1, s13, s12
	v_cndmask_b32_e64 v5, 0, 1, vcc_lo
	v_cmp_gt_u32_e32 vcc_lo, 24, v2
	s_lshl_b64 s[2:3], s[2:3], 3
	v_lshlrev_b32_e32 v13, 2, v3
	v_lshlrev_b32_e32 v3, 1, v4
	;; [unrolled: 1-line block ×3, first 2 shown]
	v_cndmask_b32_e64 v6, 0, 1, vcc_lo
	v_cmp_gt_u32_e32 vcc_lo, 16, v2
	s_add_u32 s15, s10, s2
	s_addc_u32 s21, s11, s3
	s_lshl_b32 s1, s1, 3
	v_lshlrev_b32_e32 v5, 3, v6
	v_cndmask_b32_e64 v7, 0, 1, vcc_lo
	s_add_i32 s22, s1, 0
	s_lshl_b32 s1, s13, 3
	v_add_lshl_u32 v14, v3, v2, 2
	v_add_lshl_u32 v15, v4, v2, 2
	v_lshlrev_b32_e32 v6, 4, v7
	v_add_lshl_u32 v16, v5, v2, 2
	s_add_i32 s23, s22, s1
	s_cmp_eq_u64 s[6:7], 0
	v_and_b32_e32 v7, 31, v0
	v_add_lshl_u32 v17, v6, v2, 2
	v_mad_u64_u32 v[2:3], null, s12, v0, s[12:13]
	v_lshrrev_b32_e32 v4, 2, v0
	v_lshlrev_b32_e32 v3, 3, v0
	s_cselect_b32 s24, -1, 0
	s_cmp_lg_u64 s[6:7], 0
	v_cmp_eq_u32_e64 s1, 0, v7
	s_cselect_b32 s25, -1, 0
	s_lshl_b32 s26, s12, 3
	v_cmp_eq_u32_e64 s2, 0, v0
	v_add3_u32 v18, v3, 0, 8
	v_lshl_add_u32 v19, v2, 3, 0
	v_mov_b32_e32 v2, 0
	v_add3_u32 v20, 0, s26, v3
	v_add_nc_u32_e32 v21, s23, v4
	s_mov_b32 s9, 0
	s_add_i32 s27, s26, 8
	s_lshl_b32 s28, s12, 11
	s_mov_b32 s29, 0
	s_mov_b32 s8, s9
	s_branch .LBB60_9
.LBB60_8:                               ;   in Loop: Header=BB60_9 Depth=1
	s_set_inst_prefetch_distance 0x2
	s_or_b32 exec_lo, exec_lo, s4
	v_add_nc_u32_e32 v18, s27, v18
	v_add_nc_u32_e32 v19, s27, v19
	v_add_nc_u32_e32 v20, s27, v20
	s_add_i32 s8, s8, 1
	s_add_i32 s29, s29, s27
	s_cmp_eq_u32 s8, s18
	s_waitcnt lgkmcnt(0)
	s_barrier
	buffer_gl0_inv
	s_cbranch_scc1 .LBB60_43
.LBB60_9:                               ; =>This Loop Header: Depth=1
                                        ;     Child Loop BB60_11 Depth 2
                                        ;     Child Loop BB60_30 Depth 2
	;; [unrolled: 1-line block ×3, first 2 shown]
                                        ;       Child Loop BB60_36 Depth 3
                                        ;     Child Loop BB60_40 Depth 2
                                        ;       Child Loop BB60_42 Depth 3
	s_sub_i32 s30, s12, s8
	v_mov_b32_e32 v3, 0
	s_add_i32 s33, s30, -1
	v_mov_b32_e32 v4, 0
	v_cmp_gt_i32_e64 s3, s33, v0
	s_delay_alu instid0(VALU_DEP_1)
	s_and_saveexec_b32 s4, s3
	s_cbranch_execz .LBB60_13
; %bb.10:                               ;   in Loop: Header=BB60_9 Depth=1
	v_dual_mov_b32 v3, 0 :: v_dual_mov_b32 v6, v0
	v_dual_mov_b32 v4, 0 :: v_dual_mov_b32 v5, v18
	s_mov_b32 s5, 0
.LBB60_11:                              ;   Parent Loop BB60_9 Depth=1
                                        ; =>  This Inner Loop Header: Depth=2
	ds_load_b64 v[7:8], v5
	v_add_nc_u32_e32 v6, 0x100, v6
	v_add_nc_u32_e32 v5, 0x800, v5
	s_delay_alu instid0(VALU_DEP_2) | instskip(SKIP_3) | instid1(VALU_DEP_1)
	v_cmp_le_i32_e32 vcc_lo, s33, v6
	s_or_b32 s5, vcc_lo, s5
	s_waitcnt lgkmcnt(0)
	v_mul_f64 v[7:8], v[7:8], v[7:8]
	v_add_f64 v[3:4], v[3:4], v[7:8]
	s_and_not1_b32 exec_lo, exec_lo, s5
	s_cbranch_execnz .LBB60_11
; %bb.12:                               ;   in Loop: Header=BB60_9 Depth=1
	s_or_b32 exec_lo, exec_lo, s5
.LBB60_13:                              ;   in Loop: Header=BB60_9 Depth=1
	s_delay_alu instid0(SALU_CYCLE_1)
	s_or_b32 exec_lo, exec_lo, s4
	ds_bpermute_b32 v5, v13, v3
	ds_bpermute_b32 v6, v13, v4
	s_waitcnt lgkmcnt(0)
	v_add_f64 v[3:4], v[3:4], v[5:6]
	ds_bpermute_b32 v5, v14, v3
	ds_bpermute_b32 v6, v14, v4
	s_waitcnt lgkmcnt(0)
	v_add_f64 v[3:4], v[3:4], v[5:6]
	;; [unrolled: 4-line block ×5, first 2 shown]
	s_and_saveexec_b32 s4, s1
	s_cbranch_execz .LBB60_15
; %bb.14:                               ;   in Loop: Header=BB60_9 Depth=1
	ds_store_b64 v21, v[3:4] offset:8
.LBB60_15:                              ;   in Loop: Header=BB60_9 Depth=1
	s_or_b32 exec_lo, exec_lo, s4
	s_lshl_b32 s4, s8, 3
	s_mul_i32 s5, s8, s12
	s_add_i32 s31, s4, 0
	s_lshl_b32 s4, s5, 3
	s_waitcnt lgkmcnt(0)
	s_add_i32 s31, s31, s4
	s_barrier
	buffer_gl0_inv
	s_and_saveexec_b32 s34, s2
	s_cbranch_execz .LBB60_28
; %bb.16:                               ;   in Loop: Header=BB60_9 Depth=1
	v_mov_b32_e32 v9, s23
	s_mov_b32 s36, 0
	s_mov_b32 s35, 0
	s_mov_b32 s37, exec_lo
                                        ; implicit-def: $sgpr6_sgpr7
                                        ; implicit-def: $sgpr10_sgpr11
                                        ; implicit-def: $sgpr4_sgpr5
	ds_load_2addr_b64 v[5:8], v9 offset0:2 offset1:3
	ds_load_2addr_b64 v[22:25], v9 offset0:4 offset1:5
	s_waitcnt lgkmcnt(1)
	v_add_f64 v[3:4], v[3:4], v[5:6]
	s_delay_alu instid0(VALU_DEP_1) | instskip(SKIP_1) | instid1(VALU_DEP_1)
	v_add_f64 v[3:4], v[3:4], v[7:8]
	s_waitcnt lgkmcnt(0)
	v_add_f64 v[3:4], v[3:4], v[22:23]
	s_delay_alu instid0(VALU_DEP_1) | instskip(SKIP_4) | instid1(VALU_DEP_1)
	v_add_f64 v[7:8], v[3:4], v[24:25]
	ds_load_2addr_b64 v[3:6], v9 offset0:6 offset1:7
	ds_load_b64 v[9:10], v9 offset:64
	s_waitcnt lgkmcnt(1)
	v_add_f64 v[3:4], v[7:8], v[3:4]
	v_add_f64 v[3:4], v[3:4], v[5:6]
	s_waitcnt lgkmcnt(0)
	s_delay_alu instid0(VALU_DEP_1) | instskip(NEXT) | instid1(VALU_DEP_1)
	v_add_f64 v[7:8], v[3:4], v[9:10]
                                        ; implicit-def: $vgpr3_vgpr4
	v_cmpx_nlt_f64_e32 0, v[7:8]
	s_xor_b32 s37, exec_lo, s37
	s_cbranch_execz .LBB60_21
; %bb.17:                               ;   in Loop: Header=BB60_9 Depth=1
	v_dual_mov_b32 v3, v2 :: v_dual_mov_b32 v4, s23
	s_and_b32 vcc_lo, exec_lo, s25
	ds_store_b64 v4, v[2:3]
	s_cbranch_vccz .LBB60_19
; %bb.18:                               ;   in Loop: Header=BB60_9 Depth=1
	v_mov_b32_e32 v3, s31
	s_mov_b32 s35, -1
	s_mov_b64 s[4:5], 1.0
	ds_load_b64 v[3:4], v3
	s_branch .LBB60_20
.LBB60_19:                              ;   in Loop: Header=BB60_9 Depth=1
                                        ; implicit-def: $vgpr3_vgpr4
                                        ; implicit-def: $sgpr4_sgpr5
.LBB60_20:                              ;   in Loop: Header=BB60_9 Depth=1
	s_mov_b64 s[10:11], 0
	s_mov_b64 s[6:7], 1.0
	s_and_b32 s35, s35, exec_lo
                                        ; implicit-def: $vgpr7_vgpr8
.LBB60_21:                              ;   in Loop: Header=BB60_9 Depth=1
	s_or_saveexec_b32 s37, s37
	v_dual_mov_b32 v6, s5 :: v_dual_mov_b32 v5, s4
	s_xor_b32 exec_lo, exec_lo, s37
	s_cbranch_execz .LBB60_23
; %bb.22:                               ;   in Loop: Header=BB60_9 Depth=1
	s_waitcnt lgkmcnt(0)
	v_mov_b32_e32 v3, s31
	s_and_b32 s5, s25, exec_lo
	s_and_b32 s36, s24, exec_lo
	ds_load_b64 v[5:6], v3
	s_waitcnt lgkmcnt(0)
	v_fma_f64 v[3:4], v[5:6], v[5:6], v[7:8]
	s_delay_alu instid0(VALU_DEP_1) | instskip(SKIP_1) | instid1(VALU_DEP_1)
	v_cmp_gt_f64_e32 vcc_lo, 0x10000000, v[3:4]
	v_cndmask_b32_e64 v7, 0, 1, vcc_lo
	v_lshlrev_b32_e32 v7, 8, v7
	s_delay_alu instid0(VALU_DEP_1) | instskip(NEXT) | instid1(VALU_DEP_1)
	v_ldexp_f64 v[3:4], v[3:4], v7
	v_rsq_f64_e32 v[7:8], v[3:4]
	s_waitcnt_depctr 0xfff
	v_mul_f64 v[9:10], v[3:4], v[7:8]
	v_mul_f64 v[7:8], v[7:8], 0.5
	s_delay_alu instid0(VALU_DEP_1) | instskip(NEXT) | instid1(VALU_DEP_1)
	v_fma_f64 v[22:23], -v[7:8], v[9:10], 0.5
	v_fma_f64 v[9:10], v[9:10], v[22:23], v[9:10]
	v_fma_f64 v[7:8], v[7:8], v[22:23], v[7:8]
	s_delay_alu instid0(VALU_DEP_2) | instskip(NEXT) | instid1(VALU_DEP_1)
	v_fma_f64 v[22:23], -v[9:10], v[9:10], v[3:4]
	v_fma_f64 v[9:10], v[22:23], v[7:8], v[9:10]
	s_delay_alu instid0(VALU_DEP_1) | instskip(NEXT) | instid1(VALU_DEP_1)
	v_fma_f64 v[22:23], -v[9:10], v[9:10], v[3:4]
	v_fma_f64 v[7:8], v[22:23], v[7:8], v[9:10]
	v_cndmask_b32_e64 v9, 0, 0xffffff80, vcc_lo
	v_cmp_class_f64_e64 vcc_lo, v[3:4], 0x260
	s_delay_alu instid0(VALU_DEP_2) | instskip(NEXT) | instid1(VALU_DEP_1)
	v_ldexp_f64 v[7:8], v[7:8], v9
	v_dual_cndmask_b32 v4, v8, v4 :: v_dual_cndmask_b32 v3, v7, v3
	v_cmp_le_f64_e32 vcc_lo, 0, v[5:6]
	s_delay_alu instid0(VALU_DEP_2) | instskip(NEXT) | instid1(VALU_DEP_1)
	v_xor_b32_e32 v7, 0x80000000, v4
	v_cndmask_b32_e32 v4, v4, v7, vcc_lo
	s_delay_alu instid0(VALU_DEP_1) | instskip(SKIP_1) | instid1(VALU_DEP_2)
	v_add_f64 v[7:8], v[5:6], -v[3:4]
	v_add_f64 v[5:6], v[3:4], -v[5:6]
	v_div_scale_f64 v[9:10], null, v[7:8], v[7:8], 1.0
	s_delay_alu instid0(VALU_DEP_2) | instskip(SKIP_1) | instid1(VALU_DEP_3)
	v_div_scale_f64 v[22:23], null, v[3:4], v[3:4], v[5:6]
	v_div_scale_f64 v[32:33], vcc_lo, 1.0, v[7:8], 1.0
	v_rcp_f64_e32 v[24:25], v[9:10]
	s_delay_alu instid0(VALU_DEP_2) | instskip(SKIP_3) | instid1(VALU_DEP_2)
	v_rcp_f64_e32 v[26:27], v[22:23]
	s_waitcnt_depctr 0xfff
	v_fma_f64 v[28:29], -v[9:10], v[24:25], 1.0
	v_fma_f64 v[30:31], -v[22:23], v[26:27], 1.0
	v_fma_f64 v[24:25], v[24:25], v[28:29], v[24:25]
	s_delay_alu instid0(VALU_DEP_2) | instskip(NEXT) | instid1(VALU_DEP_2)
	v_fma_f64 v[26:27], v[26:27], v[30:31], v[26:27]
	v_fma_f64 v[28:29], -v[9:10], v[24:25], 1.0
	s_delay_alu instid0(VALU_DEP_2) | instskip(NEXT) | instid1(VALU_DEP_2)
	v_fma_f64 v[30:31], -v[22:23], v[26:27], 1.0
	v_fma_f64 v[24:25], v[24:25], v[28:29], v[24:25]
	v_div_scale_f64 v[28:29], s4, v[5:6], v[3:4], v[5:6]
	s_delay_alu instid0(VALU_DEP_3) | instskip(NEXT) | instid1(VALU_DEP_3)
	v_fma_f64 v[26:27], v[26:27], v[30:31], v[26:27]
	v_mul_f64 v[30:31], v[32:33], v[24:25]
	s_delay_alu instid0(VALU_DEP_2) | instskip(NEXT) | instid1(VALU_DEP_2)
	v_mul_f64 v[34:35], v[28:29], v[26:27]
	v_fma_f64 v[9:10], -v[9:10], v[30:31], v[32:33]
	s_delay_alu instid0(VALU_DEP_2) | instskip(NEXT) | instid1(VALU_DEP_2)
	v_fma_f64 v[22:23], -v[22:23], v[34:35], v[28:29]
	v_div_fmas_f64 v[9:10], v[9:10], v[24:25], v[30:31]
	s_mov_b32 vcc_lo, s4
	s_and_not1_b32 s4, s35, exec_lo
	s_delay_alu instid0(VALU_DEP_2) | instskip(SKIP_1) | instid1(VALU_DEP_1)
	v_div_fmas_f64 v[22:23], v[22:23], v[26:27], v[34:35]
	s_or_b32 s35, s4, s5
	v_div_fixup_f64 v[22:23], v[22:23], v[3:4], v[5:6]
	s_delay_alu instid0(VALU_DEP_3)
	v_div_fixup_f64 v[5:6], v[9:10], v[7:8], 1.0
	v_mov_b32_e32 v7, s23
	ds_store_b64 v7, v[22:23]
.LBB60_23:                              ;   in Loop: Header=BB60_9 Depth=1
	s_or_b32 exec_lo, exec_lo, s37
	s_and_saveexec_b32 s4, s35
	s_cbranch_execz .LBB60_25
; %bb.24:                               ;   in Loop: Header=BB60_9 Depth=1
	s_lshl_b64 s[38:39], s[8:9], 3
	s_delay_alu instid0(SALU_CYCLE_1)
	s_add_u32 s38, s19, s38
	s_addc_u32 s39, s20, s39
	s_or_b32 s36, s36, exec_lo
	s_waitcnt lgkmcnt(0)
	global_store_b64 v2, v[3:4], s[38:39]
	v_mov_b32_e32 v3, 0
	v_mov_b32_e32 v4, 0x3ff00000
.LBB60_25:                              ;   in Loop: Header=BB60_9 Depth=1
	s_or_b32 exec_lo, exec_lo, s4
	v_dual_mov_b32 v7, s10 :: v_dual_mov_b32 v8, s11
	v_dual_mov_b32 v10, s7 :: v_dual_mov_b32 v9, s6
	s_and_saveexec_b32 s4, s36
	s_cbranch_execz .LBB60_27
; %bb.26:                               ;   in Loop: Header=BB60_9 Depth=1
	v_dual_mov_b32 v7, s31 :: v_dual_mov_b32 v8, s23
	v_dual_mov_b32 v10, v6 :: v_dual_mov_b32 v9, v5
	s_waitcnt lgkmcnt(0)
	ds_store_b64 v7, v[3:4]
	ds_load_b64 v[7:8], v8
.LBB60_27:                              ;   in Loop: Header=BB60_9 Depth=1
	s_or_b32 exec_lo, exec_lo, s4
	s_lshl_b64 s[4:5], s[8:9], 3
	s_waitcnt lgkmcnt(0)
	v_mov_b32_e32 v3, s23
	s_add_u32 s4, s15, s4
	s_addc_u32 s5, s21, s5
	global_store_b64 v2, v[7:8], s[4:5]
	ds_store_b64 v3, v[9:10] offset:8
.LBB60_28:                              ;   in Loop: Header=BB60_9 Depth=1
	s_or_b32 exec_lo, exec_lo, s34
	s_waitcnt lgkmcnt(0)
	s_waitcnt_vscnt null, 0x0
	s_barrier
	buffer_gl0_inv
	s_and_saveexec_b32 s4, s3
	s_cbranch_execz .LBB60_31
; %bb.29:                               ;   in Loop: Header=BB60_9 Depth=1
	v_mov_b32_e32 v3, v0
	s_mov_b32 s3, 0
	s_mov_b32 s5, 0
	.p2align	6
.LBB60_30:                              ;   Parent Loop BB60_9 Depth=1
                                        ; =>  This Inner Loop Header: Depth=2
	s_delay_alu instid0(VALU_DEP_1)
	v_dual_mov_b32 v4, s23 :: v_dual_add_nc_u32 v3, 0x100, v3
	v_add_nc_u32_e32 v8, s5, v18
	s_addk_i32 s5, 0x800
	ds_load_b64 v[4:5], v4 offset:8
	ds_load_b64 v[6:7], v8
	v_cmp_le_i32_e32 vcc_lo, s33, v3
	s_or_b32 s3, vcc_lo, s3
	s_waitcnt lgkmcnt(0)
	v_mul_f64 v[4:5], v[4:5], v[6:7]
	ds_store_b64 v8, v[4:5]
	s_and_not1_b32 exec_lo, exec_lo, s3
	s_cbranch_execnz .LBB60_30
.LBB60_31:                              ;   in Loop: Header=BB60_9 Depth=1
	s_or_b32 exec_lo, exec_lo, s4
	s_not_b32 s3, s8
	s_mov_b32 s4, exec_lo
	s_add_i32 s3, s3, s13
	s_waitcnt lgkmcnt(0)
	s_barrier
	buffer_gl0_inv
	v_cmpx_gt_i32_e64 s3, v0
	s_cbranch_execz .LBB60_37
; %bb.32:                               ;   in Loop: Header=BB60_9 Depth=1
	v_dual_mov_b32 v5, v19 :: v_dual_mov_b32 v6, v0
	s_cmp_gt_i32 s30, 0
	s_mov_b32 s5, 0
	s_cselect_b32 s6, -1, 0
	s_set_inst_prefetch_distance 0x1
	s_branch .LBB60_34
	.p2align	6
.LBB60_33:                              ;   in Loop: Header=BB60_34 Depth=2
	v_mov_b32_e32 v7, s23
	v_add_nc_u32_e32 v5, s28, v5
	ds_load_b64 v[7:8], v7
	s_waitcnt lgkmcnt(0)
	v_mul_f64 v[3:4], v[3:4], v[7:8]
	v_lshl_add_u32 v7, v6, 3, s22
	v_add_nc_u32_e32 v6, 0x100, v6
	s_delay_alu instid0(VALU_DEP_1)
	v_cmp_le_i32_e32 vcc_lo, s3, v6
	s_or_b32 s5, vcc_lo, s5
	ds_store_b64 v7, v[3:4]
	s_and_not1_b32 exec_lo, exec_lo, s5
	s_cbranch_execz .LBB60_37
.LBB60_34:                              ;   Parent Loop BB60_9 Depth=1
                                        ; =>  This Loop Header: Depth=2
                                        ;       Child Loop BB60_36 Depth 3
	v_mov_b32_e32 v3, 0
	v_mov_b32_e32 v4, 0
	s_and_not1_b32 vcc_lo, exec_lo, s6
	s_cbranch_vccnz .LBB60_33
; %bb.35:                               ;   in Loop: Header=BB60_34 Depth=2
	v_mov_b32_e32 v7, v5
	s_mov_b32 s7, 0
	s_mov_b32 s10, s29
.LBB60_36:                              ;   Parent Loop BB60_9 Depth=1
                                        ;     Parent Loop BB60_34 Depth=2
                                        ; =>    This Inner Loop Header: Depth=3
	s_delay_alu instid0(SALU_CYCLE_1)
	v_mov_b32_e32 v10, s10
	s_add_i32 s7, s7, 1
	s_add_i32 s10, s10, 8
	s_cmp_ge_i32 s7, s30
	ds_load_b64 v[8:9], v7
	ds_load_b64 v[22:23], v10
	v_add_nc_u32_e32 v7, 8, v7
	s_waitcnt lgkmcnt(0)
	v_fma_f64 v[3:4], v[8:9], v[22:23], v[3:4]
	s_cbranch_scc0 .LBB60_36
	s_branch .LBB60_33
.LBB60_37:                              ;   in Loop: Header=BB60_9 Depth=1
	s_set_inst_prefetch_distance 0x2
	s_or_b32 exec_lo, exec_lo, s4
	s_delay_alu instid0(SALU_CYCLE_1)
	s_mov_b32 s4, exec_lo
	s_waitcnt lgkmcnt(0)
	s_barrier
	buffer_gl0_inv
	v_cmpx_gt_i32_e64 s30, v0
	s_cbranch_execz .LBB60_8
; %bb.38:                               ;   in Loop: Header=BB60_9 Depth=1
	v_mov_b32_e32 v3, v20
	v_mov_b32_e32 v4, v0
	s_cmp_gt_i32 s3, 0
	s_mov_b32 s5, 0
	s_cselect_b32 s6, -1, 0
	s_set_inst_prefetch_distance 0x1
	s_branch .LBB60_40
	.p2align	6
.LBB60_39:                              ;   in Loop: Header=BB60_40 Depth=2
	v_add_nc_u32_e32 v4, 0x100, v4
	v_add_nc_u32_e32 v3, 0x800, v3
	s_delay_alu instid0(VALU_DEP_2) | instskip(SKIP_1) | instid1(SALU_CYCLE_1)
	v_cmp_le_i32_e32 vcc_lo, s30, v4
	s_or_b32 s5, vcc_lo, s5
	s_and_not1_b32 exec_lo, exec_lo, s5
	s_cbranch_execz .LBB60_8
.LBB60_40:                              ;   Parent Loop BB60_9 Depth=1
                                        ; =>  This Loop Header: Depth=2
                                        ;       Child Loop BB60_42 Depth 3
	s_and_not1_b32 vcc_lo, exec_lo, s6
	s_cbranch_vccnz .LBB60_39
; %bb.41:                               ;   in Loop: Header=BB60_40 Depth=2
	v_lshl_add_u32 v5, v4, 3, s31
	v_mov_b32_e32 v6, v3
	s_mov_b32 s7, 0
	s_mov_b32 s10, s22
	.p2align	6
.LBB60_42:                              ;   Parent Loop BB60_9 Depth=1
                                        ;     Parent Loop BB60_40 Depth=2
                                        ; =>    This Inner Loop Header: Depth=3
	s_delay_alu instid0(SALU_CYCLE_1)
	v_mov_b32_e32 v22, s10
	s_add_i32 s7, s7, 1
	s_add_i32 s10, s10, 8
	ds_load_b64 v[7:8], v6
	ds_load_b64 v[9:10], v5
	;; [unrolled: 1-line block ×3, first 2 shown]
	s_cmp_ge_i32 s7, s3
	s_waitcnt lgkmcnt(0)
	v_fma_f64 v[7:8], -v[9:10], v[22:23], v[7:8]
	ds_store_b64 v6, v[7:8]
	v_add_nc_u32_e32 v6, s26, v6
	s_cbranch_scc0 .LBB60_42
	s_branch .LBB60_39
.LBB60_43:
	s_and_saveexec_b32 s1, s0
	s_cbranch_execz .LBB60_49
; %bb.44:
	v_mul_lo_u32 v0, s12, v11
	v_mad_u64_u32 v[2:3], null, s17, v11, v[1:2]
	v_cmp_gt_i32_e32 vcc_lo, s13, v11
	s_lshl_b32 s2, s17, 1
	s_mov_b32 s3, 0
	s_lshl_b32 s4, s12, 4
	s_delay_alu instid0(VALU_DEP_3) | instskip(NEXT) | instid1(VALU_DEP_1)
	v_lshlrev_b32_e32 v0, 3, v0
	v_add3_u32 v0, v0, v12, 0
	s_set_inst_prefetch_distance 0x1
	s_branch .LBB60_46
	.p2align	6
.LBB60_45:                              ;   in Loop: Header=BB60_46 Depth=1
	s_or_b32 exec_lo, exec_lo, s5
	v_add_nc_u32_e32 v1, 0x80, v1
	v_add_nc_u32_e32 v2, 0x80, v2
	;; [unrolled: 1-line block ×3, first 2 shown]
	s_delay_alu instid0(VALU_DEP_3) | instskip(NEXT) | instid1(VALU_DEP_1)
	v_cmp_le_i32_e64 s0, s12, v1
	s_or_b32 s3, s0, s3
	s_delay_alu instid0(SALU_CYCLE_1)
	s_and_not1_b32 exec_lo, exec_lo, s3
	s_cbranch_execz .LBB60_49
.LBB60_46:                              ; =>This Loop Header: Depth=1
                                        ;     Child Loop BB60_48 Depth 2
	s_and_saveexec_b32 s5, vcc_lo
	s_cbranch_execz .LBB60_45
; %bb.47:                               ;   in Loop: Header=BB60_46 Depth=1
	v_dual_mov_b32 v5, v0 :: v_dual_mov_b32 v6, v11
	v_mov_b32_e32 v3, v2
	s_mov_b32 s6, 0
	.p2align	6
.LBB60_48:                              ;   Parent Loop BB60_46 Depth=1
                                        ; =>  This Inner Loop Header: Depth=2
	ds_load_b64 v[7:8], v5
	v_ashrrev_i32_e32 v4, 31, v3
	v_add_nc_u32_e32 v6, 2, v6
	v_add_nc_u32_e32 v5, s4, v5
	s_delay_alu instid0(VALU_DEP_3) | instskip(NEXT) | instid1(VALU_DEP_3)
	v_lshlrev_b64 v[9:10], 3, v[3:4]
	v_cmp_le_i32_e64 s0, s13, v6
	v_add_nc_u32_e32 v3, s2, v3
	s_delay_alu instid0(VALU_DEP_2) | instskip(NEXT) | instid1(VALU_DEP_3)
	s_or_b32 s6, s0, s6
	v_add_co_u32 v9, s1, s14, v9
	s_delay_alu instid0(VALU_DEP_1)
	v_add_co_ci_u32_e64 v10, s1, s16, v10, s1
	s_waitcnt lgkmcnt(0)
	global_store_b64 v[9:10], v[7:8], off
	s_and_not1_b32 exec_lo, exec_lo, s6
	s_cbranch_execnz .LBB60_48
	s_branch .LBB60_45
.LBB60_49:
	s_set_inst_prefetch_distance 0x2
	s_nop 0
	s_sendmsg sendmsg(MSG_DEALLOC_VGPRS)
	s_endpgm
	.section	.rodata,"a",@progbits
	.p2align	6, 0x0
	.amdhsa_kernel _ZN9rocsolver6v33100L18geqr2_kernel_smallILi256EdidPdEEvT1_S3_T3_lS3_lPT2_lPT0_l
		.amdhsa_group_segment_fixed_size 0
		.amdhsa_private_segment_fixed_size 0
		.amdhsa_kernarg_size 72
		.amdhsa_user_sgpr_count 14
		.amdhsa_user_sgpr_dispatch_ptr 0
		.amdhsa_user_sgpr_queue_ptr 0
		.amdhsa_user_sgpr_kernarg_segment_ptr 1
		.amdhsa_user_sgpr_dispatch_id 0
		.amdhsa_user_sgpr_private_segment_size 0
		.amdhsa_wavefront_size32 1
		.amdhsa_uses_dynamic_stack 0
		.amdhsa_enable_private_segment 0
		.amdhsa_system_sgpr_workgroup_id_x 1
		.amdhsa_system_sgpr_workgroup_id_y 0
		.amdhsa_system_sgpr_workgroup_id_z 1
		.amdhsa_system_sgpr_workgroup_info 0
		.amdhsa_system_vgpr_workitem_id 0
		.amdhsa_next_free_vgpr 36
		.amdhsa_next_free_sgpr 40
		.amdhsa_reserve_vcc 1
		.amdhsa_float_round_mode_32 0
		.amdhsa_float_round_mode_16_64 0
		.amdhsa_float_denorm_mode_32 3
		.amdhsa_float_denorm_mode_16_64 3
		.amdhsa_dx10_clamp 1
		.amdhsa_ieee_mode 1
		.amdhsa_fp16_overflow 0
		.amdhsa_workgroup_processor_mode 1
		.amdhsa_memory_ordered 1
		.amdhsa_forward_progress 0
		.amdhsa_shared_vgpr_count 0
		.amdhsa_exception_fp_ieee_invalid_op 0
		.amdhsa_exception_fp_denorm_src 0
		.amdhsa_exception_fp_ieee_div_zero 0
		.amdhsa_exception_fp_ieee_overflow 0
		.amdhsa_exception_fp_ieee_underflow 0
		.amdhsa_exception_fp_ieee_inexact 0
		.amdhsa_exception_int_div_zero 0
	.end_amdhsa_kernel
	.section	.text._ZN9rocsolver6v33100L18geqr2_kernel_smallILi256EdidPdEEvT1_S3_T3_lS3_lPT2_lPT0_l,"axG",@progbits,_ZN9rocsolver6v33100L18geqr2_kernel_smallILi256EdidPdEEvT1_S3_T3_lS3_lPT2_lPT0_l,comdat
.Lfunc_end60:
	.size	_ZN9rocsolver6v33100L18geqr2_kernel_smallILi256EdidPdEEvT1_S3_T3_lS3_lPT2_lPT0_l, .Lfunc_end60-_ZN9rocsolver6v33100L18geqr2_kernel_smallILi256EdidPdEEvT1_S3_T3_lS3_lPT2_lPT0_l
                                        ; -- End function
	.section	.AMDGPU.csdata,"",@progbits
; Kernel info:
; codeLenInByte = 2812
; NumSgprs: 42
; NumVgprs: 36
; ScratchSize: 0
; MemoryBound: 0
; FloatMode: 240
; IeeeMode: 1
; LDSByteSize: 0 bytes/workgroup (compile time only)
; SGPRBlocks: 5
; VGPRBlocks: 4
; NumSGPRsForWavesPerEU: 42
; NumVGPRsForWavesPerEU: 36
; Occupancy: 16
; WaveLimiterHint : 0
; COMPUTE_PGM_RSRC2:SCRATCH_EN: 0
; COMPUTE_PGM_RSRC2:USER_SGPR: 14
; COMPUTE_PGM_RSRC2:TRAP_HANDLER: 0
; COMPUTE_PGM_RSRC2:TGID_X_EN: 1
; COMPUTE_PGM_RSRC2:TGID_Y_EN: 0
; COMPUTE_PGM_RSRC2:TGID_Z_EN: 1
; COMPUTE_PGM_RSRC2:TIDIG_COMP_CNT: 0
	.section	.text._ZN9rocsolver6v33100L16reset_batch_infoIdiiPdEEvT2_lT0_T1_,"axG",@progbits,_ZN9rocsolver6v33100L16reset_batch_infoIdiiPdEEvT2_lT0_T1_,comdat
	.globl	_ZN9rocsolver6v33100L16reset_batch_infoIdiiPdEEvT2_lT0_T1_ ; -- Begin function _ZN9rocsolver6v33100L16reset_batch_infoIdiiPdEEvT2_lT0_T1_
	.p2align	8
	.type	_ZN9rocsolver6v33100L16reset_batch_infoIdiiPdEEvT2_lT0_T1_,@function
_ZN9rocsolver6v33100L16reset_batch_infoIdiiPdEEvT2_lT0_T1_: ; @_ZN9rocsolver6v33100L16reset_batch_infoIdiiPdEEvT2_lT0_T1_
; %bb.0:
	s_clause 0x1
	s_load_b32 s4, s[0:1], 0x24
	s_load_b64 s[2:3], s[0:1], 0x10
	s_waitcnt lgkmcnt(0)
	s_and_b32 s4, s4, 0xffff
	s_delay_alu instid0(SALU_CYCLE_1) | instskip(NEXT) | instid1(VALU_DEP_1)
	v_mad_u64_u32 v[1:2], null, s14, s4, v[0:1]
	v_cmp_gt_i32_e32 vcc_lo, s2, v1
	s_and_saveexec_b32 s2, vcc_lo
	s_cbranch_execz .LBB61_2
; %bb.1:
	v_cvt_f64_i32_e32 v[3:4], s3
	s_load_b128 s[4:7], s[0:1], 0x0
	v_ashrrev_i32_e32 v2, 31, v1
	s_ashr_i32 s0, s15, 31
	s_delay_alu instid0(VALU_DEP_1)
	v_lshlrev_b64 v[0:1], 3, v[1:2]
	s_waitcnt lgkmcnt(0)
	s_mul_i32 s1, s15, s7
	s_mul_hi_u32 s2, s15, s6
	s_mul_i32 s0, s0, s6
	s_add_i32 s1, s2, s1
	s_delay_alu instid0(SALU_CYCLE_1) | instskip(SKIP_1) | instid1(SALU_CYCLE_1)
	s_add_i32 s1, s1, s0
	s_mul_i32 s0, s15, s6
	s_lshl_b64 s[0:1], s[0:1], 3
	s_delay_alu instid0(SALU_CYCLE_1)
	s_add_u32 s0, s4, s0
	s_addc_u32 s1, s5, s1
	v_add_co_u32 v0, vcc_lo, s0, v0
	v_add_co_ci_u32_e32 v1, vcc_lo, s1, v1, vcc_lo
	global_store_b64 v[0:1], v[3:4], off
.LBB61_2:
	s_nop 0
	s_sendmsg sendmsg(MSG_DEALLOC_VGPRS)
	s_endpgm
	.section	.rodata,"a",@progbits
	.p2align	6, 0x0
	.amdhsa_kernel _ZN9rocsolver6v33100L16reset_batch_infoIdiiPdEEvT2_lT0_T1_
		.amdhsa_group_segment_fixed_size 0
		.amdhsa_private_segment_fixed_size 0
		.amdhsa_kernarg_size 280
		.amdhsa_user_sgpr_count 14
		.amdhsa_user_sgpr_dispatch_ptr 0
		.amdhsa_user_sgpr_queue_ptr 0
		.amdhsa_user_sgpr_kernarg_segment_ptr 1
		.amdhsa_user_sgpr_dispatch_id 0
		.amdhsa_user_sgpr_private_segment_size 0
		.amdhsa_wavefront_size32 1
		.amdhsa_uses_dynamic_stack 0
		.amdhsa_enable_private_segment 0
		.amdhsa_system_sgpr_workgroup_id_x 1
		.amdhsa_system_sgpr_workgroup_id_y 1
		.amdhsa_system_sgpr_workgroup_id_z 0
		.amdhsa_system_sgpr_workgroup_info 0
		.amdhsa_system_vgpr_workitem_id 0
		.amdhsa_next_free_vgpr 5
		.amdhsa_next_free_sgpr 16
		.amdhsa_reserve_vcc 1
		.amdhsa_float_round_mode_32 0
		.amdhsa_float_round_mode_16_64 0
		.amdhsa_float_denorm_mode_32 3
		.amdhsa_float_denorm_mode_16_64 3
		.amdhsa_dx10_clamp 1
		.amdhsa_ieee_mode 1
		.amdhsa_fp16_overflow 0
		.amdhsa_workgroup_processor_mode 1
		.amdhsa_memory_ordered 1
		.amdhsa_forward_progress 0
		.amdhsa_shared_vgpr_count 0
		.amdhsa_exception_fp_ieee_invalid_op 0
		.amdhsa_exception_fp_denorm_src 0
		.amdhsa_exception_fp_ieee_div_zero 0
		.amdhsa_exception_fp_ieee_overflow 0
		.amdhsa_exception_fp_ieee_underflow 0
		.amdhsa_exception_fp_ieee_inexact 0
		.amdhsa_exception_int_div_zero 0
	.end_amdhsa_kernel
	.section	.text._ZN9rocsolver6v33100L16reset_batch_infoIdiiPdEEvT2_lT0_T1_,"axG",@progbits,_ZN9rocsolver6v33100L16reset_batch_infoIdiiPdEEvT2_lT0_T1_,comdat
.Lfunc_end61:
	.size	_ZN9rocsolver6v33100L16reset_batch_infoIdiiPdEEvT2_lT0_T1_, .Lfunc_end61-_ZN9rocsolver6v33100L16reset_batch_infoIdiiPdEEvT2_lT0_T1_
                                        ; -- End function
	.section	.AMDGPU.csdata,"",@progbits
; Kernel info:
; codeLenInByte = 168
; NumSgprs: 18
; NumVgprs: 5
; ScratchSize: 0
; MemoryBound: 0
; FloatMode: 240
; IeeeMode: 1
; LDSByteSize: 0 bytes/workgroup (compile time only)
; SGPRBlocks: 2
; VGPRBlocks: 0
; NumSGPRsForWavesPerEU: 18
; NumVGPRsForWavesPerEU: 5
; Occupancy: 16
; WaveLimiterHint : 0
; COMPUTE_PGM_RSRC2:SCRATCH_EN: 0
; COMPUTE_PGM_RSRC2:USER_SGPR: 14
; COMPUTE_PGM_RSRC2:TRAP_HANDLER: 0
; COMPUTE_PGM_RSRC2:TGID_X_EN: 1
; COMPUTE_PGM_RSRC2:TGID_Y_EN: 1
; COMPUTE_PGM_RSRC2:TGID_Z_EN: 0
; COMPUTE_PGM_RSRC2:TIDIG_COMP_CNT: 0
	.section	.text._ZN9rocsolver6v33100L8set_diagIdidPdTnNSt9enable_ifIXoont18rocblas_is_complexIT_E18rocblas_is_complexIT1_EEiE4typeELi0EEEvPS5_llT2_lT0_lSA_b,"axG",@progbits,_ZN9rocsolver6v33100L8set_diagIdidPdTnNSt9enable_ifIXoont18rocblas_is_complexIT_E18rocblas_is_complexIT1_EEiE4typeELi0EEEvPS5_llT2_lT0_lSA_b,comdat
	.globl	_ZN9rocsolver6v33100L8set_diagIdidPdTnNSt9enable_ifIXoont18rocblas_is_complexIT_E18rocblas_is_complexIT1_EEiE4typeELi0EEEvPS5_llT2_lT0_lSA_b ; -- Begin function _ZN9rocsolver6v33100L8set_diagIdidPdTnNSt9enable_ifIXoont18rocblas_is_complexIT_E18rocblas_is_complexIT1_EEiE4typeELi0EEEvPS5_llT2_lT0_lSA_b
	.p2align	8
	.type	_ZN9rocsolver6v33100L8set_diagIdidPdTnNSt9enable_ifIXoont18rocblas_is_complexIT_E18rocblas_is_complexIT1_EEiE4typeELi0EEEvPS5_llT2_lT0_lSA_b,@function
_ZN9rocsolver6v33100L8set_diagIdidPdTnNSt9enable_ifIXoont18rocblas_is_complexIT_E18rocblas_is_complexIT1_EEiE4typeELi0EEEvPS5_llT2_lT0_lSA_b: ; @_ZN9rocsolver6v33100L8set_diagIdidPdTnNSt9enable_ifIXoont18rocblas_is_complexIT_E18rocblas_is_complexIT1_EEiE4typeELi0EEEvPS5_llT2_lT0_lSA_b
; %bb.0:
	s_clause 0x1
	s_load_b32 s4, s[0:1], 0x4c
	s_load_b64 s[2:3], s[0:1], 0x38
	v_bfe_u32 v2, v0, 10, 10
	s_waitcnt lgkmcnt(0)
	s_lshr_b32 s4, s4, 16
	s_delay_alu instid0(VALU_DEP_1) | instid1(SALU_CYCLE_1)
	v_mad_u64_u32 v[0:1], null, s15, s4, v[2:3]
	s_delay_alu instid0(VALU_DEP_1)
	v_cmp_gt_i32_e32 vcc_lo, s2, v0
	s_and_saveexec_b32 s2, vcc_lo
	s_cbranch_execz .LBB62_2
; %bb.1:
	s_clause 0x3
	s_load_b32 s2, s[0:1], 0x28
	s_load_b64 s[12:13], s[0:1], 0x30
	s_load_b256 s[4:11], s[0:1], 0x0
	s_load_b64 s[0:1], s[0:1], 0x20
	s_bitcmp1_b32 s3, 0
	s_cselect_b32 s15, -1, 0
	s_ashr_i32 s16, s14, 31
	s_waitcnt lgkmcnt(0)
	v_mad_u64_u32 v[1:2], null, v0, s2, v[0:1]
	s_mul_i32 s2, s14, s13
	s_mul_hi_u32 s3, s14, s12
	s_mul_i32 s13, s16, s12
	s_add_i32 s3, s3, s2
	s_mul_i32 s2, s14, s12
	s_add_i32 s3, s3, s13
	s_delay_alu instid0(VALU_DEP_1)
	v_ashrrev_i32_e32 v2, 31, v1
	s_lshl_b64 s[2:3], s[2:3], 3
	s_mul_i32 s16, s16, s8
	s_add_u32 s2, s10, s2
	s_addc_u32 s3, s11, s3
	v_lshlrev_b64 v[1:2], 3, v[1:2]
	s_lshl_b64 s[0:1], s[0:1], 3
	s_delay_alu instid0(SALU_CYCLE_1) | instskip(SKIP_1) | instid1(VALU_DEP_1)
	s_add_u32 s0, s2, s0
	s_addc_u32 s1, s3, s1
	v_add_co_u32 v3, vcc_lo, s0, v1
	s_delay_alu instid0(VALU_DEP_2)
	v_add_co_ci_u32_e32 v4, vcc_lo, s1, v2, vcc_lo
	s_mul_i32 s0, s14, s9
	s_mul_hi_u32 s1, s14, s8
	v_ashrrev_i32_e32 v1, 31, v0
	global_load_b64 v[5:6], v[3:4], off
	s_add_i32 s1, s1, s0
	s_mul_i32 s0, s14, s8
	s_add_i32 s1, s1, s16
	v_lshlrev_b64 v[0:1], 3, v[0:1]
	s_lshl_b64 s[0:1], s[0:1], 3
	s_delay_alu instid0(SALU_CYCLE_1) | instskip(SKIP_2) | instid1(SALU_CYCLE_1)
	s_add_u32 s2, s4, s0
	s_addc_u32 s3, s5, s1
	s_lshl_b64 s[0:1], s[6:7], 3
	s_add_u32 s0, s2, s0
	s_addc_u32 s1, s3, s1
	v_add_co_u32 v0, vcc_lo, s0, v0
	v_add_co_ci_u32_e32 v1, vcc_lo, s1, v1, vcc_lo
	s_waitcnt vmcnt(0)
	v_cndmask_b32_e64 v8, v6, 0x3ff00000, s15
	v_cndmask_b32_e64 v7, v5, 0, s15
	global_store_b64 v[0:1], v[5:6], off
	global_store_b64 v[3:4], v[7:8], off
.LBB62_2:
	s_nop 0
	s_sendmsg sendmsg(MSG_DEALLOC_VGPRS)
	s_endpgm
	.section	.rodata,"a",@progbits
	.p2align	6, 0x0
	.amdhsa_kernel _ZN9rocsolver6v33100L8set_diagIdidPdTnNSt9enable_ifIXoont18rocblas_is_complexIT_E18rocblas_is_complexIT1_EEiE4typeELi0EEEvPS5_llT2_lT0_lSA_b
		.amdhsa_group_segment_fixed_size 0
		.amdhsa_private_segment_fixed_size 0
		.amdhsa_kernarg_size 320
		.amdhsa_user_sgpr_count 14
		.amdhsa_user_sgpr_dispatch_ptr 0
		.amdhsa_user_sgpr_queue_ptr 0
		.amdhsa_user_sgpr_kernarg_segment_ptr 1
		.amdhsa_user_sgpr_dispatch_id 0
		.amdhsa_user_sgpr_private_segment_size 0
		.amdhsa_wavefront_size32 1
		.amdhsa_uses_dynamic_stack 0
		.amdhsa_enable_private_segment 0
		.amdhsa_system_sgpr_workgroup_id_x 1
		.amdhsa_system_sgpr_workgroup_id_y 1
		.amdhsa_system_sgpr_workgroup_id_z 0
		.amdhsa_system_sgpr_workgroup_info 0
		.amdhsa_system_vgpr_workitem_id 1
		.amdhsa_next_free_vgpr 9
		.amdhsa_next_free_sgpr 17
		.amdhsa_reserve_vcc 1
		.amdhsa_float_round_mode_32 0
		.amdhsa_float_round_mode_16_64 0
		.amdhsa_float_denorm_mode_32 3
		.amdhsa_float_denorm_mode_16_64 3
		.amdhsa_dx10_clamp 1
		.amdhsa_ieee_mode 1
		.amdhsa_fp16_overflow 0
		.amdhsa_workgroup_processor_mode 1
		.amdhsa_memory_ordered 1
		.amdhsa_forward_progress 0
		.amdhsa_shared_vgpr_count 0
		.amdhsa_exception_fp_ieee_invalid_op 0
		.amdhsa_exception_fp_denorm_src 0
		.amdhsa_exception_fp_ieee_div_zero 0
		.amdhsa_exception_fp_ieee_overflow 0
		.amdhsa_exception_fp_ieee_underflow 0
		.amdhsa_exception_fp_ieee_inexact 0
		.amdhsa_exception_int_div_zero 0
	.end_amdhsa_kernel
	.section	.text._ZN9rocsolver6v33100L8set_diagIdidPdTnNSt9enable_ifIXoont18rocblas_is_complexIT_E18rocblas_is_complexIT1_EEiE4typeELi0EEEvPS5_llT2_lT0_lSA_b,"axG",@progbits,_ZN9rocsolver6v33100L8set_diagIdidPdTnNSt9enable_ifIXoont18rocblas_is_complexIT_E18rocblas_is_complexIT1_EEiE4typeELi0EEEvPS5_llT2_lT0_lSA_b,comdat
.Lfunc_end62:
	.size	_ZN9rocsolver6v33100L8set_diagIdidPdTnNSt9enable_ifIXoont18rocblas_is_complexIT_E18rocblas_is_complexIT1_EEiE4typeELi0EEEvPS5_llT2_lT0_lSA_b, .Lfunc_end62-_ZN9rocsolver6v33100L8set_diagIdidPdTnNSt9enable_ifIXoont18rocblas_is_complexIT_E18rocblas_is_complexIT1_EEiE4typeELi0EEEvPS5_llT2_lT0_lSA_b
                                        ; -- End function
	.section	.AMDGPU.csdata,"",@progbits
; Kernel info:
; codeLenInByte = 344
; NumSgprs: 19
; NumVgprs: 9
; ScratchSize: 0
; MemoryBound: 0
; FloatMode: 240
; IeeeMode: 1
; LDSByteSize: 0 bytes/workgroup (compile time only)
; SGPRBlocks: 2
; VGPRBlocks: 1
; NumSGPRsForWavesPerEU: 19
; NumVGPRsForWavesPerEU: 9
; Occupancy: 16
; WaveLimiterHint : 0
; COMPUTE_PGM_RSRC2:SCRATCH_EN: 0
; COMPUTE_PGM_RSRC2:USER_SGPR: 14
; COMPUTE_PGM_RSRC2:TRAP_HANDLER: 0
; COMPUTE_PGM_RSRC2:TGID_X_EN: 1
; COMPUTE_PGM_RSRC2:TGID_Y_EN: 1
; COMPUTE_PGM_RSRC2:TGID_Z_EN: 0
; COMPUTE_PGM_RSRC2:TIDIG_COMP_CNT: 1
	.section	.text._ZN9rocsolver6v33100L11set_taubetaIdidPdEEvPT_lS4_T2_llPT1_ll,"axG",@progbits,_ZN9rocsolver6v33100L11set_taubetaIdidPdEEvPT_lS4_T2_llPT1_ll,comdat
	.globl	_ZN9rocsolver6v33100L11set_taubetaIdidPdEEvPT_lS4_T2_llPT1_ll ; -- Begin function _ZN9rocsolver6v33100L11set_taubetaIdidPdEEvPT_lS4_T2_llPT1_ll
	.p2align	8
	.type	_ZN9rocsolver6v33100L11set_taubetaIdidPdEEvPT_lS4_T2_llPT1_ll,@function
_ZN9rocsolver6v33100L11set_taubetaIdidPdEEvPT_lS4_T2_llPT1_ll: ; @_ZN9rocsolver6v33100L11set_taubetaIdidPdEEvPT_lS4_T2_llPT1_ll
; %bb.0:
	s_mov_b32 s20, s15
	s_load_b512 s[4:19], s[0:1], 0x0
	s_ashr_i32 s21, s20, 31
	s_mov_b64 s[2:3], 0
	s_waitcnt lgkmcnt(0)
	s_cmp_eq_u64 s[16:17], 0
	s_cbranch_scc1 .LBB63_2
; %bb.1:
	s_load_b64 s[0:1], s[0:1], 0x40
	s_waitcnt lgkmcnt(0)
	s_mul_i32 s1, s20, s1
	s_mul_hi_u32 s2, s20, s0
	s_mul_i32 s3, s21, s0
	s_add_i32 s1, s2, s1
	s_mul_i32 s0, s20, s0
	s_add_i32 s1, s1, s3
	s_delay_alu instid0(SALU_CYCLE_1) | instskip(NEXT) | instid1(SALU_CYCLE_1)
	s_lshl_b64 s[0:1], s[0:1], 3
	s_add_u32 s2, s16, s0
	s_addc_u32 s3, s17, s1
	s_lshl_b64 s[0:1], s[18:19], 3
	s_delay_alu instid0(SALU_CYCLE_1)
	s_add_u32 s2, s2, s0
	s_addc_u32 s3, s3, s1
.LBB63_2:
	s_mul_i32 s0, s20, s15
	s_mul_hi_u32 s1, s20, s14
	s_mul_i32 s15, s21, s14
	s_add_i32 s1, s1, s0
	s_mul_i32 s0, s20, s14
	s_add_i32 s1, s1, s15
	s_mul_i32 s7, s20, s7
	s_lshl_b64 s[0:1], s[0:1], 3
	s_delay_alu instid0(SALU_CYCLE_1) | instskip(SKIP_2) | instid1(SALU_CYCLE_1)
	s_add_u32 s10, s10, s0
	s_addc_u32 s11, s11, s1
	s_lshl_b64 s[0:1], s[12:13], 3
	s_add_u32 s0, s10, s0
	s_mul_hi_u32 s10, s20, s6
	s_addc_u32 s1, s11, s1
	s_add_i32 s7, s10, s7
	s_mul_i32 s10, s21, s6
	s_mul_i32 s6, s20, s6
	s_add_i32 s7, s7, s10
	s_delay_alu instid0(SALU_CYCLE_1) | instskip(NEXT) | instid1(SALU_CYCLE_1)
	s_lshl_b64 s[6:7], s[6:7], 3
	s_add_u32 s4, s4, s6
	s_addc_u32 s5, s5, s7
	s_lshl_b64 s[6:7], s[20:21], 3
	s_delay_alu instid0(SALU_CYCLE_1)
	s_add_u32 s6, s8, s6
	s_addc_u32 s7, s9, s7
	s_cmp_eq_u64 s[2:3], 0
	s_load_b64 s[8:9], s[6:7], 0x0
	s_cselect_b32 s10, -1, 0
	s_cmp_lg_u64 s[2:3], 0
	s_cselect_b32 s11, -1, 0
	s_waitcnt lgkmcnt(0)
	v_cmp_ngt_f64_e64 s12, s[8:9], 0
	s_delay_alu instid0(VALU_DEP_1)
	s_and_b32 vcc_lo, exec_lo, s12
	s_mov_b32 s12, 0
	s_cbranch_vccz .LBB63_5
; %bb.3:
	v_dual_mov_b32 v0, 0 :: v_dual_mov_b32 v1, 0x3ff00000
	s_mov_b32 s14, 0
	s_and_b32 vcc_lo, exec_lo, s11
	global_store_b64 v0, v[0:1], s[6:7]
	v_mov_b32_e32 v1, v0
	global_store_b64 v0, v[0:1], s[4:5]
	s_cbranch_vccz .LBB63_6
; %bb.4:
	global_load_b64 v[0:1], v0, s[0:1]
	s_mov_b32 s13, -1
	s_and_b32 vcc_lo, exec_lo, s14
	s_cbranch_vccnz .LBB63_7
	s_branch .LBB63_8
.LBB63_5:
	s_mov_b32 s14, -1
.LBB63_6:
	s_mov_b32 s13, 0
                                        ; implicit-def: $vgpr0_vgpr1
	s_and_b32 vcc_lo, exec_lo, s14
	s_cbranch_vccz .LBB63_8
.LBB63_7:
	s_load_b64 s[12:13], s[0:1], 0x0
	v_mov_b32_e32 v12, 0
	s_waitcnt vmcnt(0) lgkmcnt(0)
	v_fma_f64 v[0:1], s[12:13], s[12:13], s[8:9]
	s_delay_alu instid0(VALU_DEP_1) | instskip(SKIP_3) | instid1(VALU_DEP_1)
	v_cmp_gt_f64_e32 vcc_lo, 0x10000000, v[0:1]
	v_cndmask_b32_e64 v2, 0, 1, vcc_lo
	s_and_b32 s8, vcc_lo, exec_lo
	s_cselect_b32 s8, 0xffffff80, 0
	v_lshlrev_b32_e32 v2, 8, v2
	s_delay_alu instid0(VALU_DEP_1) | instskip(NEXT) | instid1(VALU_DEP_1)
	v_ldexp_f64 v[0:1], v[0:1], v2
	v_rsq_f64_e32 v[2:3], v[0:1]
	v_cmp_class_f64_e64 vcc_lo, v[0:1], 0x260
	s_waitcnt_depctr 0xfff
	v_mul_f64 v[4:5], v[0:1], v[2:3]
	v_mul_f64 v[2:3], v[2:3], 0.5
	s_delay_alu instid0(VALU_DEP_1) | instskip(NEXT) | instid1(VALU_DEP_1)
	v_fma_f64 v[6:7], -v[2:3], v[4:5], 0.5
	v_fma_f64 v[4:5], v[4:5], v[6:7], v[4:5]
	v_fma_f64 v[2:3], v[2:3], v[6:7], v[2:3]
	s_delay_alu instid0(VALU_DEP_2) | instskip(NEXT) | instid1(VALU_DEP_1)
	v_fma_f64 v[6:7], -v[4:5], v[4:5], v[0:1]
	v_fma_f64 v[4:5], v[6:7], v[2:3], v[4:5]
	s_delay_alu instid0(VALU_DEP_1) | instskip(NEXT) | instid1(VALU_DEP_1)
	v_fma_f64 v[6:7], -v[4:5], v[4:5], v[0:1]
	v_fma_f64 v[2:3], v[6:7], v[2:3], v[4:5]
	s_delay_alu instid0(VALU_DEP_1) | instskip(NEXT) | instid1(VALU_DEP_1)
	v_ldexp_f64 v[2:3], v[2:3], s8
	v_dual_cndmask_b32 v1, v3, v1 :: v_dual_cndmask_b32 v0, v2, v0
	v_cmp_ge_f64_e64 vcc_lo, s[12:13], 0
	s_delay_alu instid0(VALU_DEP_2) | instskip(NEXT) | instid1(VALU_DEP_1)
	v_xor_b32_e32 v2, 0x80000000, v1
	v_cndmask_b32_e32 v1, v1, v2, vcc_lo
	s_delay_alu instid0(VALU_DEP_1) | instskip(SKIP_2) | instid1(VALU_DEP_1)
	v_add_f64 v[2:3], s[12:13], -v[0:1]
	s_mov_b32 s12, s10
	s_mov_b32 s13, s11
	v_div_scale_f64 v[4:5], null, v[2:3], v[2:3], 1.0
	v_div_scale_f64 v[10:11], vcc_lo, 1.0, v[2:3], 1.0
	s_delay_alu instid0(VALU_DEP_2) | instskip(SKIP_2) | instid1(VALU_DEP_1)
	v_rcp_f64_e32 v[6:7], v[4:5]
	s_waitcnt_depctr 0xfff
	v_fma_f64 v[8:9], -v[4:5], v[6:7], 1.0
	v_fma_f64 v[6:7], v[6:7], v[8:9], v[6:7]
	s_delay_alu instid0(VALU_DEP_1) | instskip(NEXT) | instid1(VALU_DEP_1)
	v_fma_f64 v[8:9], -v[4:5], v[6:7], 1.0
	v_fma_f64 v[6:7], v[6:7], v[8:9], v[6:7]
	s_delay_alu instid0(VALU_DEP_1) | instskip(NEXT) | instid1(VALU_DEP_1)
	v_mul_f64 v[8:9], v[10:11], v[6:7]
	v_fma_f64 v[4:5], -v[4:5], v[8:9], v[10:11]
	s_delay_alu instid0(VALU_DEP_1) | instskip(NEXT) | instid1(VALU_DEP_1)
	v_div_fmas_f64 v[4:5], v[4:5], v[6:7], v[8:9]
	v_div_fixup_f64 v[2:3], v[4:5], v[2:3], 1.0
	global_store_b64 v12, v[2:3], s[6:7]
	global_load_b64 v[2:3], v12, s[0:1]
	s_waitcnt vmcnt(0)
	v_add_f64 v[2:3], v[0:1], -v[2:3]
	s_delay_alu instid0(VALU_DEP_1) | instskip(NEXT) | instid1(VALU_DEP_1)
	v_div_scale_f64 v[4:5], null, v[0:1], v[0:1], v[2:3]
	v_rcp_f64_e32 v[6:7], v[4:5]
	s_waitcnt_depctr 0xfff
	v_fma_f64 v[8:9], -v[4:5], v[6:7], 1.0
	s_delay_alu instid0(VALU_DEP_1) | instskip(NEXT) | instid1(VALU_DEP_1)
	v_fma_f64 v[6:7], v[6:7], v[8:9], v[6:7]
	v_fma_f64 v[8:9], -v[4:5], v[6:7], 1.0
	s_delay_alu instid0(VALU_DEP_1) | instskip(SKIP_1) | instid1(VALU_DEP_1)
	v_fma_f64 v[6:7], v[6:7], v[8:9], v[6:7]
	v_div_scale_f64 v[8:9], vcc_lo, v[2:3], v[0:1], v[2:3]
	v_mul_f64 v[10:11], v[8:9], v[6:7]
	s_delay_alu instid0(VALU_DEP_1) | instskip(NEXT) | instid1(VALU_DEP_1)
	v_fma_f64 v[4:5], -v[4:5], v[10:11], v[8:9]
	v_div_fmas_f64 v[4:5], v[4:5], v[6:7], v[10:11]
	s_delay_alu instid0(VALU_DEP_1)
	v_div_fixup_f64 v[2:3], v[4:5], v[0:1], v[2:3]
	global_store_b64 v12, v[2:3], s[4:5]
.LBB63_8:
	s_and_not1_b32 vcc_lo, exec_lo, s13
	s_cbranch_vccz .LBB63_11
; %bb.9:
	s_and_not1_b32 vcc_lo, exec_lo, s12
	s_cbranch_vccz .LBB63_12
; %bb.10:
	s_endpgm
.LBB63_11:
	v_dual_mov_b32 v2, s2 :: v_dual_mov_b32 v3, s3
	s_waitcnt vmcnt(0)
	flat_store_b64 v[2:3], v[0:1]
	v_mov_b32_e32 v0, 0
	v_mov_b32_e32 v1, 0x3ff00000
.LBB63_12:
	v_mov_b32_e32 v2, 0
	s_waitcnt vmcnt(0) lgkmcnt(0)
	global_store_b64 v2, v[0:1], s[0:1]
	s_endpgm
	.section	.rodata,"a",@progbits
	.p2align	6, 0x0
	.amdhsa_kernel _ZN9rocsolver6v33100L11set_taubetaIdidPdEEvPT_lS4_T2_llPT1_ll
		.amdhsa_group_segment_fixed_size 0
		.amdhsa_private_segment_fixed_size 0
		.amdhsa_kernarg_size 72
		.amdhsa_user_sgpr_count 15
		.amdhsa_user_sgpr_dispatch_ptr 0
		.amdhsa_user_sgpr_queue_ptr 0
		.amdhsa_user_sgpr_kernarg_segment_ptr 1
		.amdhsa_user_sgpr_dispatch_id 0
		.amdhsa_user_sgpr_private_segment_size 0
		.amdhsa_wavefront_size32 1
		.amdhsa_uses_dynamic_stack 0
		.amdhsa_enable_private_segment 0
		.amdhsa_system_sgpr_workgroup_id_x 1
		.amdhsa_system_sgpr_workgroup_id_y 0
		.amdhsa_system_sgpr_workgroup_id_z 0
		.amdhsa_system_sgpr_workgroup_info 0
		.amdhsa_system_vgpr_workitem_id 0
		.amdhsa_next_free_vgpr 13
		.amdhsa_next_free_sgpr 22
		.amdhsa_reserve_vcc 1
		.amdhsa_float_round_mode_32 0
		.amdhsa_float_round_mode_16_64 0
		.amdhsa_float_denorm_mode_32 3
		.amdhsa_float_denorm_mode_16_64 3
		.amdhsa_dx10_clamp 1
		.amdhsa_ieee_mode 1
		.amdhsa_fp16_overflow 0
		.amdhsa_workgroup_processor_mode 1
		.amdhsa_memory_ordered 1
		.amdhsa_forward_progress 0
		.amdhsa_shared_vgpr_count 0
		.amdhsa_exception_fp_ieee_invalid_op 0
		.amdhsa_exception_fp_denorm_src 0
		.amdhsa_exception_fp_ieee_div_zero 0
		.amdhsa_exception_fp_ieee_overflow 0
		.amdhsa_exception_fp_ieee_underflow 0
		.amdhsa_exception_fp_ieee_inexact 0
		.amdhsa_exception_int_div_zero 0
	.end_amdhsa_kernel
	.section	.text._ZN9rocsolver6v33100L11set_taubetaIdidPdEEvPT_lS4_T2_llPT1_ll,"axG",@progbits,_ZN9rocsolver6v33100L11set_taubetaIdidPdEEvPT_lS4_T2_llPT1_ll,comdat
.Lfunc_end63:
	.size	_ZN9rocsolver6v33100L11set_taubetaIdidPdEEvPT_lS4_T2_llPT1_ll, .Lfunc_end63-_ZN9rocsolver6v33100L11set_taubetaIdidPdEEvPT_lS4_T2_llPT1_ll
                                        ; -- End function
	.section	.AMDGPU.csdata,"",@progbits
; Kernel info:
; codeLenInByte = 904
; NumSgprs: 24
; NumVgprs: 13
; ScratchSize: 0
; MemoryBound: 0
; FloatMode: 240
; IeeeMode: 1
; LDSByteSize: 0 bytes/workgroup (compile time only)
; SGPRBlocks: 2
; VGPRBlocks: 1
; NumSGPRsForWavesPerEU: 24
; NumVGPRsForWavesPerEU: 13
; Occupancy: 16
; WaveLimiterHint : 0
; COMPUTE_PGM_RSRC2:SCRATCH_EN: 0
; COMPUTE_PGM_RSRC2:USER_SGPR: 15
; COMPUTE_PGM_RSRC2:TRAP_HANDLER: 0
; COMPUTE_PGM_RSRC2:TGID_X_EN: 1
; COMPUTE_PGM_RSRC2:TGID_Y_EN: 0
; COMPUTE_PGM_RSRC2:TGID_Z_EN: 0
; COMPUTE_PGM_RSRC2:TIDIG_COMP_CNT: 0
	.section	.text._ZN9rocsolver6v33100L13conj_in_placeIdiPdTnNSt9enable_ifIXnt18rocblas_is_complexIT_EEiE4typeELi0EEEvT0_S7_T1_lS7_l,"axG",@progbits,_ZN9rocsolver6v33100L13conj_in_placeIdiPdTnNSt9enable_ifIXnt18rocblas_is_complexIT_EEiE4typeELi0EEEvT0_S7_T1_lS7_l,comdat
	.globl	_ZN9rocsolver6v33100L13conj_in_placeIdiPdTnNSt9enable_ifIXnt18rocblas_is_complexIT_EEiE4typeELi0EEEvT0_S7_T1_lS7_l ; -- Begin function _ZN9rocsolver6v33100L13conj_in_placeIdiPdTnNSt9enable_ifIXnt18rocblas_is_complexIT_EEiE4typeELi0EEEvT0_S7_T1_lS7_l
	.p2align	8
	.type	_ZN9rocsolver6v33100L13conj_in_placeIdiPdTnNSt9enable_ifIXnt18rocblas_is_complexIT_EEiE4typeELi0EEEvT0_S7_T1_lS7_l,@function
_ZN9rocsolver6v33100L13conj_in_placeIdiPdTnNSt9enable_ifIXnt18rocblas_is_complexIT_EEiE4typeELi0EEEvT0_S7_T1_lS7_l: ; @_ZN9rocsolver6v33100L13conj_in_placeIdiPdTnNSt9enable_ifIXnt18rocblas_is_complexIT_EEiE4typeELi0EEEvT0_S7_T1_lS7_l
; %bb.0:
	s_endpgm
	.section	.rodata,"a",@progbits
	.p2align	6, 0x0
	.amdhsa_kernel _ZN9rocsolver6v33100L13conj_in_placeIdiPdTnNSt9enable_ifIXnt18rocblas_is_complexIT_EEiE4typeELi0EEEvT0_S7_T1_lS7_l
		.amdhsa_group_segment_fixed_size 0
		.amdhsa_private_segment_fixed_size 0
		.amdhsa_kernarg_size 40
		.amdhsa_user_sgpr_count 15
		.amdhsa_user_sgpr_dispatch_ptr 0
		.amdhsa_user_sgpr_queue_ptr 0
		.amdhsa_user_sgpr_kernarg_segment_ptr 1
		.amdhsa_user_sgpr_dispatch_id 0
		.amdhsa_user_sgpr_private_segment_size 0
		.amdhsa_wavefront_size32 1
		.amdhsa_uses_dynamic_stack 0
		.amdhsa_enable_private_segment 0
		.amdhsa_system_sgpr_workgroup_id_x 1
		.amdhsa_system_sgpr_workgroup_id_y 0
		.amdhsa_system_sgpr_workgroup_id_z 0
		.amdhsa_system_sgpr_workgroup_info 0
		.amdhsa_system_vgpr_workitem_id 0
		.amdhsa_next_free_vgpr 1
		.amdhsa_next_free_sgpr 1
		.amdhsa_reserve_vcc 0
		.amdhsa_float_round_mode_32 0
		.amdhsa_float_round_mode_16_64 0
		.amdhsa_float_denorm_mode_32 3
		.amdhsa_float_denorm_mode_16_64 3
		.amdhsa_dx10_clamp 1
		.amdhsa_ieee_mode 1
		.amdhsa_fp16_overflow 0
		.amdhsa_workgroup_processor_mode 1
		.amdhsa_memory_ordered 1
		.amdhsa_forward_progress 0
		.amdhsa_shared_vgpr_count 0
		.amdhsa_exception_fp_ieee_invalid_op 0
		.amdhsa_exception_fp_denorm_src 0
		.amdhsa_exception_fp_ieee_div_zero 0
		.amdhsa_exception_fp_ieee_overflow 0
		.amdhsa_exception_fp_ieee_underflow 0
		.amdhsa_exception_fp_ieee_inexact 0
		.amdhsa_exception_int_div_zero 0
	.end_amdhsa_kernel
	.section	.text._ZN9rocsolver6v33100L13conj_in_placeIdiPdTnNSt9enable_ifIXnt18rocblas_is_complexIT_EEiE4typeELi0EEEvT0_S7_T1_lS7_l,"axG",@progbits,_ZN9rocsolver6v33100L13conj_in_placeIdiPdTnNSt9enable_ifIXnt18rocblas_is_complexIT_EEiE4typeELi0EEEvT0_S7_T1_lS7_l,comdat
.Lfunc_end64:
	.size	_ZN9rocsolver6v33100L13conj_in_placeIdiPdTnNSt9enable_ifIXnt18rocblas_is_complexIT_EEiE4typeELi0EEEvT0_S7_T1_lS7_l, .Lfunc_end64-_ZN9rocsolver6v33100L13conj_in_placeIdiPdTnNSt9enable_ifIXnt18rocblas_is_complexIT_EEiE4typeELi0EEEvT0_S7_T1_lS7_l
                                        ; -- End function
	.section	.AMDGPU.csdata,"",@progbits
; Kernel info:
; codeLenInByte = 4
; NumSgprs: 0
; NumVgprs: 0
; ScratchSize: 0
; MemoryBound: 0
; FloatMode: 240
; IeeeMode: 1
; LDSByteSize: 0 bytes/workgroup (compile time only)
; SGPRBlocks: 0
; VGPRBlocks: 0
; NumSGPRsForWavesPerEU: 1
; NumVGPRsForWavesPerEU: 1
; Occupancy: 16
; WaveLimiterHint : 0
; COMPUTE_PGM_RSRC2:SCRATCH_EN: 0
; COMPUTE_PGM_RSRC2:USER_SGPR: 15
; COMPUTE_PGM_RSRC2:TRAP_HANDLER: 0
; COMPUTE_PGM_RSRC2:TGID_X_EN: 1
; COMPUTE_PGM_RSRC2:TGID_Y_EN: 0
; COMPUTE_PGM_RSRC2:TGID_Z_EN: 0
; COMPUTE_PGM_RSRC2:TIDIG_COMP_CNT: 0
	.section	.text._ZN9rocsolver6v33100L16larf_left_kernelILi1024EdiPdEEvT1_S3_T2_lS3_lPKT0_lS4_lS3_l,"axG",@progbits,_ZN9rocsolver6v33100L16larf_left_kernelILi1024EdiPdEEvT1_S3_T2_lS3_lPKT0_lS4_lS3_l,comdat
	.globl	_ZN9rocsolver6v33100L16larf_left_kernelILi1024EdiPdEEvT1_S3_T2_lS3_lPKT0_lS4_lS3_l ; -- Begin function _ZN9rocsolver6v33100L16larf_left_kernelILi1024EdiPdEEvT1_S3_T2_lS3_lPKT0_lS4_lS3_l
	.p2align	8
	.type	_ZN9rocsolver6v33100L16larf_left_kernelILi1024EdiPdEEvT1_S3_T2_lS3_lPKT0_lS4_lS3_l,@function
_ZN9rocsolver6v33100L16larf_left_kernelILi1024EdiPdEEvT1_S3_T2_lS3_lPKT0_lS4_lS3_l: ; @_ZN9rocsolver6v33100L16larf_left_kernelILi1024EdiPdEEvT1_S3_T2_lS3_lPKT0_lS4_lS3_l
; %bb.0:
	s_clause 0x4
	s_load_b32 s20, s[0:1], 0x0
	s_load_b64 s[2:3], s[0:1], 0x50
	s_load_b32 s16, s[0:1], 0x48
	s_load_b64 s[12:13], s[0:1], 0x40
	s_load_b256 s[4:11], s[0:1], 0x20
	v_mov_b32_e32 v1, 0
	v_dual_mov_b32 v2, 0 :: v_dual_lshlrev_b32 v5, 3, v0
	s_ashr_i32 s24, s15, 31
	s_waitcnt lgkmcnt(0)
	v_cmp_gt_i32_e32 vcc_lo, s20, v0
	s_mul_i32 s21, s2, s24
	s_mul_hi_u32 s22, s2, s15
	s_mul_i32 s23, s3, s15
	s_mul_i32 s18, s2, s15
	s_mul_hi_i32 s17, s14, s16
	s_mul_i32 s16, s14, s16
	s_and_saveexec_b32 s14, vcc_lo
	s_cbranch_execz .LBB65_6
; %bb.1:
	s_clause 0x1
	s_load_b32 s26, s[0:1], 0x18
	s_load_b128 s[0:3], s[0:1], 0x8
	s_sub_i32 s19, 1, s20
	s_mul_i32 s25, s4, s24
	s_mul_hi_u32 s29, s4, s15
	s_mul_i32 s5, s5, s15
	s_mul_i32 s4, s4, s15
	v_add3_u32 v6, v5, 0, 0x100
	s_delay_alu instid0(VALU_DEP_1)
	v_dual_mov_b32 v4, v0 :: v_dual_mov_b32 v3, v6
	s_waitcnt lgkmcnt(0)
	s_ashr_i32 s27, s26, 31
	v_mad_i64_i32 v[1:2], null, s26, v0, 0
	v_cmp_lt_i64_e64 s28, s[26:27], 1
	s_mul_i32 s19, s19, s26
	s_delay_alu instid0(VALU_DEP_1)
	s_and_b32 s28, s28, exec_lo
	s_cselect_b32 s28, s19, 0
	s_add_i32 s19, s29, s25
	s_ashr_i32 s29, s28, 31
	s_add_i32 s5, s19, s5
	s_lshl_b64 s[28:29], s[28:29], 3
	s_lshl_b64 s[2:3], s[2:3], 3
	;; [unrolled: 1-line block ×3, first 2 shown]
	v_lshlrev_b64 v[1:2], 3, v[1:2]
	s_add_u32 s0, s0, s28
	s_addc_u32 s1, s1, s29
	s_add_u32 s0, s0, s2
	s_addc_u32 s1, s1, s3
	;; [unrolled: 2-line block ×3, first 2 shown]
	v_add_co_u32 v1, s0, s0, v1
	s_delay_alu instid0(VALU_DEP_1)
	v_add_co_ci_u32_e64 v2, s0, s1, v2, s0
	s_mov_b32 s4, 0
	s_lshl_b64 s[2:3], s[26:27], 13
	.p2align	6
.LBB65_2:                               ; =>This Inner Loop Header: Depth=1
	global_load_b64 v[7:8], v[1:2], off
	v_add_nc_u32_e32 v4, 0x400, v4
	v_add_co_u32 v1, s0, v1, s2
	s_delay_alu instid0(VALU_DEP_1) | instskip(NEXT) | instid1(VALU_DEP_3)
	v_add_co_ci_u32_e64 v2, s0, s3, v2, s0
	v_cmp_le_i32_e64 s1, s20, v4
	s_delay_alu instid0(VALU_DEP_1)
	s_or_b32 s4, s1, s4
	s_waitcnt vmcnt(0)
	ds_store_b64 v3, v[7:8]
	v_add_nc_u32_e32 v3, 0x2000, v3
	s_and_not1_b32 exec_lo, exec_lo, s4
	s_cbranch_execnz .LBB65_2
; %bb.3:
	s_or_b32 exec_lo, exec_lo, s4
	s_add_i32 s0, s22, s21
	v_lshlrev_b32_e32 v1, 3, v0
	s_add_i32 s19, s0, s23
	s_lshl_b64 s[0:1], s[16:17], 3
	s_lshl_b64 s[2:3], s[18:19], 3
	v_mov_b32_e32 v7, v0
	s_add_u32 s2, s2, s0
	s_addc_u32 s3, s3, s1
	s_lshl_b64 s[0:1], s[12:13], 3
	s_delay_alu instid0(SALU_CYCLE_1)
	s_add_u32 s0, s2, s0
	s_addc_u32 s1, s3, s1
	s_add_u32 s0, s10, s0
	s_addc_u32 s1, s11, s1
	v_add_co_u32 v3, s0, s0, v1
	v_mov_b32_e32 v1, 0
	v_add_co_ci_u32_e64 v4, null, s1, 0, s0
	v_mov_b32_e32 v2, 0
	s_mov_b32 s2, 0
	.p2align	6
.LBB65_4:                               ; =>This Inner Loop Header: Depth=1
	global_load_b64 v[8:9], v[3:4], off
	ds_load_b64 v[10:11], v6
	v_add_nc_u32_e32 v7, 0x400, v7
	v_add_co_u32 v3, s1, 0x2000, v3
	v_add_nc_u32_e32 v6, 0x2000, v6
	v_add_co_ci_u32_e64 v4, s1, 0, v4, s1
	s_delay_alu instid0(VALU_DEP_4) | instskip(NEXT) | instid1(VALU_DEP_1)
	v_cmp_le_i32_e64 s0, s20, v7
	s_or_b32 s2, s0, s2
	s_waitcnt vmcnt(0) lgkmcnt(0)
	v_mul_f64 v[8:9], v[8:9], v[10:11]
	s_delay_alu instid0(VALU_DEP_1)
	v_add_f64 v[1:2], v[1:2], v[8:9]
	s_and_not1_b32 exec_lo, exec_lo, s2
	s_cbranch_execnz .LBB65_4
; %bb.5:
	s_or_b32 exec_lo, exec_lo, s2
.LBB65_6:
	s_delay_alu instid0(SALU_CYCLE_1) | instskip(SKIP_2) | instid1(VALU_DEP_1)
	s_or_b32 exec_lo, exec_lo, s14
	v_mbcnt_lo_u32_b32 v6, -1, 0
	s_mov_b32 s1, exec_lo
	v_cmp_ne_u32_e64 s0, 31, v6
	s_delay_alu instid0(VALU_DEP_1) | instskip(SKIP_1) | instid1(VALU_DEP_2)
	v_add_co_ci_u32_e64 v3, s0, 0, v6, s0
	v_cmp_gt_u32_e64 s0, 30, v6
	v_lshlrev_b32_e32 v4, 2, v3
	ds_bpermute_b32 v3, v4, v1
	ds_bpermute_b32 v4, v4, v2
	s_waitcnt lgkmcnt(0)
	v_add_f64 v[1:2], v[1:2], v[3:4]
	v_cndmask_b32_e64 v3, 0, 1, s0
	v_cmp_gt_u32_e64 s0, 28, v6
	s_delay_alu instid0(VALU_DEP_2) | instskip(NEXT) | instid1(VALU_DEP_1)
	v_lshlrev_b32_e32 v3, 1, v3
	v_add_lshl_u32 v4, v3, v6, 2
	ds_bpermute_b32 v3, v4, v1
	ds_bpermute_b32 v4, v4, v2
	s_waitcnt lgkmcnt(0)
	v_add_f64 v[1:2], v[1:2], v[3:4]
	v_cndmask_b32_e64 v3, 0, 1, s0
	v_cmp_gt_u32_e64 s0, 24, v6
	s_delay_alu instid0(VALU_DEP_2) | instskip(NEXT) | instid1(VALU_DEP_1)
	v_lshlrev_b32_e32 v3, 2, v3
	v_add_lshl_u32 v4, v3, v6, 2
	;; [unrolled: 9-line block ×3, first 2 shown]
	ds_bpermute_b32 v3, v4, v1
	ds_bpermute_b32 v4, v4, v2
	s_waitcnt lgkmcnt(0)
	v_add_f64 v[1:2], v[1:2], v[3:4]
	v_cndmask_b32_e64 v3, 0, 1, s0
	s_delay_alu instid0(VALU_DEP_1) | instskip(NEXT) | instid1(VALU_DEP_1)
	v_lshlrev_b32_e32 v3, 4, v3
	v_add_lshl_u32 v4, v3, v6, 2
	ds_bpermute_b32 v3, v4, v1
	ds_bpermute_b32 v4, v4, v2
	s_waitcnt lgkmcnt(0)
	v_add_f64 v[1:2], v[1:2], v[3:4]
	v_and_b32_e32 v3, 31, v0
	s_delay_alu instid0(VALU_DEP_1)
	v_cmpx_eq_u32_e32 0, v3
	s_cbranch_execz .LBB65_8
; %bb.7:
	v_lshrrev_b32_e32 v3, 2, v0
	s_delay_alu instid0(VALU_DEP_1)
	v_add_nc_u32_e32 v3, 0, v3
	ds_store_b64 v3, v[1:2]
.LBB65_8:
	s_or_b32 exec_lo, exec_lo, s1
	s_delay_alu instid0(SALU_CYCLE_1)
	s_mov_b32 s1, exec_lo
	s_waitcnt lgkmcnt(0)
	s_barrier
	buffer_gl0_inv
	v_cmpx_eq_u32_e32 0, v0
	s_cbranch_execz .LBB65_10
; %bb.9:
	v_mov_b32_e32 v14, 0
	ds_load_2addr_b64 v[6:9], v14 offset0:1 offset1:2
	ds_load_2addr_b64 v[10:13], v14 offset0:3 offset1:4
	s_waitcnt lgkmcnt(1)
	v_add_f64 v[1:2], v[1:2], v[6:7]
	s_delay_alu instid0(VALU_DEP_1) | instskip(SKIP_1) | instid1(VALU_DEP_1)
	v_add_f64 v[1:2], v[1:2], v[8:9]
	s_waitcnt lgkmcnt(0)
	v_add_f64 v[1:2], v[1:2], v[10:11]
	s_delay_alu instid0(VALU_DEP_1) | instskip(SKIP_4) | instid1(VALU_DEP_1)
	v_add_f64 v[10:11], v[1:2], v[12:13]
	ds_load_2addr_b64 v[1:4], v14 offset0:5 offset1:6
	ds_load_2addr_b64 v[6:9], v14 offset0:7 offset1:8
	s_waitcnt lgkmcnt(1)
	v_add_f64 v[1:2], v[10:11], v[1:2]
	v_add_f64 v[1:2], v[1:2], v[3:4]
	s_waitcnt lgkmcnt(0)
	s_delay_alu instid0(VALU_DEP_1) | instskip(NEXT) | instid1(VALU_DEP_1)
	v_add_f64 v[1:2], v[1:2], v[6:7]
	v_add_f64 v[10:11], v[1:2], v[8:9]
	ds_load_2addr_b64 v[1:4], v14 offset0:9 offset1:10
	ds_load_2addr_b64 v[6:9], v14 offset0:11 offset1:12
	s_waitcnt lgkmcnt(1)
	v_add_f64 v[1:2], v[10:11], v[1:2]
	s_delay_alu instid0(VALU_DEP_1) | instskip(SKIP_1) | instid1(VALU_DEP_1)
	v_add_f64 v[1:2], v[1:2], v[3:4]
	s_waitcnt lgkmcnt(0)
	v_add_f64 v[1:2], v[1:2], v[6:7]
	s_delay_alu instid0(VALU_DEP_1) | instskip(SKIP_4) | instid1(VALU_DEP_1)
	v_add_f64 v[10:11], v[1:2], v[8:9]
	ds_load_2addr_b64 v[1:4], v14 offset0:13 offset1:14
	ds_load_2addr_b64 v[6:9], v14 offset0:15 offset1:16
	s_waitcnt lgkmcnt(1)
	v_add_f64 v[1:2], v[10:11], v[1:2]
	v_add_f64 v[1:2], v[1:2], v[3:4]
	s_waitcnt lgkmcnt(0)
	s_delay_alu instid0(VALU_DEP_1) | instskip(NEXT) | instid1(VALU_DEP_1)
	v_add_f64 v[1:2], v[1:2], v[6:7]
	v_add_f64 v[10:11], v[1:2], v[8:9]
	;; [unrolled: 19-line block ×3, first 2 shown]
	ds_load_2addr_b64 v[1:4], v14 offset0:25 offset1:26
	ds_load_2addr_b64 v[6:9], v14 offset0:27 offset1:28
	s_waitcnt lgkmcnt(1)
	v_add_f64 v[1:2], v[10:11], v[1:2]
	s_delay_alu instid0(VALU_DEP_1) | instskip(SKIP_1) | instid1(VALU_DEP_1)
	v_add_f64 v[1:2], v[1:2], v[3:4]
	s_waitcnt lgkmcnt(0)
	v_add_f64 v[1:2], v[1:2], v[6:7]
	s_delay_alu instid0(VALU_DEP_1) | instskip(SKIP_4) | instid1(VALU_DEP_1)
	v_add_f64 v[6:7], v[1:2], v[8:9]
	ds_load_2addr_b64 v[1:4], v14 offset0:29 offset1:30
	ds_load_b64 v[8:9], v14 offset:248
	s_waitcnt lgkmcnt(1)
	v_add_f64 v[1:2], v[6:7], v[1:2]
	v_add_f64 v[1:2], v[1:2], v[3:4]
	s_waitcnt lgkmcnt(0)
	s_delay_alu instid0(VALU_DEP_1)
	v_add_f64 v[1:2], v[1:2], v[8:9]
	ds_store_b64 v14, v[1:2]
.LBB65_10:
	s_or_b32 exec_lo, exec_lo, s1
	s_waitcnt lgkmcnt(0)
	s_barrier
	buffer_gl0_inv
	s_and_saveexec_b32 s0, vcc_lo
	s_cbranch_execz .LBB65_13
; %bb.11:
	s_mul_i32 s0, s15, s9
	s_mul_hi_u32 s1, s15, s8
	s_mul_i32 s2, s24, s8
	s_add_i32 s1, s1, s0
	s_mul_i32 s0, s15, s8
	s_add_i32 s1, s1, s2
	v_mov_b32_e32 v1, 0
	s_lshl_b64 s[0:1], s[0:1], 3
	v_add3_u32 v6, v5, 0, 0x100
	s_add_u32 s0, s6, s0
	s_addc_u32 s1, s7, s1
	ds_load_b64 v[1:2], v1
	s_load_b64 s[0:1], s[0:1], 0x0
	s_lshl_b64 s[2:3], s[16:17], 3
	s_waitcnt lgkmcnt(0)
	v_mul_f64 v[1:2], v[1:2], -s[0:1]
	s_add_i32 s0, s22, s21
	s_delay_alu instid0(SALU_CYCLE_1) | instskip(NEXT) | instid1(SALU_CYCLE_1)
	s_add_i32 s19, s0, s23
	s_lshl_b64 s[0:1], s[18:19], 3
	s_delay_alu instid0(SALU_CYCLE_1) | instskip(SKIP_2) | instid1(SALU_CYCLE_1)
	s_add_u32 s2, s0, s2
	s_addc_u32 s3, s1, s3
	s_lshl_b64 s[0:1], s[12:13], 3
	s_add_u32 s0, s2, s0
	s_addc_u32 s1, s3, s1
	s_add_u32 s0, s10, s0
	s_addc_u32 s1, s11, s1
	v_add_co_u32 v3, s0, s0, v5
	s_delay_alu instid0(VALU_DEP_1)
	v_add_co_ci_u32_e64 v4, null, s1, 0, s0
	s_mov_b32 s1, 0
	.p2align	6
.LBB65_12:                              ; =>This Inner Loop Header: Depth=1
	global_load_b64 v[7:8], v[3:4], off
	ds_load_b64 v[9:10], v6
	v_add_nc_u32_e32 v0, 0x400, v0
	v_add_nc_u32_e32 v6, 0x2000, v6
	s_delay_alu instid0(VALU_DEP_2)
	v_cmp_le_i32_e32 vcc_lo, s20, v0
	s_or_b32 s1, vcc_lo, s1
	s_waitcnt vmcnt(0) lgkmcnt(0)
	v_fma_f64 v[7:8], v[1:2], v[9:10], v[7:8]
	global_store_b64 v[3:4], v[7:8], off
	v_add_co_u32 v3, s0, 0x2000, v3
	s_delay_alu instid0(VALU_DEP_1)
	v_add_co_ci_u32_e64 v4, s0, 0, v4, s0
	s_and_not1_b32 exec_lo, exec_lo, s1
	s_cbranch_execnz .LBB65_12
.LBB65_13:
	s_nop 0
	s_sendmsg sendmsg(MSG_DEALLOC_VGPRS)
	s_endpgm
	.section	.rodata,"a",@progbits
	.p2align	6, 0x0
	.amdhsa_kernel _ZN9rocsolver6v33100L16larf_left_kernelILi1024EdiPdEEvT1_S3_T2_lS3_lPKT0_lS4_lS3_l
		.amdhsa_group_segment_fixed_size 0
		.amdhsa_private_segment_fixed_size 0
		.amdhsa_kernarg_size 88
		.amdhsa_user_sgpr_count 13
		.amdhsa_user_sgpr_dispatch_ptr 0
		.amdhsa_user_sgpr_queue_ptr 0
		.amdhsa_user_sgpr_kernarg_segment_ptr 1
		.amdhsa_user_sgpr_dispatch_id 0
		.amdhsa_user_sgpr_private_segment_size 0
		.amdhsa_wavefront_size32 1
		.amdhsa_uses_dynamic_stack 0
		.amdhsa_enable_private_segment 0
		.amdhsa_system_sgpr_workgroup_id_x 1
		.amdhsa_system_sgpr_workgroup_id_y 1
		.amdhsa_system_sgpr_workgroup_id_z 1
		.amdhsa_system_sgpr_workgroup_info 0
		.amdhsa_system_vgpr_workitem_id 0
		.amdhsa_next_free_vgpr 15
		.amdhsa_next_free_sgpr 30
		.amdhsa_reserve_vcc 1
		.amdhsa_float_round_mode_32 0
		.amdhsa_float_round_mode_16_64 0
		.amdhsa_float_denorm_mode_32 3
		.amdhsa_float_denorm_mode_16_64 3
		.amdhsa_dx10_clamp 1
		.amdhsa_ieee_mode 1
		.amdhsa_fp16_overflow 0
		.amdhsa_workgroup_processor_mode 1
		.amdhsa_memory_ordered 1
		.amdhsa_forward_progress 0
		.amdhsa_shared_vgpr_count 0
		.amdhsa_exception_fp_ieee_invalid_op 0
		.amdhsa_exception_fp_denorm_src 0
		.amdhsa_exception_fp_ieee_div_zero 0
		.amdhsa_exception_fp_ieee_overflow 0
		.amdhsa_exception_fp_ieee_underflow 0
		.amdhsa_exception_fp_ieee_inexact 0
		.amdhsa_exception_int_div_zero 0
	.end_amdhsa_kernel
	.section	.text._ZN9rocsolver6v33100L16larf_left_kernelILi1024EdiPdEEvT1_S3_T2_lS3_lPKT0_lS4_lS3_l,"axG",@progbits,_ZN9rocsolver6v33100L16larf_left_kernelILi1024EdiPdEEvT1_S3_T2_lS3_lPKT0_lS4_lS3_l,comdat
.Lfunc_end65:
	.size	_ZN9rocsolver6v33100L16larf_left_kernelILi1024EdiPdEEvT1_S3_T2_lS3_lPKT0_lS4_lS3_l, .Lfunc_end65-_ZN9rocsolver6v33100L16larf_left_kernelILi1024EdiPdEEvT1_S3_T2_lS3_lPKT0_lS4_lS3_l
                                        ; -- End function
	.section	.AMDGPU.csdata,"",@progbits
; Kernel info:
; codeLenInByte = 1736
; NumSgprs: 32
; NumVgprs: 15
; ScratchSize: 0
; MemoryBound: 0
; FloatMode: 240
; IeeeMode: 1
; LDSByteSize: 0 bytes/workgroup (compile time only)
; SGPRBlocks: 3
; VGPRBlocks: 1
; NumSGPRsForWavesPerEU: 32
; NumVGPRsForWavesPerEU: 15
; Occupancy: 16
; WaveLimiterHint : 0
; COMPUTE_PGM_RSRC2:SCRATCH_EN: 0
; COMPUTE_PGM_RSRC2:USER_SGPR: 13
; COMPUTE_PGM_RSRC2:TRAP_HANDLER: 0
; COMPUTE_PGM_RSRC2:TGID_X_EN: 1
; COMPUTE_PGM_RSRC2:TGID_Y_EN: 1
; COMPUTE_PGM_RSRC2:TGID_Z_EN: 1
; COMPUTE_PGM_RSRC2:TIDIG_COMP_CNT: 0
	.section	.text._ZN9rocsolver6v33100L17larf_right_kernelILi1024EdiPdEEvT1_S3_T2_lS3_lPKT0_lS4_lS3_l,"axG",@progbits,_ZN9rocsolver6v33100L17larf_right_kernelILi1024EdiPdEEvT1_S3_T2_lS3_lPKT0_lS4_lS3_l,comdat
	.globl	_ZN9rocsolver6v33100L17larf_right_kernelILi1024EdiPdEEvT1_S3_T2_lS3_lPKT0_lS4_lS3_l ; -- Begin function _ZN9rocsolver6v33100L17larf_right_kernelILi1024EdiPdEEvT1_S3_T2_lS3_lPKT0_lS4_lS3_l
	.p2align	8
	.type	_ZN9rocsolver6v33100L17larf_right_kernelILi1024EdiPdEEvT1_S3_T2_lS3_lPKT0_lS4_lS3_l,@function
_ZN9rocsolver6v33100L17larf_right_kernelILi1024EdiPdEEvT1_S3_T2_lS3_lPKT0_lS4_lS3_l: ; @_ZN9rocsolver6v33100L17larf_right_kernelILi1024EdiPdEEvT1_S3_T2_lS3_lPKT0_lS4_lS3_l
; %bb.0:
	s_clause 0x4
	s_load_b32 s24, s[0:1], 0x4
	s_load_b64 s[16:17], s[0:1], 0x50
	s_load_b64 s[20:21], s[0:1], 0x40
	s_load_b32 s12, s[0:1], 0x48
	s_load_b256 s[4:11], s[0:1], 0x20
	v_mov_b32_e32 v1, 0
	v_dual_mov_b32 v2, 0 :: v_dual_lshlrev_b32 v5, 3, v0
	s_mov_b32 s2, s15
	s_ashr_i32 s27, s15, 31
	s_ashr_i32 s15, s14, 31
	s_waitcnt lgkmcnt(0)
	v_cmp_gt_i32_e32 vcc_lo, s24, v0
	s_mul_i32 s3, s16, s27
	s_mul_hi_u32 s26, s16, s2
	s_mul_i32 s25, s17, s2
	s_mul_i32 s22, s16, s2
	s_and_saveexec_b32 s28, vcc_lo
	s_cbranch_execz .LBB66_6
; %bb.1:
	s_clause 0x1
	s_load_b32 s30, s[0:1], 0x18
	s_load_b128 s[16:19], s[0:1], 0x8
	s_sub_i32 s1, 1, s24
	s_mul_i32 s13, s4, s27
	s_mul_hi_u32 s29, s4, s2
	s_mul_i32 s0, s4, s2
	s_mul_i32 s33, s5, s2
	v_add3_u32 v6, v5, 0, 0x100
	s_delay_alu instid0(VALU_DEP_1)
	v_dual_mov_b32 v4, v0 :: v_dual_mov_b32 v3, v6
	s_waitcnt lgkmcnt(0)
	s_ashr_i32 s31, s30, 31
	v_mad_i64_i32 v[1:2], null, s30, v0, 0
	v_cmp_lt_i64_e64 s23, s[30:31], 1
	s_mul_i32 s1, s1, s30
	s_delay_alu instid0(VALU_DEP_1)
	s_and_b32 s4, s23, exec_lo
	s_cselect_b32 s4, s1, 0
	s_add_i32 s1, s29, s13
	s_ashr_i32 s5, s4, 31
	s_add_i32 s1, s1, s33
	s_lshl_b64 s[4:5], s[4:5], 3
	s_lshl_b64 s[18:19], s[18:19], 3
	;; [unrolled: 1-line block ×3, first 2 shown]
	v_lshlrev_b64 v[1:2], 3, v[1:2]
	s_add_u32 s4, s16, s4
	s_addc_u32 s5, s17, s5
	s_add_u32 s4, s4, s18
	s_addc_u32 s5, s5, s19
	s_add_u32 s0, s4, s0
	s_addc_u32 s1, s5, s1
	v_add_co_u32 v1, s0, s0, v1
	s_delay_alu instid0(VALU_DEP_1)
	v_add_co_ci_u32_e64 v2, s0, s1, v2, s0
	s_mov_b32 s13, 0
	s_lshl_b64 s[4:5], s[30:31], 13
	.p2align	6
.LBB66_2:                               ; =>This Inner Loop Header: Depth=1
	global_load_b64 v[7:8], v[1:2], off
	v_add_nc_u32_e32 v4, 0x400, v4
	v_add_co_u32 v1, s0, v1, s4
	s_delay_alu instid0(VALU_DEP_1) | instskip(NEXT) | instid1(VALU_DEP_3)
	v_add_co_ci_u32_e64 v2, s0, s5, v2, s0
	v_cmp_le_i32_e64 s1, s24, v4
	s_delay_alu instid0(VALU_DEP_1)
	s_or_b32 s13, s1, s13
	s_waitcnt vmcnt(0)
	ds_store_b64 v3, v[7:8]
	v_add_nc_u32_e32 v3, 0x2000, v3
	s_and_not1_b32 exec_lo, exec_lo, s13
	s_cbranch_execnz .LBB66_2
; %bb.3:
	s_or_b32 exec_lo, exec_lo, s13
	v_mad_i64_i32 v[1:2], null, s12, v0, 0
	s_add_i32 s4, s26, s3
	s_ashr_i32 s13, s12, 31
	s_add_i32 s23, s4, s25
	s_lshl_b64 s[4:5], s[14:15], 3
	s_lshl_b64 s[0:1], s[20:21], 3
	s_lshl_b64 s[16:17], s[22:23], 3
	s_delay_alu instid0(VALU_DEP_1)
	v_lshlrev_b64 v[1:2], 3, v[1:2]
	s_add_u32 s4, s10, s4
	s_addc_u32 s5, s11, s5
	s_add_u32 s0, s4, s0
	s_addc_u32 s1, s5, s1
	;; [unrolled: 2-line block ×3, first 2 shown]
	v_add_co_u32 v3, s0, s0, v1
	s_delay_alu instid0(VALU_DEP_1)
	v_add_co_ci_u32_e64 v4, s0, s1, v2, s0
	v_mov_b32_e32 v1, 0
	v_dual_mov_b32 v2, 0 :: v_dual_mov_b32 v7, v0
	s_lshl_b64 s[4:5], s[12:13], 13
	s_mov_b32 s13, 0
	.p2align	6
.LBB66_4:                               ; =>This Inner Loop Header: Depth=1
	global_load_b64 v[8:9], v[3:4], off
	ds_load_b64 v[10:11], v6
	v_add_nc_u32_e32 v7, 0x400, v7
	v_add_co_u32 v3, s1, v3, s4
	v_add_nc_u32_e32 v6, 0x2000, v6
	v_add_co_ci_u32_e64 v4, s1, s5, v4, s1
	s_delay_alu instid0(VALU_DEP_4) | instskip(NEXT) | instid1(VALU_DEP_1)
	v_cmp_le_i32_e64 s0, s24, v7
	s_or_b32 s13, s0, s13
	s_waitcnt vmcnt(0) lgkmcnt(0)
	v_mul_f64 v[8:9], v[8:9], v[10:11]
	s_delay_alu instid0(VALU_DEP_1)
	v_add_f64 v[1:2], v[1:2], v[8:9]
	s_and_not1_b32 exec_lo, exec_lo, s13
	s_cbranch_execnz .LBB66_4
; %bb.5:
	s_or_b32 exec_lo, exec_lo, s13
.LBB66_6:
	s_delay_alu instid0(SALU_CYCLE_1) | instskip(SKIP_2) | instid1(VALU_DEP_1)
	s_or_b32 exec_lo, exec_lo, s28
	v_mbcnt_lo_u32_b32 v6, -1, 0
	s_mov_b32 s1, exec_lo
	v_cmp_ne_u32_e64 s0, 31, v6
	s_delay_alu instid0(VALU_DEP_1) | instskip(SKIP_1) | instid1(VALU_DEP_2)
	v_add_co_ci_u32_e64 v3, s0, 0, v6, s0
	v_cmp_gt_u32_e64 s0, 30, v6
	v_lshlrev_b32_e32 v4, 2, v3
	ds_bpermute_b32 v3, v4, v1
	ds_bpermute_b32 v4, v4, v2
	s_waitcnt lgkmcnt(0)
	v_add_f64 v[1:2], v[1:2], v[3:4]
	v_cndmask_b32_e64 v3, 0, 1, s0
	v_cmp_gt_u32_e64 s0, 28, v6
	s_delay_alu instid0(VALU_DEP_2) | instskip(NEXT) | instid1(VALU_DEP_1)
	v_lshlrev_b32_e32 v3, 1, v3
	v_add_lshl_u32 v4, v3, v6, 2
	ds_bpermute_b32 v3, v4, v1
	ds_bpermute_b32 v4, v4, v2
	s_waitcnt lgkmcnt(0)
	v_add_f64 v[1:2], v[1:2], v[3:4]
	v_cndmask_b32_e64 v3, 0, 1, s0
	v_cmp_gt_u32_e64 s0, 24, v6
	s_delay_alu instid0(VALU_DEP_2) | instskip(NEXT) | instid1(VALU_DEP_1)
	v_lshlrev_b32_e32 v3, 2, v3
	v_add_lshl_u32 v4, v3, v6, 2
	;; [unrolled: 9-line block ×3, first 2 shown]
	ds_bpermute_b32 v3, v4, v1
	ds_bpermute_b32 v4, v4, v2
	s_waitcnt lgkmcnt(0)
	v_add_f64 v[1:2], v[1:2], v[3:4]
	v_cndmask_b32_e64 v3, 0, 1, s0
	s_delay_alu instid0(VALU_DEP_1) | instskip(NEXT) | instid1(VALU_DEP_1)
	v_lshlrev_b32_e32 v3, 4, v3
	v_add_lshl_u32 v4, v3, v6, 2
	ds_bpermute_b32 v3, v4, v1
	ds_bpermute_b32 v4, v4, v2
	s_waitcnt lgkmcnt(0)
	v_add_f64 v[1:2], v[1:2], v[3:4]
	v_and_b32_e32 v3, 31, v0
	s_delay_alu instid0(VALU_DEP_1)
	v_cmpx_eq_u32_e32 0, v3
	s_cbranch_execz .LBB66_8
; %bb.7:
	v_lshrrev_b32_e32 v3, 2, v0
	s_delay_alu instid0(VALU_DEP_1)
	v_add_nc_u32_e32 v3, 0, v3
	ds_store_b64 v3, v[1:2]
.LBB66_8:
	s_or_b32 exec_lo, exec_lo, s1
	s_delay_alu instid0(SALU_CYCLE_1)
	s_mov_b32 s1, exec_lo
	s_waitcnt lgkmcnt(0)
	s_barrier
	buffer_gl0_inv
	v_cmpx_eq_u32_e32 0, v0
	s_cbranch_execz .LBB66_10
; %bb.9:
	v_mov_b32_e32 v14, 0
	ds_load_2addr_b64 v[6:9], v14 offset0:1 offset1:2
	ds_load_2addr_b64 v[10:13], v14 offset0:3 offset1:4
	s_waitcnt lgkmcnt(1)
	v_add_f64 v[1:2], v[1:2], v[6:7]
	s_delay_alu instid0(VALU_DEP_1) | instskip(SKIP_1) | instid1(VALU_DEP_1)
	v_add_f64 v[1:2], v[1:2], v[8:9]
	s_waitcnt lgkmcnt(0)
	v_add_f64 v[1:2], v[1:2], v[10:11]
	s_delay_alu instid0(VALU_DEP_1) | instskip(SKIP_4) | instid1(VALU_DEP_1)
	v_add_f64 v[10:11], v[1:2], v[12:13]
	ds_load_2addr_b64 v[1:4], v14 offset0:5 offset1:6
	ds_load_2addr_b64 v[6:9], v14 offset0:7 offset1:8
	s_waitcnt lgkmcnt(1)
	v_add_f64 v[1:2], v[10:11], v[1:2]
	v_add_f64 v[1:2], v[1:2], v[3:4]
	s_waitcnt lgkmcnt(0)
	s_delay_alu instid0(VALU_DEP_1) | instskip(NEXT) | instid1(VALU_DEP_1)
	v_add_f64 v[1:2], v[1:2], v[6:7]
	v_add_f64 v[10:11], v[1:2], v[8:9]
	ds_load_2addr_b64 v[1:4], v14 offset0:9 offset1:10
	ds_load_2addr_b64 v[6:9], v14 offset0:11 offset1:12
	s_waitcnt lgkmcnt(1)
	v_add_f64 v[1:2], v[10:11], v[1:2]
	s_delay_alu instid0(VALU_DEP_1) | instskip(SKIP_1) | instid1(VALU_DEP_1)
	v_add_f64 v[1:2], v[1:2], v[3:4]
	s_waitcnt lgkmcnt(0)
	v_add_f64 v[1:2], v[1:2], v[6:7]
	s_delay_alu instid0(VALU_DEP_1) | instskip(SKIP_4) | instid1(VALU_DEP_1)
	v_add_f64 v[10:11], v[1:2], v[8:9]
	ds_load_2addr_b64 v[1:4], v14 offset0:13 offset1:14
	ds_load_2addr_b64 v[6:9], v14 offset0:15 offset1:16
	s_waitcnt lgkmcnt(1)
	v_add_f64 v[1:2], v[10:11], v[1:2]
	v_add_f64 v[1:2], v[1:2], v[3:4]
	s_waitcnt lgkmcnt(0)
	s_delay_alu instid0(VALU_DEP_1) | instskip(NEXT) | instid1(VALU_DEP_1)
	v_add_f64 v[1:2], v[1:2], v[6:7]
	v_add_f64 v[10:11], v[1:2], v[8:9]
	;; [unrolled: 19-line block ×3, first 2 shown]
	ds_load_2addr_b64 v[1:4], v14 offset0:25 offset1:26
	ds_load_2addr_b64 v[6:9], v14 offset0:27 offset1:28
	s_waitcnt lgkmcnt(1)
	v_add_f64 v[1:2], v[10:11], v[1:2]
	s_delay_alu instid0(VALU_DEP_1) | instskip(SKIP_1) | instid1(VALU_DEP_1)
	v_add_f64 v[1:2], v[1:2], v[3:4]
	s_waitcnt lgkmcnt(0)
	v_add_f64 v[1:2], v[1:2], v[6:7]
	s_delay_alu instid0(VALU_DEP_1) | instskip(SKIP_4) | instid1(VALU_DEP_1)
	v_add_f64 v[6:7], v[1:2], v[8:9]
	ds_load_2addr_b64 v[1:4], v14 offset0:29 offset1:30
	ds_load_b64 v[8:9], v14 offset:248
	s_waitcnt lgkmcnt(1)
	v_add_f64 v[1:2], v[6:7], v[1:2]
	v_add_f64 v[1:2], v[1:2], v[3:4]
	s_waitcnt lgkmcnt(0)
	s_delay_alu instid0(VALU_DEP_1)
	v_add_f64 v[1:2], v[1:2], v[8:9]
	ds_store_b64 v14, v[1:2]
.LBB66_10:
	s_or_b32 exec_lo, exec_lo, s1
	s_waitcnt lgkmcnt(0)
	s_barrier
	buffer_gl0_inv
	s_and_saveexec_b32 s0, vcc_lo
	s_cbranch_execz .LBB66_13
; %bb.11:
	s_mul_i32 s0, s2, s9
	s_mul_hi_u32 s1, s2, s8
	s_mul_i32 s4, s27, s8
	s_add_i32 s1, s1, s0
	s_mul_i32 s0, s2, s8
	s_add_i32 s1, s1, s4
	v_mov_b32_e32 v1, 0
	s_lshl_b64 s[0:1], s[0:1], 3
	v_mad_i64_i32 v[3:4], null, s12, v0, 0
	s_add_u32 s0, s6, s0
	s_addc_u32 s1, s7, s1
	ds_load_b64 v[1:2], v1
	s_load_b64 s[0:1], s[0:1], 0x0
	s_ashr_i32 s13, s12, 31
	s_lshl_b64 s[4:5], s[20:21], 3
	v_lshlrev_b64 v[3:4], 3, v[3:4]
	v_add3_u32 v5, v5, 0, 0x100
	s_waitcnt lgkmcnt(0)
	v_mul_f64 v[1:2], v[1:2], -s[0:1]
	s_add_i32 s0, s26, s3
	s_lshl_b64 s[2:3], s[14:15], 3
	s_add_i32 s23, s0, s25
	s_delay_alu instid0(SALU_CYCLE_1)
	s_lshl_b64 s[0:1], s[22:23], 3
	s_add_u32 s2, s10, s2
	s_addc_u32 s3, s11, s3
	s_add_u32 s2, s2, s4
	s_addc_u32 s3, s3, s5
	;; [unrolled: 2-line block ×3, first 2 shown]
	v_add_co_u32 v3, vcc_lo, s0, v3
	v_add_co_ci_u32_e32 v4, vcc_lo, s1, v4, vcc_lo
	s_mov_b32 s1, 0
	s_lshl_b64 s[2:3], s[12:13], 13
	.p2align	6
.LBB66_12:                              ; =>This Inner Loop Header: Depth=1
	global_load_b64 v[6:7], v[3:4], off
	ds_load_b64 v[8:9], v5
	v_add_nc_u32_e32 v0, 0x400, v0
	v_add_nc_u32_e32 v5, 0x2000, v5
	s_delay_alu instid0(VALU_DEP_2)
	v_cmp_le_i32_e32 vcc_lo, s24, v0
	s_or_b32 s1, vcc_lo, s1
	s_waitcnt vmcnt(0) lgkmcnt(0)
	v_fma_f64 v[6:7], v[1:2], v[8:9], v[6:7]
	global_store_b64 v[3:4], v[6:7], off
	v_add_co_u32 v3, s0, v3, s2
	s_delay_alu instid0(VALU_DEP_1)
	v_add_co_ci_u32_e64 v4, s0, s3, v4, s0
	s_and_not1_b32 exec_lo, exec_lo, s1
	s_cbranch_execnz .LBB66_12
.LBB66_13:
	s_nop 0
	s_sendmsg sendmsg(MSG_DEALLOC_VGPRS)
	s_endpgm
	.section	.rodata,"a",@progbits
	.p2align	6, 0x0
	.amdhsa_kernel _ZN9rocsolver6v33100L17larf_right_kernelILi1024EdiPdEEvT1_S3_T2_lS3_lPKT0_lS4_lS3_l
		.amdhsa_group_segment_fixed_size 0
		.amdhsa_private_segment_fixed_size 0
		.amdhsa_kernarg_size 88
		.amdhsa_user_sgpr_count 13
		.amdhsa_user_sgpr_dispatch_ptr 0
		.amdhsa_user_sgpr_queue_ptr 0
		.amdhsa_user_sgpr_kernarg_segment_ptr 1
		.amdhsa_user_sgpr_dispatch_id 0
		.amdhsa_user_sgpr_private_segment_size 0
		.amdhsa_wavefront_size32 1
		.amdhsa_uses_dynamic_stack 0
		.amdhsa_enable_private_segment 0
		.amdhsa_system_sgpr_workgroup_id_x 1
		.amdhsa_system_sgpr_workgroup_id_y 1
		.amdhsa_system_sgpr_workgroup_id_z 1
		.amdhsa_system_sgpr_workgroup_info 0
		.amdhsa_system_vgpr_workitem_id 0
		.amdhsa_next_free_vgpr 15
		.amdhsa_next_free_sgpr 34
		.amdhsa_reserve_vcc 1
		.amdhsa_float_round_mode_32 0
		.amdhsa_float_round_mode_16_64 0
		.amdhsa_float_denorm_mode_32 3
		.amdhsa_float_denorm_mode_16_64 3
		.amdhsa_dx10_clamp 1
		.amdhsa_ieee_mode 1
		.amdhsa_fp16_overflow 0
		.amdhsa_workgroup_processor_mode 1
		.amdhsa_memory_ordered 1
		.amdhsa_forward_progress 0
		.amdhsa_shared_vgpr_count 0
		.amdhsa_exception_fp_ieee_invalid_op 0
		.amdhsa_exception_fp_denorm_src 0
		.amdhsa_exception_fp_ieee_div_zero 0
		.amdhsa_exception_fp_ieee_overflow 0
		.amdhsa_exception_fp_ieee_underflow 0
		.amdhsa_exception_fp_ieee_inexact 0
		.amdhsa_exception_int_div_zero 0
	.end_amdhsa_kernel
	.section	.text._ZN9rocsolver6v33100L17larf_right_kernelILi1024EdiPdEEvT1_S3_T2_lS3_lPKT0_lS4_lS3_l,"axG",@progbits,_ZN9rocsolver6v33100L17larf_right_kernelILi1024EdiPdEEvT1_S3_T2_lS3_lPKT0_lS4_lS3_l,comdat
.Lfunc_end66:
	.size	_ZN9rocsolver6v33100L17larf_right_kernelILi1024EdiPdEEvT1_S3_T2_lS3_lPKT0_lS4_lS3_l, .Lfunc_end66-_ZN9rocsolver6v33100L17larf_right_kernelILi1024EdiPdEEvT1_S3_T2_lS3_lPKT0_lS4_lS3_l
                                        ; -- End function
	.section	.AMDGPU.csdata,"",@progbits
; Kernel info:
; codeLenInByte = 1764
; NumSgprs: 36
; NumVgprs: 15
; ScratchSize: 0
; MemoryBound: 0
; FloatMode: 240
; IeeeMode: 1
; LDSByteSize: 0 bytes/workgroup (compile time only)
; SGPRBlocks: 4
; VGPRBlocks: 1
; NumSGPRsForWavesPerEU: 36
; NumVGPRsForWavesPerEU: 15
; Occupancy: 16
; WaveLimiterHint : 0
; COMPUTE_PGM_RSRC2:SCRATCH_EN: 0
; COMPUTE_PGM_RSRC2:USER_SGPR: 13
; COMPUTE_PGM_RSRC2:TRAP_HANDLER: 0
; COMPUTE_PGM_RSRC2:TGID_X_EN: 1
; COMPUTE_PGM_RSRC2:TGID_Y_EN: 1
; COMPUTE_PGM_RSRC2:TGID_Z_EN: 1
; COMPUTE_PGM_RSRC2:TIDIG_COMP_CNT: 0
	.section	.text._ZN9rocsolver6v33100L12restore_diagIdidPdEEvPT1_llT2_lT0_lS6_,"axG",@progbits,_ZN9rocsolver6v33100L12restore_diagIdidPdEEvPT1_llT2_lT0_lS6_,comdat
	.globl	_ZN9rocsolver6v33100L12restore_diagIdidPdEEvPT1_llT2_lT0_lS6_ ; -- Begin function _ZN9rocsolver6v33100L12restore_diagIdidPdEEvPT1_llT2_lT0_lS6_
	.p2align	8
	.type	_ZN9rocsolver6v33100L12restore_diagIdidPdEEvPT1_llT2_lT0_lS6_,@function
_ZN9rocsolver6v33100L12restore_diagIdidPdEEvPT1_llT2_lT0_lS6_: ; @_ZN9rocsolver6v33100L12restore_diagIdidPdEEvPT1_llT2_lT0_lS6_
; %bb.0:
	s_clause 0x1
	s_load_b32 s2, s[0:1], 0x4c
	s_load_b32 s3, s[0:1], 0x38
	v_bfe_u32 v2, v0, 10, 10
	s_waitcnt lgkmcnt(0)
	s_lshr_b32 s2, s2, 16
	s_delay_alu instid0(VALU_DEP_1) | instid1(SALU_CYCLE_1)
	v_mad_u64_u32 v[0:1], null, s15, s2, v[2:3]
	s_mov_b32 s2, exec_lo
	s_delay_alu instid0(VALU_DEP_1)
	v_cmpx_gt_i32_e64 s3, v0
	s_cbranch_execz .LBB67_2
; %bb.1:
	s_clause 0x3
	s_load_b64 s[2:3], s[0:1], 0x30
	s_load_b256 s[4:11], s[0:1], 0x0
	s_load_b32 s12, s[0:1], 0x28
	s_load_b64 s[0:1], s[0:1], 0x20
	s_ashr_i32 s13, s14, 31
	s_waitcnt lgkmcnt(0)
	s_mul_i32 s3, s14, s3
	s_mul_hi_u32 s15, s14, s2
	s_mul_i32 s16, s13, s2
	s_add_i32 s3, s15, s3
	s_mul_i32 s2, s14, s2
	s_add_i32 s3, s3, s16
	s_mul_i32 s9, s14, s9
	s_lshl_b64 s[2:3], s[2:3], 3
	s_mul_hi_u32 s15, s14, s8
	s_add_u32 s2, s10, s2
	s_addc_u32 s3, s11, s3
	s_lshl_b64 s[0:1], s[0:1], 3
	s_mul_i32 s13, s13, s8
	s_add_u32 s2, s2, s0
	v_mad_u64_u32 v[2:3], null, v0, s12, v[0:1]
	v_ashrrev_i32_e32 v1, 31, v0
	s_addc_u32 s3, s3, s1
	s_add_i32 s1, s15, s9
	s_mul_i32 s0, s14, s8
	s_add_i32 s1, s1, s13
	v_lshlrev_b64 v[0:1], 3, v[0:1]
	s_lshl_b64 s[0:1], s[0:1], 3
	v_ashrrev_i32_e32 v3, 31, v2
	s_add_u32 s4, s4, s0
	s_addc_u32 s5, s5, s1
	s_lshl_b64 s[0:1], s[6:7], 3
	s_delay_alu instid0(SALU_CYCLE_1)
	s_add_u32 s0, s4, s0
	s_addc_u32 s1, s5, s1
	v_add_co_u32 v0, vcc_lo, s0, v0
	v_add_co_ci_u32_e32 v1, vcc_lo, s1, v1, vcc_lo
	v_lshlrev_b64 v[2:3], 3, v[2:3]
	global_load_b64 v[0:1], v[0:1], off
	v_add_co_u32 v2, vcc_lo, s2, v2
	v_add_co_ci_u32_e32 v3, vcc_lo, s3, v3, vcc_lo
	s_waitcnt vmcnt(0)
	global_store_b64 v[2:3], v[0:1], off
.LBB67_2:
	s_nop 0
	s_sendmsg sendmsg(MSG_DEALLOC_VGPRS)
	s_endpgm
	.section	.rodata,"a",@progbits
	.p2align	6, 0x0
	.amdhsa_kernel _ZN9rocsolver6v33100L12restore_diagIdidPdEEvPT1_llT2_lT0_lS6_
		.amdhsa_group_segment_fixed_size 0
		.amdhsa_private_segment_fixed_size 0
		.amdhsa_kernarg_size 320
		.amdhsa_user_sgpr_count 14
		.amdhsa_user_sgpr_dispatch_ptr 0
		.amdhsa_user_sgpr_queue_ptr 0
		.amdhsa_user_sgpr_kernarg_segment_ptr 1
		.amdhsa_user_sgpr_dispatch_id 0
		.amdhsa_user_sgpr_private_segment_size 0
		.amdhsa_wavefront_size32 1
		.amdhsa_uses_dynamic_stack 0
		.amdhsa_enable_private_segment 0
		.amdhsa_system_sgpr_workgroup_id_x 1
		.amdhsa_system_sgpr_workgroup_id_y 1
		.amdhsa_system_sgpr_workgroup_id_z 0
		.amdhsa_system_sgpr_workgroup_info 0
		.amdhsa_system_vgpr_workitem_id 1
		.amdhsa_next_free_vgpr 4
		.amdhsa_next_free_sgpr 17
		.amdhsa_reserve_vcc 1
		.amdhsa_float_round_mode_32 0
		.amdhsa_float_round_mode_16_64 0
		.amdhsa_float_denorm_mode_32 3
		.amdhsa_float_denorm_mode_16_64 3
		.amdhsa_dx10_clamp 1
		.amdhsa_ieee_mode 1
		.amdhsa_fp16_overflow 0
		.amdhsa_workgroup_processor_mode 1
		.amdhsa_memory_ordered 1
		.amdhsa_forward_progress 0
		.amdhsa_shared_vgpr_count 0
		.amdhsa_exception_fp_ieee_invalid_op 0
		.amdhsa_exception_fp_denorm_src 0
		.amdhsa_exception_fp_ieee_div_zero 0
		.amdhsa_exception_fp_ieee_overflow 0
		.amdhsa_exception_fp_ieee_underflow 0
		.amdhsa_exception_fp_ieee_inexact 0
		.amdhsa_exception_int_div_zero 0
	.end_amdhsa_kernel
	.section	.text._ZN9rocsolver6v33100L12restore_diagIdidPdEEvPT1_llT2_lT0_lS6_,"axG",@progbits,_ZN9rocsolver6v33100L12restore_diagIdidPdEEvPT1_llT2_lT0_lS6_,comdat
.Lfunc_end67:
	.size	_ZN9rocsolver6v33100L12restore_diagIdidPdEEvPT1_llT2_lT0_lS6_, .Lfunc_end67-_ZN9rocsolver6v33100L12restore_diagIdidPdEEvPT1_llT2_lT0_lS6_
                                        ; -- End function
	.section	.AMDGPU.csdata,"",@progbits
; Kernel info:
; codeLenInByte = 300
; NumSgprs: 19
; NumVgprs: 4
; ScratchSize: 0
; MemoryBound: 0
; FloatMode: 240
; IeeeMode: 1
; LDSByteSize: 0 bytes/workgroup (compile time only)
; SGPRBlocks: 2
; VGPRBlocks: 0
; NumSGPRsForWavesPerEU: 19
; NumVGPRsForWavesPerEU: 4
; Occupancy: 16
; WaveLimiterHint : 0
; COMPUTE_PGM_RSRC2:SCRATCH_EN: 0
; COMPUTE_PGM_RSRC2:USER_SGPR: 14
; COMPUTE_PGM_RSRC2:TRAP_HANDLER: 0
; COMPUTE_PGM_RSRC2:TGID_X_EN: 1
; COMPUTE_PGM_RSRC2:TGID_Y_EN: 1
; COMPUTE_PGM_RSRC2:TGID_Z_EN: 0
; COMPUTE_PGM_RSRC2:TIDIG_COMP_CNT: 1
	.section	.text._ZN9rocsolver6v33100L14set_triangularIdPdTnNSt9enable_ifIXnt18rocblas_is_complexIT_EEiE4typeELi0EEEviiT0_iilPS4_lS8_il15rocblas_direct_15rocblas_storev_b,"axG",@progbits,_ZN9rocsolver6v33100L14set_triangularIdPdTnNSt9enable_ifIXnt18rocblas_is_complexIT_EEiE4typeELi0EEEviiT0_iilPS4_lS8_il15rocblas_direct_15rocblas_storev_b,comdat
	.globl	_ZN9rocsolver6v33100L14set_triangularIdPdTnNSt9enable_ifIXnt18rocblas_is_complexIT_EEiE4typeELi0EEEviiT0_iilPS4_lS8_il15rocblas_direct_15rocblas_storev_b ; -- Begin function _ZN9rocsolver6v33100L14set_triangularIdPdTnNSt9enable_ifIXnt18rocblas_is_complexIT_EEiE4typeELi0EEEviiT0_iilPS4_lS8_il15rocblas_direct_15rocblas_storev_b
	.p2align	8
	.type	_ZN9rocsolver6v33100L14set_triangularIdPdTnNSt9enable_ifIXnt18rocblas_is_complexIT_EEiE4typeELi0EEEviiT0_iilPS4_lS8_il15rocblas_direct_15rocblas_storev_b,@function
_ZN9rocsolver6v33100L14set_triangularIdPdTnNSt9enable_ifIXnt18rocblas_is_complexIT_EEiE4typeELi0EEEviiT0_iilPS4_lS8_il15rocblas_direct_15rocblas_storev_b: ; @_ZN9rocsolver6v33100L14set_triangularIdPdTnNSt9enable_ifIXnt18rocblas_is_complexIT_EEiE4typeELi0EEEviiT0_iilPS4_lS8_il15rocblas_direct_15rocblas_storev_b
; %bb.0:
	s_clause 0x1
	s_load_b32 s2, s[0:1], 0x64
	s_load_b64 s[16:17], s[0:1], 0x0
	v_and_b32_e32 v2, 0x3ff, v0
	v_bfe_u32 v4, v0, 10, 10
	s_waitcnt lgkmcnt(0)
	s_lshr_b32 s3, s2, 16
	s_and_b32 s2, s2, 0xffff
	s_delay_alu instid0(SALU_CYCLE_1) | instskip(SKIP_2) | instid1(VALU_DEP_1)
	v_mad_u64_u32 v[0:1], null, s13, s2, v[2:3]
	v_mad_u64_u32 v[2:3], null, s14, s3, v[4:5]
	s_mov_b32 s2, exec_lo
	v_max_u32_e32 v1, v0, v2
	s_delay_alu instid0(VALU_DEP_1)
	v_cmpx_gt_u32_e64 s17, v1
	s_cbranch_execz .LBB68_36
; %bb.1:
	s_clause 0x2
	s_load_b256 s[4:11], s[0:1], 0x18
	s_load_b64 s[2:3], s[0:1], 0x40
	s_load_b32 s12, s[0:1], 0x38
	s_waitcnt lgkmcnt(0)
	s_mul_i32 s9, s15, s9
	s_mul_hi_u32 s13, s15, s8
	s_mul_i32 s8, s15, s8
	s_add_i32 s9, s13, s9
	s_mul_i32 s3, s15, s3
	s_lshl_b64 s[8:9], s[8:9], 3
	s_mul_hi_u32 s18, s15, s2
	s_add_u32 s13, s6, s8
	s_mul_i32 s2, s15, s2
	s_addc_u32 s14, s7, s9
	s_add_i32 s3, s18, s3
	s_delay_alu instid0(SALU_CYCLE_1) | instskip(NEXT) | instid1(SALU_CYCLE_1)
	s_lshl_b64 s[2:3], s[2:3], 3
	s_add_u32 s6, s10, s2
	s_addc_u32 s7, s11, s3
	s_mov_b32 s2, exec_lo
	v_cmpx_ne_u32_e64 v2, v0
	s_xor_b32 s18, exec_lo, s2
	s_cbranch_execz .LBB68_34
; %bb.2:
	s_clause 0x1
	s_load_b128 s[8:11], s[0:1], 0x8
	s_load_b128 s[0:3], s[0:1], 0x48
	s_waitcnt lgkmcnt(0)
	s_mul_i32 s3, s15, s5
	s_mul_hi_u32 s5, s15, s4
	s_mul_i32 s4, s15, s4
	s_add_i32 s5, s5, s3
	v_mov_b32_e32 v1, 0
	s_lshl_b64 s[4:5], s[4:5], 3
	s_ashr_i32 s21, s10, 31
	s_mov_b32 s20, s10
	s_add_u32 s3, s8, s4
	s_addc_u32 s8, s9, s5
	s_lshl_b64 s[4:5], s[20:21], 3
	s_delay_alu instid0(SALU_CYCLE_1) | instskip(SKIP_3) | instid1(SALU_CYCLE_1)
	s_add_u32 s3, s3, s4
	s_addc_u32 s4, s8, s5
	s_bitcmp1_b32 s2, 0
	s_cselect_b32 s2, -1, 0
	s_xor_b32 s2, s2, -1
	s_cmpk_lg_i32 s0, 0xab
	s_mov_b32 s0, -1
	s_cbranch_scc0 .LBB68_18
; %bb.3:
	s_mov_b32 s0, exec_lo
	v_cmpx_le_u32_e64 v2, v0
	s_xor_b32 s0, exec_lo, s0
	s_cbranch_execz .LBB68_5
; %bb.4:
	v_mad_u64_u32 v[4:5], null, v0, s12, 0
	s_ashr_i32 s5, s12, 31
	s_delay_alu instid0(VALU_DEP_1) | instskip(NEXT) | instid1(VALU_DEP_1)
	v_mov_b32_e32 v3, v5
	v_mad_u64_u32 v[5:6], null, v0, s5, v[3:4]
	v_mov_b32_e32 v3, 0
	s_delay_alu instid0(VALU_DEP_1) | instskip(NEXT) | instid1(VALU_DEP_3)
	v_lshlrev_b64 v[6:7], 3, v[2:3]
	v_lshlrev_b64 v[4:5], 3, v[4:5]
	s_delay_alu instid0(VALU_DEP_1) | instskip(NEXT) | instid1(VALU_DEP_2)
	v_add_co_u32 v8, vcc_lo, s6, v4
	v_add_co_ci_u32_e32 v5, vcc_lo, s7, v5, vcc_lo
	v_mov_b32_e32 v4, v3
	s_delay_alu instid0(VALU_DEP_3) | instskip(NEXT) | instid1(VALU_DEP_3)
	v_add_co_u32 v6, vcc_lo, v8, v6
	v_add_co_ci_u32_e32 v7, vcc_lo, v5, v7, vcc_lo
	v_mov_b32_e32 v5, v3
	global_store_b64 v[6:7], v[4:5], off
.LBB68_5:
	s_and_not1_saveexec_b32 s0, s0
	s_cbranch_execz .LBB68_17
; %bb.6:
	v_lshlrev_b64 v[3:4], 3, v[0:1]
	s_cmpk_lg_i32 s1, 0xb5
	s_mov_b32 s5, -1
	s_delay_alu instid0(VALU_DEP_1) | instskip(NEXT) | instid1(VALU_DEP_2)
	v_add_co_u32 v3, vcc_lo, s13, v3
	v_add_co_ci_u32_e32 v4, vcc_lo, s14, v4, vcc_lo
	global_load_b64 v[4:5], v[3:4], off
	s_cbranch_scc0 .LBB68_12
; %bb.7:
	v_mov_b32_e32 v3, 0
	s_and_not1_b32 vcc_lo, exec_lo, s2
	s_delay_alu instid0(VALU_DEP_1)
	v_lshlrev_b64 v[6:7], 3, v[2:3]
	s_cbranch_vccnz .LBB68_9
; %bb.8:
	s_sub_i32 s5, s16, s17
	s_delay_alu instid0(SALU_CYCLE_1) | instskip(SKIP_1) | instid1(VALU_DEP_1)
	v_add_nc_u32_e32 v11, s5, v0
	s_ashr_i32 s5, s11, 31
	v_mad_u64_u32 v[8:9], null, v11, s11, 0
	s_delay_alu instid0(VALU_DEP_1) | instskip(SKIP_1) | instid1(VALU_DEP_1)
	v_mov_b32_e32 v3, v9
	s_waitcnt vmcnt(0)
	v_mad_u64_u32 v[9:10], null, v11, s5, v[3:4]
	v_mad_u64_u32 v[10:11], null, v0, s12, 0
	s_ashr_i32 s5, s12, 31
	s_delay_alu instid0(VALU_DEP_2) | instskip(NEXT) | instid1(VALU_DEP_1)
	v_lshlrev_b64 v[8:9], 3, v[8:9]
	v_add_co_u32 v3, vcc_lo, s3, v8
	s_delay_alu instid0(VALU_DEP_2) | instskip(NEXT) | instid1(VALU_DEP_2)
	v_add_co_ci_u32_e32 v9, vcc_lo, s4, v9, vcc_lo
	v_add_co_u32 v8, vcc_lo, v3, v6
	s_delay_alu instid0(VALU_DEP_2) | instskip(SKIP_4) | instid1(VALU_DEP_1)
	v_add_co_ci_u32_e32 v9, vcc_lo, v9, v7, vcc_lo
	v_mov_b32_e32 v3, v11
	global_load_b64 v[8:9], v[8:9], off
	v_mad_u64_u32 v[11:12], null, v0, s5, v[3:4]
	s_mov_b32 s5, 0
	v_lshlrev_b64 v[10:11], 3, v[10:11]
	s_delay_alu instid0(VALU_DEP_1) | instskip(NEXT) | instid1(VALU_DEP_2)
	v_add_co_u32 v3, vcc_lo, s6, v10
	v_add_co_ci_u32_e32 v11, vcc_lo, s7, v11, vcc_lo
	s_delay_alu instid0(VALU_DEP_2) | instskip(NEXT) | instid1(VALU_DEP_2)
	v_add_co_u32 v10, vcc_lo, v3, v6
	v_add_co_ci_u32_e32 v11, vcc_lo, v11, v7, vcc_lo
	s_waitcnt vmcnt(0)
	v_mul_f64 v[8:9], v[8:9], -v[4:5]
	global_store_b64 v[10:11], v[8:9], off
.LBB68_9:
	s_and_not1_b32 vcc_lo, exec_lo, s5
	s_cbranch_vccnz .LBB68_11
; %bb.10:
	v_mad_u64_u32 v[8:9], null, v0, s12, 0
	s_sub_i32 s5, s16, s17
	s_delay_alu instid0(SALU_CYCLE_1) | instskip(SKIP_1) | instid1(VALU_DEP_2)
	v_add_nc_u32_e32 v14, s5, v0
	s_ashr_i32 s5, s12, 31
	v_mov_b32_e32 v3, v9
	s_delay_alu instid0(VALU_DEP_2) | instskip(NEXT) | instid1(VALU_DEP_1)
	v_mad_u64_u32 v[10:11], null, v14, s11, 0
	v_mov_b32_e32 v9, v11
	s_waitcnt vmcnt(0)
	s_delay_alu instid0(VALU_DEP_3)
	v_mad_u64_u32 v[11:12], null, v0, s5, v[3:4]
	s_ashr_i32 s5, s11, 31
	s_delay_alu instid0(VALU_DEP_2) | instid1(SALU_CYCLE_1)
	v_mad_u64_u32 v[12:13], null, v14, s5, v[9:10]
	s_delay_alu instid0(VALU_DEP_2) | instskip(NEXT) | instid1(VALU_DEP_2)
	v_mov_b32_e32 v9, v11
	v_mov_b32_e32 v11, v12
	s_delay_alu instid0(VALU_DEP_2) | instskip(NEXT) | instid1(VALU_DEP_2)
	v_lshlrev_b64 v[8:9], 3, v[8:9]
	v_lshlrev_b64 v[10:11], 3, v[10:11]
	s_delay_alu instid0(VALU_DEP_2) | instskip(NEXT) | instid1(VALU_DEP_3)
	v_add_co_u32 v3, vcc_lo, s6, v8
	v_add_co_ci_u32_e32 v9, vcc_lo, s7, v9, vcc_lo
	s_delay_alu instid0(VALU_DEP_3) | instskip(NEXT) | instid1(VALU_DEP_4)
	v_add_co_u32 v10, vcc_lo, s3, v10
	v_add_co_ci_u32_e32 v11, vcc_lo, s4, v11, vcc_lo
	s_delay_alu instid0(VALU_DEP_4) | instskip(NEXT) | instid1(VALU_DEP_4)
	v_add_co_u32 v8, vcc_lo, v3, v6
	v_add_co_ci_u32_e32 v9, vcc_lo, v9, v7, vcc_lo
	s_delay_alu instid0(VALU_DEP_4) | instskip(NEXT) | instid1(VALU_DEP_4)
	v_add_co_u32 v6, vcc_lo, v10, v6
	v_add_co_ci_u32_e32 v7, vcc_lo, v11, v7, vcc_lo
	global_load_b64 v[10:11], v[8:9], off
	global_load_b64 v[6:7], v[6:7], off
	s_waitcnt vmcnt(0)
	v_add_f64 v[6:7], v[10:11], v[6:7]
	s_delay_alu instid0(VALU_DEP_1)
	v_mul_f64 v[6:7], v[6:7], -v[4:5]
	global_store_b64 v[8:9], v[6:7], off
.LBB68_11:
	s_mov_b32 s5, 0
.LBB68_12:
	s_delay_alu instid0(SALU_CYCLE_1)
	s_and_not1_b32 vcc_lo, exec_lo, s5
	s_cbranch_vccnz .LBB68_17
; %bb.13:
	s_and_not1_b32 vcc_lo, exec_lo, s2
	s_mov_b32 s5, -1
	s_cbranch_vccnz .LBB68_15
; %bb.14:
	v_mad_u64_u32 v[6:7], null, v2, s11, 0
	s_ashr_i32 s5, s11, 31
	v_mov_b32_e32 v9, 0
	s_delay_alu instid0(VALU_DEP_2) | instskip(SKIP_1) | instid1(VALU_DEP_1)
	v_mov_b32_e32 v3, v7
	s_waitcnt vmcnt(0)
	v_mad_u64_u32 v[7:8], null, v2, s5, v[3:4]
	s_sub_i32 s5, s16, s17
	s_delay_alu instid0(SALU_CYCLE_1) | instskip(SKIP_1) | instid1(VALU_DEP_2)
	v_add_nc_u32_e32 v8, s5, v0
	s_ashr_i32 s5, s12, 31
	v_lshlrev_b64 v[6:7], 3, v[6:7]
	s_delay_alu instid0(VALU_DEP_2) | instskip(NEXT) | instid1(VALU_DEP_2)
	v_lshlrev_b64 v[10:11], 3, v[8:9]
	v_add_co_u32 v3, vcc_lo, s3, v6
	s_delay_alu instid0(VALU_DEP_3) | instskip(NEXT) | instid1(VALU_DEP_2)
	v_add_co_ci_u32_e32 v7, vcc_lo, s4, v7, vcc_lo
	v_add_co_u32 v6, vcc_lo, v3, v10
	s_delay_alu instid0(VALU_DEP_2) | instskip(SKIP_3) | instid1(VALU_DEP_1)
	v_add_co_ci_u32_e32 v7, vcc_lo, v7, v11, vcc_lo
	v_mad_u64_u32 v[10:11], null, v0, s12, 0
	global_load_b64 v[6:7], v[6:7], off
	v_mov_b32_e32 v3, v11
	v_mad_u64_u32 v[11:12], null, v0, s5, v[3:4]
	v_mov_b32_e32 v3, v9
	s_mov_b32 s5, 0
	s_delay_alu instid0(VALU_DEP_2) | instskip(NEXT) | instid1(VALU_DEP_2)
	v_lshlrev_b64 v[8:9], 3, v[10:11]
	v_lshlrev_b64 v[10:11], 3, v[2:3]
	s_delay_alu instid0(VALU_DEP_2) | instskip(NEXT) | instid1(VALU_DEP_3)
	v_add_co_u32 v3, vcc_lo, s6, v8
	v_add_co_ci_u32_e32 v9, vcc_lo, s7, v9, vcc_lo
	s_delay_alu instid0(VALU_DEP_2) | instskip(NEXT) | instid1(VALU_DEP_2)
	v_add_co_u32 v8, vcc_lo, v3, v10
	v_add_co_ci_u32_e32 v9, vcc_lo, v9, v11, vcc_lo
	s_waitcnt vmcnt(0)
	v_mul_f64 v[6:7], v[6:7], -v[4:5]
	global_store_b64 v[8:9], v[6:7], off
.LBB68_15:
	s_and_not1_b32 vcc_lo, exec_lo, s5
	s_cbranch_vccnz .LBB68_17
; %bb.16:
	v_mad_u64_u32 v[6:7], null, v0, s12, 0
	v_mad_u64_u32 v[8:9], null, v2, s11, 0
	s_ashr_i32 s5, s12, 31
	s_delay_alu instid0(VALU_DEP_2) | instskip(NEXT) | instid1(VALU_DEP_2)
	v_mov_b32_e32 v3, v7
	v_mov_b32_e32 v7, v9
	s_waitcnt vmcnt(0)
	s_delay_alu instid0(VALU_DEP_2) | instskip(SKIP_2) | instid1(VALU_DEP_1)
	v_mad_u64_u32 v[9:10], null, v0, s5, v[3:4]
	v_mov_b32_e32 v3, 0
	s_ashr_i32 s5, s11, 31
	v_mov_b32_e32 v12, v3
	v_mad_u64_u32 v[10:11], null, v2, s5, v[7:8]
	s_delay_alu instid0(VALU_DEP_4) | instskip(SKIP_3) | instid1(VALU_DEP_3)
	v_mov_b32_e32 v7, v9
	s_sub_i32 s5, s16, s17
	v_lshlrev_b64 v[13:14], 3, v[2:3]
	v_add_nc_u32_e32 v11, s5, v0
	v_lshlrev_b64 v[6:7], 3, v[6:7]
	v_mov_b32_e32 v9, v10
	s_delay_alu instid0(VALU_DEP_3) | instskip(NEXT) | instid1(VALU_DEP_2)
	v_lshlrev_b64 v[10:11], 3, v[11:12]
	v_lshlrev_b64 v[8:9], 3, v[8:9]
	s_delay_alu instid0(VALU_DEP_4) | instskip(SKIP_1) | instid1(VALU_DEP_3)
	v_add_co_u32 v3, vcc_lo, s6, v6
	v_add_co_ci_u32_e32 v7, vcc_lo, s7, v7, vcc_lo
	v_add_co_u32 v8, vcc_lo, s3, v8
	s_delay_alu instid0(VALU_DEP_4) | instskip(NEXT) | instid1(VALU_DEP_4)
	v_add_co_ci_u32_e32 v9, vcc_lo, s4, v9, vcc_lo
	v_add_co_u32 v6, vcc_lo, v3, v13
	s_delay_alu instid0(VALU_DEP_4) | instskip(NEXT) | instid1(VALU_DEP_4)
	v_add_co_ci_u32_e32 v7, vcc_lo, v7, v14, vcc_lo
	v_add_co_u32 v8, vcc_lo, v8, v10
	s_delay_alu instid0(VALU_DEP_4) | instskip(SKIP_4) | instid1(VALU_DEP_1)
	v_add_co_ci_u32_e32 v9, vcc_lo, v9, v11, vcc_lo
	global_load_b64 v[10:11], v[6:7], off
	global_load_b64 v[8:9], v[8:9], off
	s_waitcnt vmcnt(0)
	v_add_f64 v[8:9], v[10:11], v[8:9]
	v_mul_f64 v[3:4], v[8:9], -v[4:5]
	global_store_b64 v[6:7], v[3:4], off
.LBB68_17:
	s_or_b32 exec_lo, exec_lo, s0
	s_mov_b32 s0, 0
.LBB68_18:
	s_delay_alu instid0(SALU_CYCLE_1)
	s_and_not1_b32 vcc_lo, exec_lo, s0
	s_cbranch_vccnz .LBB68_34
; %bb.19:
	s_mov_b32 s0, exec_lo
	v_cmpx_ge_u32_e64 v2, v0
	s_xor_b32 s0, exec_lo, s0
	s_cbranch_execz .LBB68_21
; %bb.20:
	s_waitcnt vmcnt(0)
	v_mad_u64_u32 v[4:5], null, v0, s12, 0
	v_mov_b32_e32 v3, 0
	s_ashr_i32 s5, s12, 31
	s_delay_alu instid0(VALU_DEP_2) | instskip(NEXT) | instid1(VALU_DEP_1)
	v_mov_b32_e32 v1, v5
	v_mad_u64_u32 v[5:6], null, v0, s5, v[1:2]
	s_delay_alu instid0(VALU_DEP_1) | instskip(SKIP_2) | instid1(VALU_DEP_3)
	v_lshlrev_b64 v[0:1], 3, v[4:5]
	v_lshlrev_b64 v[4:5], 3, v[2:3]
	v_mov_b32_e32 v2, v3
	v_add_co_u32 v0, vcc_lo, s6, v0
	s_delay_alu instid0(VALU_DEP_4) | instskip(NEXT) | instid1(VALU_DEP_2)
	v_add_co_ci_u32_e32 v1, vcc_lo, s7, v1, vcc_lo
	v_add_co_u32 v0, vcc_lo, v0, v4
	s_delay_alu instid0(VALU_DEP_2)
	v_add_co_ci_u32_e32 v1, vcc_lo, v1, v5, vcc_lo
	global_store_b64 v[0:1], v[2:3], off
                                        ; implicit-def: $vgpr0_vgpr1
                                        ; implicit-def: $vgpr2_vgpr3
.LBB68_21:
	s_and_not1_saveexec_b32 s0, s0
	s_cbranch_execz .LBB68_33
; %bb.22:
	v_lshlrev_b64 v[6:7], 3, v[0:1]
	v_cndmask_b32_e64 v1, 0, 1, s2
	s_cmpk_lg_i32 s1, 0xb5
	s_mov_b32 s1, -1
	s_delay_alu instid0(VALU_DEP_2)
	v_add_co_u32 v3, vcc_lo, s13, v6
	s_waitcnt vmcnt(0)
	v_add_co_ci_u32_e32 v4, vcc_lo, s14, v7, vcc_lo
	v_cmp_ne_u32_e32 vcc_lo, 1, v1
	global_load_b64 v[4:5], v[3:4], off
	v_mov_b32_e32 v3, 0
	s_cbranch_scc0 .LBB68_28
; %bb.23:
	s_and_b32 vcc_lo, exec_lo, vcc_lo
	s_cbranch_vccnz .LBB68_25
; %bb.24:
	v_mad_u64_u32 v[8:9], null, v0, s11, 0
	s_ashr_i32 s1, s11, 31
	v_mad_u64_u32 v[12:13], null, v0, s12, 0
	s_delay_alu instid0(VALU_DEP_2) | instskip(NEXT) | instid1(VALU_DEP_1)
	v_mov_b32_e32 v1, v9
	v_mad_u64_u32 v[9:10], null, v0, s1, v[1:2]
	v_lshlrev_b64 v[10:11], 3, v[2:3]
	s_ashr_i32 s1, s12, 31
	s_delay_alu instid0(VALU_DEP_2) | instskip(NEXT) | instid1(VALU_DEP_1)
	v_lshlrev_b64 v[8:9], 3, v[8:9]
	v_add_co_u32 v1, vcc_lo, s3, v8
	s_delay_alu instid0(VALU_DEP_2) | instskip(NEXT) | instid1(VALU_DEP_2)
	v_add_co_ci_u32_e32 v9, vcc_lo, s4, v9, vcc_lo
	v_add_co_u32 v8, vcc_lo, v1, v10
	s_delay_alu instid0(VALU_DEP_2) | instskip(SKIP_4) | instid1(VALU_DEP_1)
	v_add_co_ci_u32_e32 v9, vcc_lo, v9, v11, vcc_lo
	v_mov_b32_e32 v1, v13
	global_load_b64 v[8:9], v[8:9], off
	v_mad_u64_u32 v[13:14], null, v0, s1, v[1:2]
	s_mov_b32 s1, 0
	v_lshlrev_b64 v[12:13], 3, v[12:13]
	s_delay_alu instid0(VALU_DEP_1) | instskip(NEXT) | instid1(VALU_DEP_2)
	v_add_co_u32 v1, vcc_lo, s6, v12
	v_add_co_ci_u32_e32 v12, vcc_lo, s7, v13, vcc_lo
	s_delay_alu instid0(VALU_DEP_2) | instskip(NEXT) | instid1(VALU_DEP_2)
	v_add_co_u32 v10, vcc_lo, v1, v10
	v_add_co_ci_u32_e32 v11, vcc_lo, v12, v11, vcc_lo
	s_waitcnt vmcnt(0)
	v_mul_f64 v[8:9], v[8:9], -v[4:5]
	global_store_b64 v[10:11], v[8:9], off
.LBB68_25:
	s_and_not1_b32 vcc_lo, exec_lo, s1
	s_cbranch_vccnz .LBB68_27
; %bb.26:
	v_mad_u64_u32 v[8:9], null, v0, s12, 0
	v_mad_u64_u32 v[10:11], null, v0, s11, 0
	s_ashr_i32 s1, s12, 31
	s_delay_alu instid0(VALU_DEP_2) | instskip(NEXT) | instid1(VALU_DEP_2)
	v_mov_b32_e32 v1, v9
	v_mov_b32_e32 v9, v11
	s_delay_alu instid0(VALU_DEP_2)
	v_mad_u64_u32 v[11:12], null, v0, s1, v[1:2]
	s_ashr_i32 s1, s11, 31
	s_delay_alu instid0(VALU_DEP_2) | instid1(SALU_CYCLE_1)
	v_mad_u64_u32 v[12:13], null, v0, s1, v[9:10]
	s_delay_alu instid0(VALU_DEP_2) | instskip(NEXT) | instid1(VALU_DEP_2)
	v_mov_b32_e32 v9, v11
	v_mov_b32_e32 v11, v12
	s_delay_alu instid0(VALU_DEP_2) | instskip(SKIP_1) | instid1(VALU_DEP_3)
	v_lshlrev_b64 v[8:9], 3, v[8:9]
	v_lshlrev_b64 v[12:13], 3, v[2:3]
	;; [unrolled: 1-line block ×3, first 2 shown]
	s_delay_alu instid0(VALU_DEP_3) | instskip(NEXT) | instid1(VALU_DEP_4)
	v_add_co_u32 v1, vcc_lo, s6, v8
	v_add_co_ci_u32_e32 v9, vcc_lo, s7, v9, vcc_lo
	s_delay_alu instid0(VALU_DEP_3) | instskip(NEXT) | instid1(VALU_DEP_4)
	v_add_co_u32 v10, vcc_lo, s3, v10
	v_add_co_ci_u32_e32 v11, vcc_lo, s4, v11, vcc_lo
	s_delay_alu instid0(VALU_DEP_4) | instskip(NEXT) | instid1(VALU_DEP_4)
	v_add_co_u32 v8, vcc_lo, v1, v12
	v_add_co_ci_u32_e32 v9, vcc_lo, v9, v13, vcc_lo
	s_delay_alu instid0(VALU_DEP_4) | instskip(NEXT) | instid1(VALU_DEP_4)
	v_add_co_u32 v10, vcc_lo, v10, v12
	v_add_co_ci_u32_e32 v11, vcc_lo, v11, v13, vcc_lo
	global_load_b64 v[12:13], v[8:9], off
	global_load_b64 v[10:11], v[10:11], off
	s_waitcnt vmcnt(0)
	v_add_f64 v[10:11], v[12:13], v[10:11]
	s_delay_alu instid0(VALU_DEP_1)
	v_mul_f64 v[10:11], v[10:11], -v[4:5]
	global_store_b64 v[8:9], v[10:11], off
.LBB68_27:
	s_mov_b32 s1, 0
.LBB68_28:
	s_delay_alu instid0(SALU_CYCLE_1)
	s_and_not1_b32 vcc_lo, exec_lo, s1
	s_cbranch_vccnz .LBB68_33
; %bb.29:
	s_delay_alu instid0(VALU_DEP_1)
	v_lshlrev_b64 v[8:9], 3, v[2:3]
	s_and_not1_b32 vcc_lo, exec_lo, s2
	s_mov_b32 s1, -1
	s_cbranch_vccnz .LBB68_31
; %bb.30:
	v_mad_u64_u32 v[10:11], null, v2, s11, 0
	s_ashr_i32 s1, s11, 31
	s_delay_alu instid0(VALU_DEP_1) | instskip(NEXT) | instid1(VALU_DEP_1)
	v_mov_b32_e32 v1, v11
	v_mad_u64_u32 v[11:12], null, v2, s1, v[1:2]
	v_mad_u64_u32 v[12:13], null, v0, s12, 0
	s_ashr_i32 s1, s12, 31
	s_delay_alu instid0(VALU_DEP_2) | instskip(NEXT) | instid1(VALU_DEP_1)
	v_lshlrev_b64 v[10:11], 3, v[10:11]
	v_add_co_u32 v1, vcc_lo, s3, v10
	s_delay_alu instid0(VALU_DEP_2) | instskip(NEXT) | instid1(VALU_DEP_2)
	v_add_co_ci_u32_e32 v3, vcc_lo, s4, v11, vcc_lo
	v_add_co_u32 v10, vcc_lo, v1, v6
	s_delay_alu instid0(VALU_DEP_2) | instskip(SKIP_4) | instid1(VALU_DEP_1)
	v_add_co_ci_u32_e32 v11, vcc_lo, v3, v7, vcc_lo
	v_mov_b32_e32 v1, v13
	global_load_b64 v[10:11], v[10:11], off
	v_mad_u64_u32 v[13:14], null, v0, s1, v[1:2]
	s_mov_b32 s1, 0
	v_lshlrev_b64 v[12:13], 3, v[12:13]
	s_delay_alu instid0(VALU_DEP_1) | instskip(NEXT) | instid1(VALU_DEP_2)
	v_add_co_u32 v1, vcc_lo, s6, v12
	v_add_co_ci_u32_e32 v3, vcc_lo, s7, v13, vcc_lo
	s_delay_alu instid0(VALU_DEP_2) | instskip(NEXT) | instid1(VALU_DEP_2)
	v_add_co_u32 v12, vcc_lo, v1, v8
	v_add_co_ci_u32_e32 v13, vcc_lo, v3, v9, vcc_lo
	s_waitcnt vmcnt(0)
	v_mul_f64 v[10:11], v[10:11], -v[4:5]
	global_store_b64 v[12:13], v[10:11], off
.LBB68_31:
	s_and_not1_b32 vcc_lo, exec_lo, s1
	s_cbranch_vccnz .LBB68_33
; %bb.32:
	v_mad_u64_u32 v[10:11], null, v0, s12, 0
	v_mad_u64_u32 v[12:13], null, v2, s11, 0
	s_ashr_i32 s1, s12, 31
	s_delay_alu instid0(VALU_DEP_2) | instskip(NEXT) | instid1(VALU_DEP_2)
	v_mov_b32_e32 v1, v11
	v_mov_b32_e32 v3, v13
	s_delay_alu instid0(VALU_DEP_2) | instskip(SKIP_2) | instid1(VALU_DEP_2)
	v_mad_u64_u32 v[13:14], null, v0, s1, v[1:2]
	s_ashr_i32 s1, s11, 31
	s_waitcnt vmcnt(0)
	v_mad_u64_u32 v[0:1], null, v2, s1, v[3:4]
	s_delay_alu instid0(VALU_DEP_2) | instskip(NEXT) | instid1(VALU_DEP_2)
	v_mov_b32_e32 v11, v13
	v_mov_b32_e32 v13, v0
	s_delay_alu instid0(VALU_DEP_2) | instskip(NEXT) | instid1(VALU_DEP_2)
	v_lshlrev_b64 v[0:1], 3, v[10:11]
	v_lshlrev_b64 v[2:3], 3, v[12:13]
	s_delay_alu instid0(VALU_DEP_2) | instskip(NEXT) | instid1(VALU_DEP_3)
	v_add_co_u32 v0, vcc_lo, s6, v0
	v_add_co_ci_u32_e32 v1, vcc_lo, s7, v1, vcc_lo
	s_delay_alu instid0(VALU_DEP_3) | instskip(NEXT) | instid1(VALU_DEP_4)
	v_add_co_u32 v2, vcc_lo, s3, v2
	v_add_co_ci_u32_e32 v3, vcc_lo, s4, v3, vcc_lo
	s_delay_alu instid0(VALU_DEP_4) | instskip(NEXT) | instid1(VALU_DEP_4)
	v_add_co_u32 v0, vcc_lo, v0, v8
	v_add_co_ci_u32_e32 v1, vcc_lo, v1, v9, vcc_lo
	s_delay_alu instid0(VALU_DEP_4) | instskip(NEXT) | instid1(VALU_DEP_4)
	v_add_co_u32 v2, vcc_lo, v2, v6
	v_add_co_ci_u32_e32 v3, vcc_lo, v3, v7, vcc_lo
	global_load_b64 v[6:7], v[0:1], off
	global_load_b64 v[2:3], v[2:3], off
	s_waitcnt vmcnt(0)
	v_add_f64 v[2:3], v[6:7], v[2:3]
	s_delay_alu instid0(VALU_DEP_1)
	v_mul_f64 v[2:3], v[2:3], -v[4:5]
	global_store_b64 v[0:1], v[2:3], off
.LBB68_33:
	s_or_b32 exec_lo, exec_lo, s0
                                        ; implicit-def: $vgpr0_vgpr1
.LBB68_34:
	s_and_not1_saveexec_b32 s0, s18
	s_cbranch_execz .LBB68_36
; %bb.35:
	s_waitcnt vmcnt(0)
	v_mad_u64_u32 v[5:6], null, v0, s12, 0
	s_ashr_i32 s0, s12, 31
	s_delay_alu instid0(VALU_DEP_1) | instid1(SALU_CYCLE_1)
	v_mad_u64_u32 v[7:8], null, v0, s0, v[6:7]
	s_delay_alu instid0(VALU_DEP_1) | instskip(NEXT) | instid1(VALU_DEP_1)
	v_dual_mov_b32 v1, 0 :: v_dual_mov_b32 v6, v7
	v_lshlrev_b64 v[1:2], 3, v[0:1]
	s_delay_alu instid0(VALU_DEP_2) | instskip(NEXT) | instid1(VALU_DEP_2)
	v_lshlrev_b64 v[5:6], 3, v[5:6]
	v_add_co_u32 v3, vcc_lo, s13, v1
	s_delay_alu instid0(VALU_DEP_3) | instskip(NEXT) | instid1(VALU_DEP_3)
	v_add_co_ci_u32_e32 v4, vcc_lo, s14, v2, vcc_lo
	v_add_co_u32 v0, vcc_lo, s6, v5
	s_delay_alu instid0(VALU_DEP_4)
	v_add_co_ci_u32_e32 v5, vcc_lo, s7, v6, vcc_lo
	global_load_b64 v[3:4], v[3:4], off
	v_add_co_u32 v0, vcc_lo, v0, v1
	v_add_co_ci_u32_e32 v1, vcc_lo, v5, v2, vcc_lo
	s_waitcnt vmcnt(0)
	global_store_b64 v[0:1], v[3:4], off
.LBB68_36:
	s_nop 0
	s_sendmsg sendmsg(MSG_DEALLOC_VGPRS)
	s_endpgm
	.section	.rodata,"a",@progbits
	.p2align	6, 0x0
	.amdhsa_kernel _ZN9rocsolver6v33100L14set_triangularIdPdTnNSt9enable_ifIXnt18rocblas_is_complexIT_EEiE4typeELi0EEEviiT0_iilPS4_lS8_il15rocblas_direct_15rocblas_storev_b
		.amdhsa_group_segment_fixed_size 0
		.amdhsa_private_segment_fixed_size 0
		.amdhsa_kernarg_size 344
		.amdhsa_user_sgpr_count 13
		.amdhsa_user_sgpr_dispatch_ptr 0
		.amdhsa_user_sgpr_queue_ptr 0
		.amdhsa_user_sgpr_kernarg_segment_ptr 1
		.amdhsa_user_sgpr_dispatch_id 0
		.amdhsa_user_sgpr_private_segment_size 0
		.amdhsa_wavefront_size32 1
		.amdhsa_uses_dynamic_stack 0
		.amdhsa_enable_private_segment 0
		.amdhsa_system_sgpr_workgroup_id_x 1
		.amdhsa_system_sgpr_workgroup_id_y 1
		.amdhsa_system_sgpr_workgroup_id_z 1
		.amdhsa_system_sgpr_workgroup_info 0
		.amdhsa_system_vgpr_workitem_id 1
		.amdhsa_next_free_vgpr 15
		.amdhsa_next_free_sgpr 22
		.amdhsa_reserve_vcc 1
		.amdhsa_float_round_mode_32 0
		.amdhsa_float_round_mode_16_64 0
		.amdhsa_float_denorm_mode_32 3
		.amdhsa_float_denorm_mode_16_64 3
		.amdhsa_dx10_clamp 1
		.amdhsa_ieee_mode 1
		.amdhsa_fp16_overflow 0
		.amdhsa_workgroup_processor_mode 1
		.amdhsa_memory_ordered 1
		.amdhsa_forward_progress 0
		.amdhsa_shared_vgpr_count 0
		.amdhsa_exception_fp_ieee_invalid_op 0
		.amdhsa_exception_fp_denorm_src 0
		.amdhsa_exception_fp_ieee_div_zero 0
		.amdhsa_exception_fp_ieee_overflow 0
		.amdhsa_exception_fp_ieee_underflow 0
		.amdhsa_exception_fp_ieee_inexact 0
		.amdhsa_exception_int_div_zero 0
	.end_amdhsa_kernel
	.section	.text._ZN9rocsolver6v33100L14set_triangularIdPdTnNSt9enable_ifIXnt18rocblas_is_complexIT_EEiE4typeELi0EEEviiT0_iilPS4_lS8_il15rocblas_direct_15rocblas_storev_b,"axG",@progbits,_ZN9rocsolver6v33100L14set_triangularIdPdTnNSt9enable_ifIXnt18rocblas_is_complexIT_EEiE4typeELi0EEEviiT0_iilPS4_lS8_il15rocblas_direct_15rocblas_storev_b,comdat
.Lfunc_end68:
	.size	_ZN9rocsolver6v33100L14set_triangularIdPdTnNSt9enable_ifIXnt18rocblas_is_complexIT_EEiE4typeELi0EEEviiT0_iilPS4_lS8_il15rocblas_direct_15rocblas_storev_b, .Lfunc_end68-_ZN9rocsolver6v33100L14set_triangularIdPdTnNSt9enable_ifIXnt18rocblas_is_complexIT_EEiE4typeELi0EEEviiT0_iilPS4_lS8_il15rocblas_direct_15rocblas_storev_b
                                        ; -- End function
	.section	.AMDGPU.csdata,"",@progbits
; Kernel info:
; codeLenInByte = 2584
; NumSgprs: 24
; NumVgprs: 15
; ScratchSize: 0
; MemoryBound: 0
; FloatMode: 240
; IeeeMode: 1
; LDSByteSize: 0 bytes/workgroup (compile time only)
; SGPRBlocks: 2
; VGPRBlocks: 1
; NumSGPRsForWavesPerEU: 24
; NumVGPRsForWavesPerEU: 15
; Occupancy: 16
; WaveLimiterHint : 0
; COMPUTE_PGM_RSRC2:SCRATCH_EN: 0
; COMPUTE_PGM_RSRC2:USER_SGPR: 13
; COMPUTE_PGM_RSRC2:TRAP_HANDLER: 0
; COMPUTE_PGM_RSRC2:TGID_X_EN: 1
; COMPUTE_PGM_RSRC2:TGID_Y_EN: 1
; COMPUTE_PGM_RSRC2:TGID_Z_EN: 1
; COMPUTE_PGM_RSRC2:TIDIG_COMP_CNT: 1
	.section	.text._ZN9rocsolver6v33100L7set_tauIdEEviPT_l,"axG",@progbits,_ZN9rocsolver6v33100L7set_tauIdEEviPT_l,comdat
	.globl	_ZN9rocsolver6v33100L7set_tauIdEEviPT_l ; -- Begin function _ZN9rocsolver6v33100L7set_tauIdEEviPT_l
	.p2align	8
	.type	_ZN9rocsolver6v33100L7set_tauIdEEviPT_l,@function
_ZN9rocsolver6v33100L7set_tauIdEEviPT_l: ; @_ZN9rocsolver6v33100L7set_tauIdEEviPT_l
; %bb.0:
	s_clause 0x1
	s_load_b32 s2, s[0:1], 0x24
	s_load_b32 s3, s[0:1], 0x0
	s_waitcnt lgkmcnt(0)
	s_and_b32 s2, s2, 0xffff
	s_delay_alu instid0(SALU_CYCLE_1) | instskip(SKIP_1) | instid1(VALU_DEP_1)
	v_mad_u64_u32 v[1:2], null, s14, s2, v[0:1]
	s_mov_b32 s2, exec_lo
	v_cmpx_gt_u32_e64 s3, v1
	s_cbranch_execz .LBB69_2
; %bb.1:
	s_load_b128 s[0:3], s[0:1], 0x8
	v_mov_b32_e32 v2, 0
	s_delay_alu instid0(VALU_DEP_1)
	v_lshlrev_b64 v[0:1], 3, v[1:2]
	s_waitcnt lgkmcnt(0)
	s_mul_i32 s3, s15, s3
	s_mul_hi_u32 s4, s15, s2
	s_mul_i32 s2, s15, s2
	s_add_i32 s3, s4, s3
	s_delay_alu instid0(SALU_CYCLE_1) | instskip(NEXT) | instid1(SALU_CYCLE_1)
	s_lshl_b64 s[2:3], s[2:3], 3
	s_add_u32 s0, s0, s2
	s_addc_u32 s1, s1, s3
	v_add_co_u32 v0, vcc_lo, s0, v0
	v_add_co_ci_u32_e32 v1, vcc_lo, s1, v1, vcc_lo
	global_load_b64 v[2:3], v[0:1], off
	s_waitcnt vmcnt(0)
	v_xor_b32_e32 v3, 0x80000000, v3
	global_store_b64 v[0:1], v[2:3], off
.LBB69_2:
	s_nop 0
	s_sendmsg sendmsg(MSG_DEALLOC_VGPRS)
	s_endpgm
	.section	.rodata,"a",@progbits
	.p2align	6, 0x0
	.amdhsa_kernel _ZN9rocsolver6v33100L7set_tauIdEEviPT_l
		.amdhsa_group_segment_fixed_size 0
		.amdhsa_private_segment_fixed_size 0
		.amdhsa_kernarg_size 280
		.amdhsa_user_sgpr_count 14
		.amdhsa_user_sgpr_dispatch_ptr 0
		.amdhsa_user_sgpr_queue_ptr 0
		.amdhsa_user_sgpr_kernarg_segment_ptr 1
		.amdhsa_user_sgpr_dispatch_id 0
		.amdhsa_user_sgpr_private_segment_size 0
		.amdhsa_wavefront_size32 1
		.amdhsa_uses_dynamic_stack 0
		.amdhsa_enable_private_segment 0
		.amdhsa_system_sgpr_workgroup_id_x 1
		.amdhsa_system_sgpr_workgroup_id_y 1
		.amdhsa_system_sgpr_workgroup_id_z 0
		.amdhsa_system_sgpr_workgroup_info 0
		.amdhsa_system_vgpr_workitem_id 0
		.amdhsa_next_free_vgpr 4
		.amdhsa_next_free_sgpr 16
		.amdhsa_reserve_vcc 1
		.amdhsa_float_round_mode_32 0
		.amdhsa_float_round_mode_16_64 0
		.amdhsa_float_denorm_mode_32 3
		.amdhsa_float_denorm_mode_16_64 3
		.amdhsa_dx10_clamp 1
		.amdhsa_ieee_mode 1
		.amdhsa_fp16_overflow 0
		.amdhsa_workgroup_processor_mode 1
		.amdhsa_memory_ordered 1
		.amdhsa_forward_progress 0
		.amdhsa_shared_vgpr_count 0
		.amdhsa_exception_fp_ieee_invalid_op 0
		.amdhsa_exception_fp_denorm_src 0
		.amdhsa_exception_fp_ieee_div_zero 0
		.amdhsa_exception_fp_ieee_overflow 0
		.amdhsa_exception_fp_ieee_underflow 0
		.amdhsa_exception_fp_ieee_inexact 0
		.amdhsa_exception_int_div_zero 0
	.end_amdhsa_kernel
	.section	.text._ZN9rocsolver6v33100L7set_tauIdEEviPT_l,"axG",@progbits,_ZN9rocsolver6v33100L7set_tauIdEEviPT_l,comdat
.Lfunc_end69:
	.size	_ZN9rocsolver6v33100L7set_tauIdEEviPT_l, .Lfunc_end69-_ZN9rocsolver6v33100L7set_tauIdEEviPT_l
                                        ; -- End function
	.section	.AMDGPU.csdata,"",@progbits
; Kernel info:
; codeLenInByte = 172
; NumSgprs: 18
; NumVgprs: 4
; ScratchSize: 0
; MemoryBound: 0
; FloatMode: 240
; IeeeMode: 1
; LDSByteSize: 0 bytes/workgroup (compile time only)
; SGPRBlocks: 2
; VGPRBlocks: 0
; NumSGPRsForWavesPerEU: 18
; NumVGPRsForWavesPerEU: 4
; Occupancy: 16
; WaveLimiterHint : 0
; COMPUTE_PGM_RSRC2:SCRATCH_EN: 0
; COMPUTE_PGM_RSRC2:USER_SGPR: 14
; COMPUTE_PGM_RSRC2:TRAP_HANDLER: 0
; COMPUTE_PGM_RSRC2:TGID_X_EN: 1
; COMPUTE_PGM_RSRC2:TGID_Y_EN: 1
; COMPUTE_PGM_RSRC2:TGID_Z_EN: 0
; COMPUTE_PGM_RSRC2:TIDIG_COMP_CNT: 0
	.section	.text._ZN9rocsolver6v33100L20larft_kernel_forwardIdPdEEv15rocblas_storev_iiT0_iilPT_lS6_il,"axG",@progbits,_ZN9rocsolver6v33100L20larft_kernel_forwardIdPdEEv15rocblas_storev_iiT0_iilPT_lS6_il,comdat
	.globl	_ZN9rocsolver6v33100L20larft_kernel_forwardIdPdEEv15rocblas_storev_iiT0_iilPT_lS6_il ; -- Begin function _ZN9rocsolver6v33100L20larft_kernel_forwardIdPdEEv15rocblas_storev_iiT0_iilPT_lS6_il
	.p2align	8
	.type	_ZN9rocsolver6v33100L20larft_kernel_forwardIdPdEEv15rocblas_storev_iiT0_iilPT_lS6_il,@function
_ZN9rocsolver6v33100L20larft_kernel_forwardIdPdEEv15rocblas_storev_iiT0_iilPT_lS6_il: ; @_ZN9rocsolver6v33100L20larft_kernel_forwardIdPdEEv15rocblas_storev_iiT0_iilPT_lS6_il
; %bb.0:
	s_clause 0x4
	s_load_b64 s[20:21], s[0:1], 0x48
	s_load_b128 s[16:19], s[0:1], 0x0
	s_load_b32 s13, s[0:1], 0x5c
	s_load_b256 s[4:11], s[0:1], 0x20
	s_load_b32 s3, s[0:1], 0x40
	s_ashr_i32 s12, s15, 31
	v_lshlrev_b32_e32 v8, 3, v0
	s_waitcnt lgkmcnt(0)
	s_mul_i32 s2, s15, s21
	s_mul_hi_u32 s14, s15, s20
	s_mul_i32 s19, s12, s20
	s_add_i32 s2, s14, s2
	s_mul_i32 s20, s15, s20
	s_add_i32 s21, s2, s19
	v_cmp_gt_i32_e64 s2, s18, v0
	s_lshl_b64 s[20:21], s[20:21], 3
	s_and_b32 s19, s13, 0xffff
	s_add_u32 s24, s10, s20
	s_addc_u32 s25, s11, s21
	s_and_saveexec_b32 s10, s2
	s_cbranch_execz .LBB70_5
; %bb.1:
	v_add_nc_u32_e32 v1, 8, v8
	s_lshl_b32 s13, s18, 3
	v_mov_b32_e32 v5, v0
	s_add_i32 s14, s13, 8
	s_add_i32 s20, s3, 1
	v_mul_lo_u32 v3, s18, v1
	v_mad_u64_u32 v[1:2], null, v0, s3, v[0:1]
	s_mov_b32 s11, 0
	s_mul_i32 s14, s14, s19
	s_mul_i32 s20, s20, s19
	s_delay_alu instid0(VALU_DEP_2)
	v_add3_u32 v4, v3, v8, 0
	.p2align	6
.LBB70_2:                               ; =>This Loop Header: Depth=1
                                        ;     Child Loop BB70_3 Depth 2
	s_delay_alu instid0(VALU_DEP_2) | instskip(NEXT) | instid1(VALU_DEP_2)
	v_mov_b32_e32 v2, v1
	v_dual_mov_b32 v6, v4 :: v_dual_mov_b32 v7, v5
	s_mov_b32 s21, 0
	.p2align	6
.LBB70_3:                               ;   Parent Loop BB70_2 Depth=1
                                        ; =>  This Inner Loop Header: Depth=2
	s_delay_alu instid0(VALU_DEP_2) | instskip(NEXT) | instid1(VALU_DEP_2)
	v_ashrrev_i32_e32 v3, 31, v2
	v_add_nc_u32_e32 v7, 1, v7
	s_delay_alu instid0(VALU_DEP_2) | instskip(SKIP_1) | instid1(VALU_DEP_2)
	v_lshlrev_b64 v[9:10], 3, v[2:3]
	v_add_nc_u32_e32 v2, s3, v2
	v_add_co_u32 v9, vcc_lo, s24, v9
	s_delay_alu instid0(VALU_DEP_3)
	v_add_co_ci_u32_e32 v10, vcc_lo, s25, v10, vcc_lo
	v_cmp_le_i32_e32 vcc_lo, s18, v7
	global_load_b64 v[9:10], v[9:10], off
	s_or_b32 s21, vcc_lo, s21
	s_waitcnt vmcnt(0)
	ds_store_b64 v6, v[9:10]
	v_add_nc_u32_e32 v6, s13, v6
	s_and_not1_b32 exec_lo, exec_lo, s21
	s_cbranch_execnz .LBB70_3
; %bb.4:                                ;   in Loop: Header=BB70_2 Depth=1
	s_or_b32 exec_lo, exec_lo, s21
	v_add_nc_u32_e32 v5, s19, v5
	v_add_nc_u32_e32 v4, s14, v4
	;; [unrolled: 1-line block ×3, first 2 shown]
	s_delay_alu instid0(VALU_DEP_3) | instskip(SKIP_1) | instid1(SALU_CYCLE_1)
	v_cmp_le_i32_e32 vcc_lo, s18, v5
	s_or_b32 s11, vcc_lo, s11
	s_and_not1_b32 exec_lo, exec_lo, s11
	s_cbranch_execnz .LBB70_2
.LBB70_5:
	s_or_b32 exec_lo, exec_lo, s10
	s_cmp_lt_i32 s18, 2
	s_waitcnt lgkmcnt(0)
	s_barrier
	buffer_gl0_inv
	s_cbranch_scc1 .LBB70_30
; %bb.6:
	s_load_b128 s[20:23], s[0:1], 0x10
	s_mul_i32 s1, s15, s9
	s_mul_hi_u32 s10, s15, s8
	s_mul_i32 s11, s12, s8
	s_add_i32 s1, s10, s1
	s_mul_i32 s0, s15, s8
	s_add_i32 s1, s1, s11
	s_mul_i32 s11, s5, s15
	s_lshl_b64 s[0:1], s[0:1], 3
	s_mul_i32 s12, s4, s12
	s_mul_hi_u32 s10, s4, s15
	v_add_nc_u32_e32 v3, 8, v8
	v_add_nc_u32_e32 v11, 0, v8
	s_mov_b32 s9, 0
	s_mov_b32 s8, 1
	s_delay_alu instid0(VALU_DEP_2)
	v_mul_lo_u32 v3, s18, v3
	s_waitcnt lgkmcnt(0)
	s_ashr_i32 s5, s22, 31
	s_add_u32 s26, s6, s0
	s_addc_u32 s27, s7, s1
	s_lshl_b32 s28, s18, 3
	s_mul_i32 s0, s4, s15
	s_add_i32 s29, s28, 0
	s_cmpk_lg_i32 s16, 0xb5
	s_mov_b32 s4, s22
	s_cselect_b32 s16, -1, 0
	s_add_i32 s1, s10, s12
	s_mov_b32 s6, s23
	s_add_i32 s1, s1, s11
	v_mul_lo_u32 v9, v0, s23
	s_lshl_b64 s[0:1], s[0:1], 3
	v_add3_u32 v10, v3, v8, 0
	s_add_u32 s22, s0, 8
	s_addc_u32 s30, s1, 0
	s_lshl_b64 s[10:11], s[4:5], 3
	v_add_co_u32 v1, s4, s0, v8
	s_add_u32 s31, s20, s10
	s_addc_u32 s33, s21, s11
	s_ashr_i32 s7, s23, 31
	v_add_co_ci_u32_e64 v2, null, s1, 0, s4
	s_lshl_b32 s4, s23, 1
	s_lshl_b32 s34, s19, 3
	s_lshl_b64 s[6:7], s[6:7], 3
	s_add_u32 s0, s0, s10
	s_addc_u32 s1, s1, s11
	s_add_u32 s0, s0, s20
	s_addc_u32 s1, s1, s21
	;; [unrolled: 2-line block ×3, first 2 shown]
	s_add_i32 s36, s28, 8
	s_mul_i32 s35, s23, s19
	s_mul_i32 s36, s36, s19
	s_mov_b32 s10, s23
	s_branch .LBB70_8
.LBB70_7:                               ;   in Loop: Header=BB70_8 Depth=1
	s_or_b32 exec_lo, exec_lo, s0
	s_add_i32 s8, s8, 1
	s_add_u32 s22, s22, 8
	s_addc_u32 s30, s30, 0
	s_add_i32 s4, s4, s23
	s_add_u32 s20, s20, 8
	s_addc_u32 s21, s21, 0
	s_add_i32 s10, s10, s23
	s_cmp_eq_u32 s8, s18
	s_waitcnt lgkmcnt(0)
	s_barrier
	buffer_gl0_inv
	s_cbranch_scc1 .LBB70_30
.LBB70_8:                               ; =>This Loop Header: Depth=1
                                        ;     Child Loop BB70_12 Depth 2
                                        ;       Child Loop BB70_14 Depth 3
                                        ;     Child Loop BB70_21 Depth 2
                                        ;       Child Loop BB70_23 Depth 3
                                        ;     Child Loop BB70_27 Depth 2
                                        ;       Child Loop BB70_28 Depth 3
	s_mul_i32 s0, s8, s18
	s_not_b32 s38, s8
	s_lshl_b32 s0, s0, 3
	s_add_i32 s38, s38, s17
	s_add_i32 s37, s29, s0
	v_cmp_gt_u32_e64 s0, s8, v0
	s_and_b32 vcc_lo, exec_lo, s16
	s_mov_b32 s1, -1
	s_cbranch_vccz .LBB70_16
; %bb.9:                                ;   in Loop: Header=BB70_8 Depth=1
	s_delay_alu instid0(VALU_DEP_1)
	s_and_saveexec_b32 s11, s0
	s_cbranch_execz .LBB70_15
; %bb.10:                               ;   in Loop: Header=BB70_8 Depth=1
	s_ashr_i32 s5, s4, 31
	v_dual_mov_b32 v4, v2 :: v_dual_mov_b32 v3, v1
	s_lshl_b64 s[0:1], s[4:5], 3
	v_mov_b32_e32 v7, v0
	s_add_u32 s12, s31, s0
	s_addc_u32 s13, s33, s1
	s_cmp_gt_i32 s38, 0
	s_mov_b32 s39, 0
	s_cselect_b32 s5, -1, 0
	s_lshl_b64 s[0:1], s[8:9], 3
	s_delay_alu instid0(SALU_CYCLE_1)
	s_add_u32 s0, s26, s0
	s_addc_u32 s1, s27, s1
	s_load_b64 s[14:15], s[0:1], 0x0
	s_set_inst_prefetch_distance 0x1
	s_branch .LBB70_12
	.p2align	6
.LBB70_11:                              ;   in Loop: Header=BB70_12 Depth=2
	v_lshlrev_b32_e32 v14, 3, v7
	v_add_nc_u32_e32 v7, s19, v7
	v_add_co_u32 v3, s0, v3, s34
	s_delay_alu instid0(VALU_DEP_1) | instskip(NEXT) | instid1(VALU_DEP_4)
	v_add_co_ci_u32_e64 v4, s0, 0, v4, s0
	v_add_nc_u32_e32 v12, s37, v14
	s_delay_alu instid0(VALU_DEP_4)
	v_cmp_le_u32_e32 vcc_lo, s8, v7
	ds_load_b64 v[12:13], v12
	s_or_b32 s39, vcc_lo, s39
	s_waitcnt lgkmcnt(0)
	v_fma_f64 v[5:6], v[5:6], s[14:15], v[12:13]
	v_add_nc_u32_e32 v12, 0, v14
	ds_store_b64 v12, v[5:6]
	s_and_not1_b32 exec_lo, exec_lo, s39
	s_cbranch_execz .LBB70_15
.LBB70_12:                              ;   Parent Loop BB70_8 Depth=1
                                        ; =>  This Loop Header: Depth=2
                                        ;       Child Loop BB70_14 Depth 3
	v_mov_b32_e32 v5, 0
	v_mov_b32_e32 v6, 0
	s_and_not1_b32 vcc_lo, exec_lo, s5
	s_cbranch_vccnz .LBB70_11
; %bb.13:                               ;   in Loop: Header=BB70_12 Depth=2
	s_mov_b32 s40, 0
	s_mov_b64 s[0:1], s[12:13]
	.p2align	6
.LBB70_14:                              ;   Parent Loop BB70_8 Depth=1
                                        ;     Parent Loop BB70_12 Depth=2
                                        ; =>    This Inner Loop Header: Depth=3
	s_delay_alu instid0(SALU_CYCLE_1)
	v_add_co_u32 v12, vcc_lo, s0, v3
	v_add_co_ci_u32_e32 v13, vcc_lo, s1, v4, vcc_lo
	s_add_u32 s42, s0, s22
	s_addc_u32 s43, s1, s30
	s_add_i32 s40, s40, 1
	global_load_b64 v[12:13], v[12:13], off
	s_load_b64 s[42:43], s[42:43], 0x0
	s_add_u32 s0, s0, s6
	s_addc_u32 s1, s1, s7
	s_cmp_ge_i32 s40, s38
	s_waitcnt vmcnt(0) lgkmcnt(0)
	v_fma_f64 v[5:6], v[12:13], s[42:43], v[5:6]
	s_cbranch_scc0 .LBB70_14
	s_branch .LBB70_11
.LBB70_15:                              ;   in Loop: Header=BB70_8 Depth=1
	s_set_inst_prefetch_distance 0x2
	s_or_b32 exec_lo, exec_lo, s11
	s_mov_b32 s1, 0
.LBB70_16:                              ;   in Loop: Header=BB70_8 Depth=1
	s_delay_alu instid0(SALU_CYCLE_1)
	s_and_not1_b32 vcc_lo, exec_lo, s1
	s_cbranch_vccnz .LBB70_25
; %bb.17:                               ;   in Loop: Header=BB70_8 Depth=1
	s_mov_b32 s5, exec_lo
	v_cmpx_gt_u32_e64 s8, v0
	s_cbranch_execz .LBB70_24
; %bb.18:                               ;   in Loop: Header=BB70_8 Depth=1
	s_ashr_i32 s11, s10, 31
	v_dual_mov_b32 v3, v9 :: v_dual_mov_b32 v12, v0
	s_lshl_b64 s[0:1], s[10:11], 3
	s_mov_b32 s39, 0
	s_add_u32 s0, s20, s0
	s_addc_u32 s1, s21, s1
	s_cmp_gt_i32 s38, 0
	s_cselect_b32 s11, -1, 0
	s_lshl_b64 s[12:13], s[8:9], 3
	s_delay_alu instid0(SALU_CYCLE_1)
	s_add_u32 s12, s26, s12
	s_addc_u32 s13, s27, s13
	s_load_b64 s[12:13], s[12:13], 0x0
	s_set_inst_prefetch_distance 0x1
	s_branch .LBB70_21
	.p2align	6
.LBB70_19:                              ;   in Loop: Header=BB70_21 Depth=2
	v_mov_b32_e32 v4, 0
	v_mov_b32_e32 v5, 0
.LBB70_20:                              ;   in Loop: Header=BB70_21 Depth=2
	v_lshlrev_b32_e32 v13, 3, v12
	v_add_nc_u32_e32 v12, s19, v12
	v_add_nc_u32_e32 v3, s35, v3
	s_delay_alu instid0(VALU_DEP_3) | instskip(NEXT) | instid1(VALU_DEP_3)
	v_add_nc_u32_e32 v6, s37, v13
	v_cmp_le_u32_e32 vcc_lo, s8, v12
	ds_load_b64 v[6:7], v6
	s_or_b32 s39, vcc_lo, s39
	s_waitcnt lgkmcnt(0)
	v_fma_f64 v[4:5], v[4:5], s[12:13], v[6:7]
	v_add_nc_u32_e32 v6, 0, v13
	ds_store_b64 v6, v[4:5]
	s_and_not1_b32 exec_lo, exec_lo, s39
	s_cbranch_execz .LBB70_24
.LBB70_21:                              ;   Parent Loop BB70_8 Depth=1
                                        ; =>  This Loop Header: Depth=2
                                        ;       Child Loop BB70_23 Depth 3
	s_and_not1_b32 vcc_lo, exec_lo, s11
	s_cbranch_vccnz .LBB70_19
; %bb.22:                               ;   in Loop: Header=BB70_21 Depth=2
	v_ashrrev_i32_e32 v4, 31, v3
	s_mov_b32 s40, 0
	s_mov_b64 s[14:15], s[0:1]
	s_delay_alu instid0(VALU_DEP_1) | instskip(SKIP_2) | instid1(VALU_DEP_3)
	v_lshlrev_b64 v[6:7], 3, v[3:4]
	v_mov_b32_e32 v4, 0
	v_mov_b32_e32 v5, 0
	v_add_co_u32 v6, vcc_lo, s20, v6
	s_delay_alu instid0(VALU_DEP_4)
	v_add_co_ci_u32_e32 v7, vcc_lo, s21, v7, vcc_lo
.LBB70_23:                              ;   Parent Loop BB70_8 Depth=1
                                        ;     Parent Loop BB70_21 Depth=2
                                        ; =>    This Inner Loop Header: Depth=3
	global_load_b64 v[13:14], v[6:7], off
	s_load_b64 s[42:43], s[14:15], 0x0
	v_add_co_u32 v6, vcc_lo, v6, 8
	s_add_i32 s40, s40, 1
	v_add_co_ci_u32_e32 v7, vcc_lo, 0, v7, vcc_lo
	s_add_u32 s14, s14, 8
	s_addc_u32 s15, s15, 0
	s_cmp_ge_i32 s40, s38
	s_waitcnt vmcnt(0) lgkmcnt(0)
	v_fma_f64 v[4:5], v[13:14], s[42:43], v[4:5]
	s_cbranch_scc0 .LBB70_23
	s_branch .LBB70_20
.LBB70_24:                              ;   in Loop: Header=BB70_8 Depth=1
	s_set_inst_prefetch_distance 0x2
	s_or_b32 exec_lo, exec_lo, s5
.LBB70_25:                              ;   in Loop: Header=BB70_8 Depth=1
	s_delay_alu instid0(SALU_CYCLE_1)
	s_mov_b32 s0, exec_lo
	s_waitcnt lgkmcnt(0)
	s_barrier
	buffer_gl0_inv
	v_cmpx_gt_u32_e64 s8, v0
	s_cbranch_execz .LBB70_7
; %bb.26:                               ;   in Loop: Header=BB70_8 Depth=1
	v_dual_mov_b32 v5, v11 :: v_dual_mov_b32 v6, v10
	v_mov_b32_e32 v7, v0
	s_mov_b32 s1, 0
	.p2align	6
.LBB70_27:                              ;   Parent Loop BB70_8 Depth=1
                                        ; =>  This Loop Header: Depth=2
                                        ;       Child Loop BB70_28 Depth 3
	s_delay_alu instid0(VALU_DEP_2) | instskip(NEXT) | instid1(VALU_DEP_3)
	v_dual_mov_b32 v3, 0 :: v_dual_mov_b32 v12, v5
	v_dual_mov_b32 v4, 0 :: v_dual_mov_b32 v13, v6
	s_delay_alu instid0(VALU_DEP_3)
	v_mov_b32_e32 v14, v7
	s_mov_b32 s5, 0
.LBB70_28:                              ;   Parent Loop BB70_8 Depth=1
                                        ;     Parent Loop BB70_27 Depth=2
                                        ; =>    This Inner Loop Header: Depth=3
	ds_load_b64 v[15:16], v13
	ds_load_b64 v[17:18], v12
	v_add_nc_u32_e32 v14, 1, v14
	v_add_nc_u32_e32 v13, s28, v13
	;; [unrolled: 1-line block ×3, first 2 shown]
	s_delay_alu instid0(VALU_DEP_3)
	v_cmp_le_u32_e32 vcc_lo, s8, v14
	s_or_b32 s5, vcc_lo, s5
	s_waitcnt lgkmcnt(0)
	v_fma_f64 v[3:4], v[15:16], v[17:18], v[3:4]
	s_and_not1_b32 exec_lo, exec_lo, s5
	s_cbranch_execnz .LBB70_28
; %bb.29:                               ;   in Loop: Header=BB70_27 Depth=2
	s_or_b32 exec_lo, exec_lo, s5
	v_lshl_add_u32 v12, v7, 3, s37
	v_add_nc_u32_e32 v7, s19, v7
	v_add_nc_u32_e32 v6, s36, v6
	;; [unrolled: 1-line block ×3, first 2 shown]
	ds_store_b64 v12, v[3:4]
	v_cmp_le_u32_e32 vcc_lo, s8, v7
	s_or_b32 s1, vcc_lo, s1
	s_delay_alu instid0(SALU_CYCLE_1)
	s_and_not1_b32 exec_lo, exec_lo, s1
	s_cbranch_execnz .LBB70_27
	s_branch .LBB70_7
.LBB70_30:
	s_and_saveexec_b32 s0, s2
	s_cbranch_execz .LBB70_35
; %bb.31:
	v_add_nc_u32_e32 v1, 8, v8
	s_lshl_b32 s2, s18, 3
	s_add_i32 s1, s3, 1
	s_add_i32 s5, s2, 8
	s_mul_i32 s1, s1, s19
	v_mul_lo_u32 v3, s18, v1
	v_mad_u64_u32 v[1:2], null, v0, s3, v[0:1]
	s_mov_b32 s4, 0
	s_mul_i32 s5, s5, s19
	s_delay_alu instid0(VALU_DEP_2)
	v_add3_u32 v4, v3, v8, 0
	.p2align	6
.LBB70_32:                              ; =>This Loop Header: Depth=1
                                        ;     Child Loop BB70_33 Depth 2
	s_delay_alu instid0(VALU_DEP_1)
	v_dual_mov_b32 v5, v4 :: v_dual_mov_b32 v2, v1
	v_mov_b32_e32 v6, v0
	s_mov_b32 s6, 0
	.p2align	6
.LBB70_33:                              ;   Parent Loop BB70_32 Depth=1
                                        ; =>  This Inner Loop Header: Depth=2
	ds_load_b64 v[7:8], v5
	v_ashrrev_i32_e32 v3, 31, v2
	v_add_nc_u32_e32 v6, 1, v6
	v_add_nc_u32_e32 v5, s2, v5
	s_delay_alu instid0(VALU_DEP_3) | instskip(NEXT) | instid1(VALU_DEP_3)
	v_lshlrev_b64 v[9:10], 3, v[2:3]
	v_cmp_le_i32_e32 vcc_lo, s18, v6
	v_add_nc_u32_e32 v2, s3, v2
	s_or_b32 s6, vcc_lo, s6
	s_delay_alu instid0(VALU_DEP_3) | instskip(NEXT) | instid1(VALU_DEP_1)
	v_add_co_u32 v9, s0, s24, v9
	v_add_co_ci_u32_e64 v10, s0, s25, v10, s0
	s_waitcnt lgkmcnt(0)
	global_store_b64 v[9:10], v[7:8], off
	s_and_not1_b32 exec_lo, exec_lo, s6
	s_cbranch_execnz .LBB70_33
; %bb.34:                               ;   in Loop: Header=BB70_32 Depth=1
	s_or_b32 exec_lo, exec_lo, s6
	v_add_nc_u32_e32 v0, s19, v0
	v_add_nc_u32_e32 v1, s1, v1
	;; [unrolled: 1-line block ×3, first 2 shown]
	s_delay_alu instid0(VALU_DEP_3) | instskip(SKIP_1) | instid1(SALU_CYCLE_1)
	v_cmp_le_i32_e32 vcc_lo, s18, v0
	s_or_b32 s4, vcc_lo, s4
	s_and_not1_b32 exec_lo, exec_lo, s4
	s_cbranch_execnz .LBB70_32
.LBB70_35:
	s_nop 0
	s_sendmsg sendmsg(MSG_DEALLOC_VGPRS)
	s_endpgm
	.section	.rodata,"a",@progbits
	.p2align	6, 0x0
	.amdhsa_kernel _ZN9rocsolver6v33100L20larft_kernel_forwardIdPdEEv15rocblas_storev_iiT0_iilPT_lS6_il
		.amdhsa_group_segment_fixed_size 0
		.amdhsa_private_segment_fixed_size 0
		.amdhsa_kernarg_size 336
		.amdhsa_user_sgpr_count 14
		.amdhsa_user_sgpr_dispatch_ptr 0
		.amdhsa_user_sgpr_queue_ptr 0
		.amdhsa_user_sgpr_kernarg_segment_ptr 1
		.amdhsa_user_sgpr_dispatch_id 0
		.amdhsa_user_sgpr_private_segment_size 0
		.amdhsa_wavefront_size32 1
		.amdhsa_uses_dynamic_stack 0
		.amdhsa_enable_private_segment 0
		.amdhsa_system_sgpr_workgroup_id_x 1
		.amdhsa_system_sgpr_workgroup_id_y 1
		.amdhsa_system_sgpr_workgroup_id_z 0
		.amdhsa_system_sgpr_workgroup_info 0
		.amdhsa_system_vgpr_workitem_id 0
		.amdhsa_next_free_vgpr 19
		.amdhsa_next_free_sgpr 44
		.amdhsa_reserve_vcc 1
		.amdhsa_float_round_mode_32 0
		.amdhsa_float_round_mode_16_64 0
		.amdhsa_float_denorm_mode_32 3
		.amdhsa_float_denorm_mode_16_64 3
		.amdhsa_dx10_clamp 1
		.amdhsa_ieee_mode 1
		.amdhsa_fp16_overflow 0
		.amdhsa_workgroup_processor_mode 1
		.amdhsa_memory_ordered 1
		.amdhsa_forward_progress 0
		.amdhsa_shared_vgpr_count 0
		.amdhsa_exception_fp_ieee_invalid_op 0
		.amdhsa_exception_fp_denorm_src 0
		.amdhsa_exception_fp_ieee_div_zero 0
		.amdhsa_exception_fp_ieee_overflow 0
		.amdhsa_exception_fp_ieee_underflow 0
		.amdhsa_exception_fp_ieee_inexact 0
		.amdhsa_exception_int_div_zero 0
	.end_amdhsa_kernel
	.section	.text._ZN9rocsolver6v33100L20larft_kernel_forwardIdPdEEv15rocblas_storev_iiT0_iilPT_lS6_il,"axG",@progbits,_ZN9rocsolver6v33100L20larft_kernel_forwardIdPdEEv15rocblas_storev_iiT0_iilPT_lS6_il,comdat
.Lfunc_end70:
	.size	_ZN9rocsolver6v33100L20larft_kernel_forwardIdPdEEv15rocblas_storev_iiT0_iilPT_lS6_il, .Lfunc_end70-_ZN9rocsolver6v33100L20larft_kernel_forwardIdPdEEv15rocblas_storev_iiT0_iilPT_lS6_il
                                        ; -- End function
	.section	.AMDGPU.csdata,"",@progbits
; Kernel info:
; codeLenInByte = 1680
; NumSgprs: 46
; NumVgprs: 19
; ScratchSize: 0
; MemoryBound: 0
; FloatMode: 240
; IeeeMode: 1
; LDSByteSize: 0 bytes/workgroup (compile time only)
; SGPRBlocks: 5
; VGPRBlocks: 2
; NumSGPRsForWavesPerEU: 46
; NumVGPRsForWavesPerEU: 19
; Occupancy: 16
; WaveLimiterHint : 0
; COMPUTE_PGM_RSRC2:SCRATCH_EN: 0
; COMPUTE_PGM_RSRC2:USER_SGPR: 14
; COMPUTE_PGM_RSRC2:TRAP_HANDLER: 0
; COMPUTE_PGM_RSRC2:TGID_X_EN: 1
; COMPUTE_PGM_RSRC2:TGID_Y_EN: 1
; COMPUTE_PGM_RSRC2:TGID_Z_EN: 0
; COMPUTE_PGM_RSRC2:TIDIG_COMP_CNT: 0
	.section	.text._ZN9rocsolver6v33100L21larft_kernel_backwardIdPdEEv15rocblas_storev_iiT0_iilPT_lS6_il,"axG",@progbits,_ZN9rocsolver6v33100L21larft_kernel_backwardIdPdEEv15rocblas_storev_iiT0_iilPT_lS6_il,comdat
	.globl	_ZN9rocsolver6v33100L21larft_kernel_backwardIdPdEEv15rocblas_storev_iiT0_iilPT_lS6_il ; -- Begin function _ZN9rocsolver6v33100L21larft_kernel_backwardIdPdEEv15rocblas_storev_iiT0_iilPT_lS6_il
	.p2align	8
	.type	_ZN9rocsolver6v33100L21larft_kernel_backwardIdPdEEv15rocblas_storev_iiT0_iilPT_lS6_il,@function
_ZN9rocsolver6v33100L21larft_kernel_backwardIdPdEEv15rocblas_storev_iiT0_iilPT_lS6_il: ; @_ZN9rocsolver6v33100L21larft_kernel_backwardIdPdEEv15rocblas_storev_iiT0_iilPT_lS6_il
; %bb.0:
	s_clause 0x4
	s_load_b64 s[20:21], s[0:1], 0x48
	s_load_b128 s[16:19], s[0:1], 0x0
	s_load_b32 s13, s[0:1], 0x5c
	s_load_b256 s[4:11], s[0:1], 0x20
	s_load_b32 s3, s[0:1], 0x40
	s_ashr_i32 s12, s15, 31
	v_add_nc_u32_e32 v8, 1, v0
	v_lshlrev_b32_e32 v9, 3, v0
	s_waitcnt lgkmcnt(0)
	s_mul_i32 s2, s15, s21
	s_mul_hi_u32 s14, s15, s20
	s_mul_i32 s19, s12, s20
	s_add_i32 s2, s14, s2
	s_mul_i32 s20, s15, s20
	s_add_i32 s21, s2, s19
	v_cmp_gt_i32_e64 s2, s18, v0
	s_lshl_b64 s[20:21], s[20:21], 3
	s_and_b32 s19, s13, 0xffff
	s_add_u32 s24, s10, s20
	s_addc_u32 s25, s11, s21
	s_and_saveexec_b32 s10, s2
	s_cbranch_execz .LBB71_5
; %bb.1:
	s_lshl_b32 s11, s18, 3
	v_add_nc_u32_e32 v3, 1, v0
	v_add3_u32 v4, 0, s11, v9
	v_mov_b32_e32 v5, v0
	s_mov_b32 s13, 0
	s_lshl_b32 s14, s19, 3
	.p2align	6
.LBB71_2:                               ; =>This Loop Header: Depth=1
                                        ;     Child Loop BB71_3 Depth 2
	s_delay_alu instid0(VALU_DEP_1)
	v_dual_mov_b32 v1, v5 :: v_dual_mov_b32 v6, v4
	s_mov_b32 s20, 0
	s_mov_b32 s21, 0
	.p2align	6
.LBB71_3:                               ;   Parent Loop BB71_2 Depth=1
                                        ; =>  This Inner Loop Header: Depth=2
	s_delay_alu instid0(VALU_DEP_1) | instskip(SKIP_1) | instid1(VALU_DEP_1)
	v_ashrrev_i32_e32 v2, 31, v1
	s_add_i32 s21, s21, 1
	v_lshlrev_b64 v[10:11], 3, v[1:2]
	v_add_nc_u32_e32 v1, s3, v1
	s_delay_alu instid0(VALU_DEP_2) | instskip(NEXT) | instid1(VALU_DEP_3)
	v_add_co_u32 v10, vcc_lo, s24, v10
	v_add_co_ci_u32_e32 v11, vcc_lo, s25, v11, vcc_lo
	v_cmp_eq_u32_e32 vcc_lo, s21, v3
	global_load_b64 v[10:11], v[10:11], off
	s_or_b32 s20, vcc_lo, s20
	s_waitcnt vmcnt(0)
	ds_store_b64 v6, v[10:11]
	v_add_nc_u32_e32 v6, s11, v6
	s_and_not1_b32 exec_lo, exec_lo, s20
	s_cbranch_execnz .LBB71_3
; %bb.4:                                ;   in Loop: Header=BB71_2 Depth=1
	s_or_b32 exec_lo, exec_lo, s20
	v_add_nc_u32_e32 v5, s19, v5
	v_add_nc_u32_e32 v3, s19, v3
	;; [unrolled: 1-line block ×3, first 2 shown]
	s_delay_alu instid0(VALU_DEP_3) | instskip(SKIP_1) | instid1(SALU_CYCLE_1)
	v_cmp_le_i32_e32 vcc_lo, s18, v5
	s_or_b32 s13, vcc_lo, s13
	s_and_not1_b32 exec_lo, exec_lo, s13
	s_cbranch_execnz .LBB71_2
.LBB71_5:
	s_or_b32 exec_lo, exec_lo, s10
	s_cmp_lt_i32 s18, 2
	s_waitcnt lgkmcnt(0)
	s_barrier
	buffer_gl0_inv
	s_cbranch_scc1 .LBB71_30
; %bb.6:
	s_load_b128 s[20:23], s[0:1], 0x10
	s_mul_i32 s1, s15, s9
	s_mul_hi_u32 s9, s15, s8
	s_mul_i32 s10, s12, s8
	s_add_i32 s1, s9, s1
	s_mul_i32 s0, s15, s8
	s_add_i32 s1, s1, s10
	s_mul_i32 s10, s5, s15
	s_lshl_b64 s[0:1], s[0:1], 3
	s_mul_i32 s8, s4, s12
	s_mul_hi_u32 s9, s4, s15
	s_waitcnt lgkmcnt(0)
	s_ashr_i32 s5, s22, 31
	s_add_u32 s26, s6, s0
	s_addc_u32 s27, s7, s1
	s_lshl_b32 s28, s18, 3
	s_add_i32 s6, s18, -2
	s_sub_i32 s17, s17, s18
	s_add_i32 s29, s28, 0
	s_cmpk_lg_i32 s16, 0xb5
	s_mul_i32 s0, s4, s15
	s_cselect_b32 s16, -1, 0
	s_add_i32 s1, s9, s8
	s_mov_b32 s4, s22
	s_add_i32 s1, s1, s10
	s_lshl_b64 s[4:5], s[4:5], 3
	s_lshl_b64 s[0:1], s[0:1], 3
	s_mov_b32 s7, 0
	s_add_u32 s8, s0, s4
	s_addc_u32 s9, s1, s5
	s_lshl_b64 s[0:1], s[6:7], 3
	s_mov_b32 s4, s23
	s_add_u32 s5, s8, s0
	s_addc_u32 s10, s9, s1
	s_add_u32 s22, s20, s5
	s_addc_u32 s30, s21, s10
	s_ashr_i32 s5, s23, 31
	v_mul_lo_u32 v10, v0, s23
	s_lshl_b64 s[4:5], s[4:5], 3
	s_add_u32 s20, s20, s8
	s_addc_u32 s21, s21, s9
	s_add_u32 s0, s20, s0
	s_addc_u32 s1, s21, s1
	v_add_co_u32 v1, s0, s0, v9
	s_add_i32 s9, s28, 8
	v_add_co_ci_u32_e64 v2, null, s1, 0, s0
	s_mul_i32 s0, s18, s9
	s_delay_alu instid0(VALU_DEP_2) | instskip(SKIP_1) | instid1(VALU_DEP_2)
	v_add_co_u32 v1, vcc_lo, v1, 8
	s_add_i32 s0, s0, 0
	v_add_co_ci_u32_e32 v2, vcc_lo, 0, v2, vcc_lo
	v_add3_u32 v11, s0, v9, -8
	s_add_i32 s8, s18, -1
	s_lshl_b32 s31, s19, 3
	s_mul_i32 s8, s23, s8
	s_mul_i32 s33, s23, s19
	;; [unrolled: 1-line block ×3, first 2 shown]
	s_xor_b32 s34, s28, -8
	s_branch .LBB71_8
.LBB71_7:                               ;   in Loop: Header=BB71_8 Depth=1
	s_or_b32 exec_lo, exec_lo, s0
	v_add_co_u32 v1, vcc_lo, v1, -8
	s_add_i32 s0, s6, -1
	v_add_co_ci_u32_e32 v2, vcc_lo, -1, v2, vcc_lo
	v_add_nc_u32_e32 v11, s34, v11
	s_add_u32 s22, s22, -8
	s_addc_u32 s30, s30, -1
	s_sub_i32 s8, s8, s23
	s_sub_i32 s10, s10, s23
	s_cmp_lt_i32 s6, 1
	s_mov_b32 s6, s0
	s_waitcnt lgkmcnt(0)
	s_barrier
	buffer_gl0_inv
	s_cbranch_scc1 .LBB71_30
.LBB71_8:                               ; =>This Loop Header: Depth=1
                                        ;     Child Loop BB71_12 Depth 2
                                        ;       Child Loop BB71_14 Depth 3
                                        ;     Child Loop BB71_21 Depth 2
                                        ;       Child Loop BB71_23 Depth 3
	;; [unrolled: 2-line block ×3, first 2 shown]
	s_not_b32 s35, s6
	s_lshl_b32 s0, s6, 3
	s_mul_i32 s1, s6, s18
	s_add_i32 s35, s35, s18
	s_add_i32 s36, s29, s0
	s_lshl_b32 s0, s1, 3
	s_add_i32 s37, s6, s17
	s_add_i32 s36, s36, s0
	v_cmp_gt_i32_e64 s0, s35, v0
	s_and_b32 vcc_lo, exec_lo, s16
	s_mov_b32 s1, -1
	s_cbranch_vccz .LBB71_16
; %bb.9:                                ;   in Loop: Header=BB71_8 Depth=1
	s_delay_alu instid0(VALU_DEP_1)
	s_and_saveexec_b32 s9, s0
	s_cbranch_execz .LBB71_15
; %bb.10:                               ;   in Loop: Header=BB71_8 Depth=1
	s_cmp_gt_i32 s37, 0
	v_dual_mov_b32 v4, v2 :: v_dual_mov_b32 v3, v1
	s_cselect_b32 s11, -1, 0
	s_lshl_b64 s[0:1], s[6:7], 3
	v_mov_b32_e32 v7, v0
	s_add_u32 s0, s26, s0
	s_addc_u32 s1, s27, s1
	s_mov_b32 s14, 0
	s_load_b64 s[12:13], s[0:1], 0x0
	s_add_i32 s15, s36, 8
	s_set_inst_prefetch_distance 0x1
	s_branch .LBB71_12
	.p2align	6
.LBB71_11:                              ;   in Loop: Header=BB71_12 Depth=2
	v_lshlrev_b32_e32 v14, 3, v7
	v_add_nc_u32_e32 v7, s19, v7
	v_add_co_u32 v3, s0, v3, s31
	s_delay_alu instid0(VALU_DEP_1) | instskip(NEXT) | instid1(VALU_DEP_4)
	v_add_co_ci_u32_e64 v4, s0, 0, v4, s0
	v_add_nc_u32_e32 v12, s15, v14
	s_delay_alu instid0(VALU_DEP_4)
	v_cmp_le_i32_e32 vcc_lo, s35, v7
	ds_load_b64 v[12:13], v12
	s_or_b32 s14, vcc_lo, s14
	s_waitcnt lgkmcnt(0)
	v_fma_f64 v[5:6], v[5:6], s[12:13], v[12:13]
	v_add_nc_u32_e32 v12, 0, v14
	ds_store_b64 v12, v[5:6]
	s_and_not1_b32 exec_lo, exec_lo, s14
	s_cbranch_execz .LBB71_15
.LBB71_12:                              ;   Parent Loop BB71_8 Depth=1
                                        ; =>  This Loop Header: Depth=2
                                        ;       Child Loop BB71_14 Depth 3
	v_mov_b32_e32 v5, 0
	v_mov_b32_e32 v6, 0
	s_and_not1_b32 vcc_lo, exec_lo, s11
	s_cbranch_vccnz .LBB71_11
; %bb.13:                               ;   in Loop: Header=BB71_12 Depth=2
	s_mov_b32 s38, 0
	s_mov_b64 s[0:1], 0
	.p2align	6
.LBB71_14:                              ;   Parent Loop BB71_8 Depth=1
                                        ;     Parent Loop BB71_12 Depth=2
                                        ; =>    This Inner Loop Header: Depth=3
	s_delay_alu instid0(SALU_CYCLE_1)
	v_add_co_u32 v12, vcc_lo, v3, s0
	v_add_co_ci_u32_e32 v13, vcc_lo, s1, v4, vcc_lo
	s_add_u32 s40, s22, s0
	s_addc_u32 s41, s30, s1
	s_add_i32 s38, s38, 1
	global_load_b64 v[12:13], v[12:13], off
	s_load_b64 s[40:41], s[40:41], 0x0
	s_add_u32 s0, s0, s4
	s_addc_u32 s1, s1, s5
	s_cmp_ge_i32 s38, s37
	s_waitcnt vmcnt(0) lgkmcnt(0)
	v_fma_f64 v[5:6], v[12:13], s[40:41], v[5:6]
	s_cbranch_scc0 .LBB71_14
	s_branch .LBB71_11
.LBB71_15:                              ;   in Loop: Header=BB71_8 Depth=1
	s_set_inst_prefetch_distance 0x2
	s_or_b32 exec_lo, exec_lo, s9
	s_mov_b32 s1, 0
.LBB71_16:                              ;   in Loop: Header=BB71_8 Depth=1
	s_delay_alu instid0(SALU_CYCLE_1)
	s_and_not1_b32 vcc_lo, exec_lo, s1
	s_cbranch_vccnz .LBB71_25
; %bb.17:                               ;   in Loop: Header=BB71_8 Depth=1
	s_mov_b32 s38, exec_lo
	v_cmpx_gt_i32_e64 s35, v0
	s_cbranch_execz .LBB71_24
; %bb.18:                               ;   in Loop: Header=BB71_8 Depth=1
	s_ashr_i32 s11, s10, 31
	s_ashr_i32 s9, s8, 31
	s_lshl_b64 s[0:1], s[10:11], 3
	s_lshl_b64 s[14:15], s[8:9], 3
	s_add_u32 s0, s20, s0
	s_addc_u32 s1, s21, s1
	s_cmp_gt_i32 s37, 0
	v_dual_mov_b32 v3, v10 :: v_dual_mov_b32 v12, v0
	s_cselect_b32 s9, -1, 0
	s_lshl_b64 s[12:13], s[6:7], 3
	s_mov_b32 s11, 0
	s_add_u32 s12, s26, s12
	s_addc_u32 s13, s27, s13
	s_add_i32 s39, s36, 8
	s_load_b64 s[12:13], s[12:13], 0x0
	s_add_u32 s40, s20, s14
	s_addc_u32 s41, s21, s15
	s_set_inst_prefetch_distance 0x1
	s_branch .LBB71_21
	.p2align	6
.LBB71_19:                              ;   in Loop: Header=BB71_21 Depth=2
	v_mov_b32_e32 v4, 0
	v_mov_b32_e32 v5, 0
.LBB71_20:                              ;   in Loop: Header=BB71_21 Depth=2
	v_lshlrev_b32_e32 v13, 3, v12
	v_add_nc_u32_e32 v12, s19, v12
	v_add_nc_u32_e32 v3, s33, v3
	s_delay_alu instid0(VALU_DEP_3) | instskip(NEXT) | instid1(VALU_DEP_3)
	v_add_nc_u32_e32 v6, s39, v13
	v_cmp_le_i32_e32 vcc_lo, s35, v12
	ds_load_b64 v[6:7], v6
	s_or_b32 s11, vcc_lo, s11
	s_waitcnt lgkmcnt(0)
	v_fma_f64 v[4:5], v[4:5], s[12:13], v[6:7]
	v_add_nc_u32_e32 v6, 0, v13
	ds_store_b64 v6, v[4:5]
	s_and_not1_b32 exec_lo, exec_lo, s11
	s_cbranch_execz .LBB71_24
.LBB71_21:                              ;   Parent Loop BB71_8 Depth=1
                                        ; =>  This Loop Header: Depth=2
                                        ;       Child Loop BB71_23 Depth 3
	s_and_not1_b32 vcc_lo, exec_lo, s9
	s_cbranch_vccnz .LBB71_19
; %bb.22:                               ;   in Loop: Header=BB71_21 Depth=2
	v_ashrrev_i32_e32 v4, 31, v3
	s_mov_b32 s42, 0
	s_mov_b64 s[14:15], s[0:1]
	s_delay_alu instid0(VALU_DEP_1) | instskip(SKIP_2) | instid1(VALU_DEP_3)
	v_lshlrev_b64 v[6:7], 3, v[3:4]
	v_mov_b32_e32 v4, 0
	v_mov_b32_e32 v5, 0
	v_add_co_u32 v6, vcc_lo, s40, v6
	s_delay_alu instid0(VALU_DEP_4)
	v_add_co_ci_u32_e32 v7, vcc_lo, s41, v7, vcc_lo
.LBB71_23:                              ;   Parent Loop BB71_8 Depth=1
                                        ;     Parent Loop BB71_21 Depth=2
                                        ; =>    This Inner Loop Header: Depth=3
	global_load_b64 v[13:14], v[6:7], off
	s_load_b64 s[44:45], s[14:15], 0x0
	v_add_co_u32 v6, vcc_lo, v6, 8
	s_add_i32 s42, s42, 1
	v_add_co_ci_u32_e32 v7, vcc_lo, 0, v7, vcc_lo
	s_add_u32 s14, s14, 8
	s_addc_u32 s15, s15, 0
	s_cmp_ge_i32 s42, s37
	s_waitcnt vmcnt(0) lgkmcnt(0)
	v_fma_f64 v[4:5], v[13:14], s[44:45], v[4:5]
	s_cbranch_scc0 .LBB71_23
	s_branch .LBB71_20
.LBB71_24:                              ;   in Loop: Header=BB71_8 Depth=1
	s_set_inst_prefetch_distance 0x2
	s_or_b32 exec_lo, exec_lo, s38
.LBB71_25:                              ;   in Loop: Header=BB71_8 Depth=1
	s_delay_alu instid0(SALU_CYCLE_1)
	s_mov_b32 s0, exec_lo
	s_waitcnt lgkmcnt(0)
	s_barrier
	buffer_gl0_inv
	v_cmpx_gt_i32_e64 s35, v0
	s_cbranch_execz .LBB71_7
; %bb.26:                               ;   in Loop: Header=BB71_8 Depth=1
	v_dual_mov_b32 v5, v11 :: v_dual_mov_b32 v6, v0
	s_add_i32 s36, s36, 8
	s_mov_b32 s1, 0
	.p2align	6
.LBB71_27:                              ;   Parent Loop BB71_8 Depth=1
                                        ; =>  This Loop Header: Depth=2
                                        ;       Child Loop BB71_28 Depth 3
	v_mov_b32_e32 v3, 0
	s_delay_alu instid0(VALU_DEP_2)
	v_dual_mov_b32 v4, 0 :: v_dual_mov_b32 v7, v5
	s_mov_b32 s11, -1
	s_mov_b32 s9, 0
	s_mov_b32 s12, 0
.LBB71_28:                              ;   Parent Loop BB71_8 Depth=1
                                        ;     Parent Loop BB71_27 Depth=2
                                        ; =>    This Inner Loop Header: Depth=3
	s_delay_alu instid0(SALU_CYCLE_1)
	v_mov_b32_e32 v14, s12
	s_add_i32 s11, s11, 1
	s_add_i32 s12, s12, 8
	v_cmp_eq_u32_e32 vcc_lo, s11, v6
	ds_load_b64 v[12:13], v7
	ds_load_b64 v[14:15], v14
	v_add_nc_u32_e32 v7, s28, v7
	s_or_b32 s9, vcc_lo, s9
	s_waitcnt lgkmcnt(0)
	v_fma_f64 v[3:4], v[12:13], v[14:15], v[3:4]
	s_and_not1_b32 exec_lo, exec_lo, s9
	s_cbranch_execnz .LBB71_28
; %bb.29:                               ;   in Loop: Header=BB71_27 Depth=2
	s_or_b32 exec_lo, exec_lo, s9
	v_lshl_add_u32 v7, v6, 3, s36
	v_add_nc_u32_e32 v6, s19, v6
	v_add_nc_u32_e32 v5, s31, v5
	ds_store_b64 v7, v[3:4]
	v_cmp_le_i32_e32 vcc_lo, s35, v6
	s_or_b32 s1, vcc_lo, s1
	s_delay_alu instid0(SALU_CYCLE_1)
	s_and_not1_b32 exec_lo, exec_lo, s1
	s_cbranch_execnz .LBB71_27
	s_branch .LBB71_7
.LBB71_30:
	s_and_saveexec_b32 s0, s2
	s_cbranch_execz .LBB71_35
; %bb.31:
	s_lshl_b32 s1, s18, 3
	s_mov_b32 s2, 0
	v_add3_u32 v3, 0, s1, v9
	s_lshl_b32 s4, s19, 3
	.p2align	6
.LBB71_32:                              ; =>This Loop Header: Depth=1
                                        ;     Child Loop BB71_33 Depth 2
	s_delay_alu instid0(VALU_DEP_1)
	v_dual_mov_b32 v4, v3 :: v_dual_mov_b32 v1, v0
	s_mov_b32 s5, 0
	s_mov_b32 s6, 0
	.p2align	6
.LBB71_33:                              ;   Parent Loop BB71_32 Depth=1
                                        ; =>  This Inner Loop Header: Depth=2
	ds_load_b64 v[5:6], v4
	v_ashrrev_i32_e32 v2, 31, v1
	s_add_i32 s6, s6, 1
	v_add_nc_u32_e32 v4, s1, v4
	v_cmp_eq_u32_e32 vcc_lo, s6, v8
	s_delay_alu instid0(VALU_DEP_3) | instskip(SKIP_2) | instid1(VALU_DEP_2)
	v_lshlrev_b64 v[9:10], 3, v[1:2]
	v_add_nc_u32_e32 v1, s3, v1
	s_or_b32 s5, vcc_lo, s5
	v_add_co_u32 v9, s0, s24, v9
	s_delay_alu instid0(VALU_DEP_1)
	v_add_co_ci_u32_e64 v10, s0, s25, v10, s0
	s_waitcnt lgkmcnt(0)
	global_store_b64 v[9:10], v[5:6], off
	s_and_not1_b32 exec_lo, exec_lo, s5
	s_cbranch_execnz .LBB71_33
; %bb.34:                               ;   in Loop: Header=BB71_32 Depth=1
	s_or_b32 exec_lo, exec_lo, s5
	v_add_nc_u32_e32 v0, s19, v0
	v_add_nc_u32_e32 v8, s19, v8
	;; [unrolled: 1-line block ×3, first 2 shown]
	s_delay_alu instid0(VALU_DEP_3) | instskip(SKIP_1) | instid1(SALU_CYCLE_1)
	v_cmp_le_i32_e32 vcc_lo, s18, v0
	s_or_b32 s2, vcc_lo, s2
	s_and_not1_b32 exec_lo, exec_lo, s2
	s_cbranch_execnz .LBB71_32
.LBB71_35:
	s_nop 0
	s_sendmsg sendmsg(MSG_DEALLOC_VGPRS)
	s_endpgm
	.section	.rodata,"a",@progbits
	.p2align	6, 0x0
	.amdhsa_kernel _ZN9rocsolver6v33100L21larft_kernel_backwardIdPdEEv15rocblas_storev_iiT0_iilPT_lS6_il
		.amdhsa_group_segment_fixed_size 0
		.amdhsa_private_segment_fixed_size 0
		.amdhsa_kernarg_size 336
		.amdhsa_user_sgpr_count 14
		.amdhsa_user_sgpr_dispatch_ptr 0
		.amdhsa_user_sgpr_queue_ptr 0
		.amdhsa_user_sgpr_kernarg_segment_ptr 1
		.amdhsa_user_sgpr_dispatch_id 0
		.amdhsa_user_sgpr_private_segment_size 0
		.amdhsa_wavefront_size32 1
		.amdhsa_uses_dynamic_stack 0
		.amdhsa_enable_private_segment 0
		.amdhsa_system_sgpr_workgroup_id_x 1
		.amdhsa_system_sgpr_workgroup_id_y 1
		.amdhsa_system_sgpr_workgroup_id_z 0
		.amdhsa_system_sgpr_workgroup_info 0
		.amdhsa_system_vgpr_workitem_id 0
		.amdhsa_next_free_vgpr 16
		.amdhsa_next_free_sgpr 46
		.amdhsa_reserve_vcc 1
		.amdhsa_float_round_mode_32 0
		.amdhsa_float_round_mode_16_64 0
		.amdhsa_float_denorm_mode_32 3
		.amdhsa_float_denorm_mode_16_64 3
		.amdhsa_dx10_clamp 1
		.amdhsa_ieee_mode 1
		.amdhsa_fp16_overflow 0
		.amdhsa_workgroup_processor_mode 1
		.amdhsa_memory_ordered 1
		.amdhsa_forward_progress 0
		.amdhsa_shared_vgpr_count 0
		.amdhsa_exception_fp_ieee_invalid_op 0
		.amdhsa_exception_fp_denorm_src 0
		.amdhsa_exception_fp_ieee_div_zero 0
		.amdhsa_exception_fp_ieee_overflow 0
		.amdhsa_exception_fp_ieee_underflow 0
		.amdhsa_exception_fp_ieee_inexact 0
		.amdhsa_exception_int_div_zero 0
	.end_amdhsa_kernel
	.section	.text._ZN9rocsolver6v33100L21larft_kernel_backwardIdPdEEv15rocblas_storev_iiT0_iilPT_lS6_il,"axG",@progbits,_ZN9rocsolver6v33100L21larft_kernel_backwardIdPdEEv15rocblas_storev_iiT0_iilPT_lS6_il,comdat
.Lfunc_end71:
	.size	_ZN9rocsolver6v33100L21larft_kernel_backwardIdPdEEv15rocblas_storev_iiT0_iilPT_lS6_il, .Lfunc_end71-_ZN9rocsolver6v33100L21larft_kernel_backwardIdPdEEv15rocblas_storev_iiT0_iilPT_lS6_il
                                        ; -- End function
	.section	.AMDGPU.csdata,"",@progbits
; Kernel info:
; codeLenInByte = 1648
; NumSgprs: 48
; NumVgprs: 16
; ScratchSize: 0
; MemoryBound: 0
; FloatMode: 240
; IeeeMode: 1
; LDSByteSize: 0 bytes/workgroup (compile time only)
; SGPRBlocks: 5
; VGPRBlocks: 1
; NumSGPRsForWavesPerEU: 48
; NumVGPRsForWavesPerEU: 16
; Occupancy: 16
; WaveLimiterHint : 0
; COMPUTE_PGM_RSRC2:SCRATCH_EN: 0
; COMPUTE_PGM_RSRC2:USER_SGPR: 14
; COMPUTE_PGM_RSRC2:TRAP_HANDLER: 0
; COMPUTE_PGM_RSRC2:TGID_X_EN: 1
; COMPUTE_PGM_RSRC2:TGID_Y_EN: 1
; COMPUTE_PGM_RSRC2:TGID_Z_EN: 0
; COMPUTE_PGM_RSRC2:TIDIG_COMP_CNT: 0
	.section	.text._ZN9rocsolver6v33100L9copymatA1IdPdEEviiT0_iilPT_,"axG",@progbits,_ZN9rocsolver6v33100L9copymatA1IdPdEEviiT0_iilPT_,comdat
	.globl	_ZN9rocsolver6v33100L9copymatA1IdPdEEviiT0_iilPT_ ; -- Begin function _ZN9rocsolver6v33100L9copymatA1IdPdEEviiT0_iilPT_
	.p2align	8
	.type	_ZN9rocsolver6v33100L9copymatA1IdPdEEviiT0_iilPT_,@function
_ZN9rocsolver6v33100L9copymatA1IdPdEEviiT0_iilPT_: ; @_ZN9rocsolver6v33100L9copymatA1IdPdEEviiT0_iilPT_
; %bb.0:
	s_clause 0x1
	s_load_b32 s2, s[0:1], 0x34
	s_load_b64 s[8:9], s[0:1], 0x0
	v_bfe_u32 v2, v0, 10, 10
	v_and_b32_e32 v3, 0x3ff, v0
	s_waitcnt lgkmcnt(0)
	s_lshr_b32 s3, s2, 16
	s_and_b32 s2, s2, 0xffff
	s_delay_alu instid0(VALU_DEP_1) | instskip(SKIP_1) | instid1(VALU_DEP_2)
	v_mad_u64_u32 v[0:1], null, s14, s3, v[2:3]
	v_mad_u64_u32 v[1:2], null, s13, s2, v[3:4]
	v_cmp_gt_u32_e32 vcc_lo, s8, v0
	s_delay_alu instid0(VALU_DEP_2) | instskip(NEXT) | instid1(VALU_DEP_1)
	v_cmp_gt_u32_e64 s2, s9, v1
	s_and_b32 s2, s2, vcc_lo
	s_delay_alu instid0(SALU_CYCLE_1)
	s_and_saveexec_b32 s3, s2
	s_cbranch_execz .LBB72_2
; %bb.1:
	s_load_b256 s[0:7], s[0:1], 0x8
	s_ashr_i32 s10, s8, 31
	s_ashr_i32 s11, s9, 31
	s_mul_hi_u32 s12, s8, s15
	s_mul_i32 s13, s8, s15
	s_mul_i32 s10, s10, s15
	;; [unrolled: 1-line block ×3, first 2 shown]
	s_mul_hi_u32 s14, s13, s9
	s_add_i32 s10, s12, s10
	s_add_i32 s11, s14, s11
	s_mul_i32 s12, s10, s9
	s_mul_i32 s10, s13, s9
	s_add_i32 s11, s11, s12
	v_mad_u64_u32 v[6:7], null, v1, s8, v[0:1]
	s_lshl_b64 s[10:11], s[10:11], 3
	s_waitcnt lgkmcnt(0)
	v_mad_u64_u32 v[2:3], null, v1, s3, v[0:1]
	s_add_u32 s9, s6, s10
	s_mul_i32 s5, s15, s5
	s_mul_hi_u32 s10, s15, s4
	v_mov_b32_e32 v3, 0
	s_mul_i32 s4, s15, s4
	s_addc_u32 s3, s7, s11
	s_add_i32 s5, s10, s5
	s_mov_b32 s6, s2
	s_lshl_b64 s[4:5], s[4:5], 3
	s_ashr_i32 s7, s2, 31
	v_lshlrev_b64 v[4:5], 3, v[2:3]
	s_add_u32 s2, s0, s4
	s_addc_u32 s4, s1, s5
	s_lshl_b64 s[0:1], s[6:7], 3
	v_mov_b32_e32 v7, v3
	s_add_u32 s0, s2, s0
	s_addc_u32 s1, s4, s1
	v_add_co_u32 v4, vcc_lo, s0, v4
	v_add_co_ci_u32_e32 v5, vcc_lo, s1, v5, vcc_lo
	v_lshlrev_b64 v[0:1], 3, v[6:7]
	global_load_b64 v[4:5], v[4:5], off
	v_add_co_u32 v0, vcc_lo, s9, v0
	v_add_co_ci_u32_e32 v1, vcc_lo, s3, v1, vcc_lo
	s_waitcnt vmcnt(0)
	global_store_b64 v[0:1], v[4:5], off
.LBB72_2:
	s_nop 0
	s_sendmsg sendmsg(MSG_DEALLOC_VGPRS)
	s_endpgm
	.section	.rodata,"a",@progbits
	.p2align	6, 0x0
	.amdhsa_kernel _ZN9rocsolver6v33100L9copymatA1IdPdEEviiT0_iilPT_
		.amdhsa_group_segment_fixed_size 0
		.amdhsa_private_segment_fixed_size 0
		.amdhsa_kernarg_size 296
		.amdhsa_user_sgpr_count 13
		.amdhsa_user_sgpr_dispatch_ptr 0
		.amdhsa_user_sgpr_queue_ptr 0
		.amdhsa_user_sgpr_kernarg_segment_ptr 1
		.amdhsa_user_sgpr_dispatch_id 0
		.amdhsa_user_sgpr_private_segment_size 0
		.amdhsa_wavefront_size32 1
		.amdhsa_uses_dynamic_stack 0
		.amdhsa_enable_private_segment 0
		.amdhsa_system_sgpr_workgroup_id_x 1
		.amdhsa_system_sgpr_workgroup_id_y 1
		.amdhsa_system_sgpr_workgroup_id_z 1
		.amdhsa_system_sgpr_workgroup_info 0
		.amdhsa_system_vgpr_workitem_id 1
		.amdhsa_next_free_vgpr 8
		.amdhsa_next_free_sgpr 16
		.amdhsa_reserve_vcc 1
		.amdhsa_float_round_mode_32 0
		.amdhsa_float_round_mode_16_64 0
		.amdhsa_float_denorm_mode_32 3
		.amdhsa_float_denorm_mode_16_64 3
		.amdhsa_dx10_clamp 1
		.amdhsa_ieee_mode 1
		.amdhsa_fp16_overflow 0
		.amdhsa_workgroup_processor_mode 1
		.amdhsa_memory_ordered 1
		.amdhsa_forward_progress 0
		.amdhsa_shared_vgpr_count 0
		.amdhsa_exception_fp_ieee_invalid_op 0
		.amdhsa_exception_fp_denorm_src 0
		.amdhsa_exception_fp_ieee_div_zero 0
		.amdhsa_exception_fp_ieee_overflow 0
		.amdhsa_exception_fp_ieee_underflow 0
		.amdhsa_exception_fp_ieee_inexact 0
		.amdhsa_exception_int_div_zero 0
	.end_amdhsa_kernel
	.section	.text._ZN9rocsolver6v33100L9copymatA1IdPdEEviiT0_iilPT_,"axG",@progbits,_ZN9rocsolver6v33100L9copymatA1IdPdEEviiT0_iilPT_,comdat
.Lfunc_end72:
	.size	_ZN9rocsolver6v33100L9copymatA1IdPdEEviiT0_iilPT_, .Lfunc_end72-_ZN9rocsolver6v33100L9copymatA1IdPdEEviiT0_iilPT_
                                        ; -- End function
	.section	.AMDGPU.csdata,"",@progbits
; Kernel info:
; codeLenInByte = 320
; NumSgprs: 18
; NumVgprs: 8
; ScratchSize: 0
; MemoryBound: 0
; FloatMode: 240
; IeeeMode: 1
; LDSByteSize: 0 bytes/workgroup (compile time only)
; SGPRBlocks: 2
; VGPRBlocks: 0
; NumSGPRsForWavesPerEU: 18
; NumVGPRsForWavesPerEU: 8
; Occupancy: 16
; WaveLimiterHint : 0
; COMPUTE_PGM_RSRC2:SCRATCH_EN: 0
; COMPUTE_PGM_RSRC2:USER_SGPR: 13
; COMPUTE_PGM_RSRC2:TRAP_HANDLER: 0
; COMPUTE_PGM_RSRC2:TGID_X_EN: 1
; COMPUTE_PGM_RSRC2:TGID_Y_EN: 1
; COMPUTE_PGM_RSRC2:TGID_Z_EN: 1
; COMPUTE_PGM_RSRC2:TIDIG_COMP_CNT: 1
	.section	.text._ZN9rocsolver6v33100L8addmatA1IdPdEEviiT0_iilPT_,"axG",@progbits,_ZN9rocsolver6v33100L8addmatA1IdPdEEviiT0_iilPT_,comdat
	.globl	_ZN9rocsolver6v33100L8addmatA1IdPdEEviiT0_iilPT_ ; -- Begin function _ZN9rocsolver6v33100L8addmatA1IdPdEEviiT0_iilPT_
	.p2align	8
	.type	_ZN9rocsolver6v33100L8addmatA1IdPdEEviiT0_iilPT_,@function
_ZN9rocsolver6v33100L8addmatA1IdPdEEviiT0_iilPT_: ; @_ZN9rocsolver6v33100L8addmatA1IdPdEEviiT0_iilPT_
; %bb.0:
	s_clause 0x1
	s_load_b32 s2, s[0:1], 0x34
	s_load_b64 s[8:9], s[0:1], 0x0
	v_bfe_u32 v2, v0, 10, 10
	v_and_b32_e32 v3, 0x3ff, v0
	s_waitcnt lgkmcnt(0)
	s_lshr_b32 s3, s2, 16
	s_and_b32 s2, s2, 0xffff
	s_delay_alu instid0(VALU_DEP_1) | instskip(SKIP_1) | instid1(VALU_DEP_2)
	v_mad_u64_u32 v[0:1], null, s14, s3, v[2:3]
	v_mad_u64_u32 v[1:2], null, s13, s2, v[3:4]
	v_cmp_gt_u32_e32 vcc_lo, s8, v0
	s_delay_alu instid0(VALU_DEP_2) | instskip(NEXT) | instid1(VALU_DEP_1)
	v_cmp_gt_u32_e64 s2, s9, v1
	s_and_b32 s2, s2, vcc_lo
	s_delay_alu instid0(SALU_CYCLE_1)
	s_and_saveexec_b32 s3, s2
	s_cbranch_execz .LBB73_2
; %bb.1:
	s_load_b256 s[0:7], s[0:1], 0x8
	s_ashr_i32 s10, s8, 31
	s_ashr_i32 s11, s9, 31
	s_mul_hi_u32 s12, s8, s15
	s_mul_i32 s13, s8, s15
	s_mul_i32 s10, s10, s15
	;; [unrolled: 1-line block ×3, first 2 shown]
	s_mul_hi_u32 s14, s13, s9
	s_add_i32 s10, s12, s10
	s_add_i32 s11, s14, s11
	s_mul_i32 s12, s10, s9
	v_mad_u64_u32 v[2:3], null, v1, s8, v[0:1]
	v_mov_b32_e32 v3, 0
	s_mul_i32 s10, s13, s9
	s_add_i32 s11, s11, s12
	s_delay_alu instid0(SALU_CYCLE_1)
	s_lshl_b64 s[8:9], s[10:11], 3
	s_waitcnt lgkmcnt(0)
	v_mad_u64_u32 v[4:5], null, v1, s3, v[0:1]
	s_add_u32 s8, s6, s8
	s_mul_i32 s5, s15, s5
	s_mul_hi_u32 s6, s15, s4
	v_mov_b32_e32 v5, v3
	s_mul_i32 s4, s15, s4
	s_addc_u32 s9, s7, s9
	s_add_i32 s5, s6, s5
	v_lshlrev_b64 v[0:1], 3, v[2:3]
	s_lshl_b64 s[4:5], s[4:5], 3
	s_mov_b32 s6, s2
	s_ashr_i32 s7, s2, 31
	v_lshlrev_b64 v[2:3], 3, v[4:5]
	s_add_u32 s2, s0, s4
	s_addc_u32 s3, s1, s5
	s_lshl_b64 s[0:1], s[6:7], 3
	v_add_co_u32 v0, vcc_lo, s8, v0
	s_add_u32 s0, s2, s0
	v_add_co_ci_u32_e32 v1, vcc_lo, s9, v1, vcc_lo
	s_addc_u32 s1, s3, s1
	v_add_co_u32 v2, vcc_lo, s0, v2
	v_add_co_ci_u32_e32 v3, vcc_lo, s1, v3, vcc_lo
	global_load_b64 v[0:1], v[0:1], off
	global_load_b64 v[4:5], v[2:3], off
	s_waitcnt vmcnt(0)
	v_add_f64 v[0:1], v[4:5], -v[0:1]
	global_store_b64 v[2:3], v[0:1], off
.LBB73_2:
	s_nop 0
	s_sendmsg sendmsg(MSG_DEALLOC_VGPRS)
	s_endpgm
	.section	.rodata,"a",@progbits
	.p2align	6, 0x0
	.amdhsa_kernel _ZN9rocsolver6v33100L8addmatA1IdPdEEviiT0_iilPT_
		.amdhsa_group_segment_fixed_size 0
		.amdhsa_private_segment_fixed_size 0
		.amdhsa_kernarg_size 296
		.amdhsa_user_sgpr_count 13
		.amdhsa_user_sgpr_dispatch_ptr 0
		.amdhsa_user_sgpr_queue_ptr 0
		.amdhsa_user_sgpr_kernarg_segment_ptr 1
		.amdhsa_user_sgpr_dispatch_id 0
		.amdhsa_user_sgpr_private_segment_size 0
		.amdhsa_wavefront_size32 1
		.amdhsa_uses_dynamic_stack 0
		.amdhsa_enable_private_segment 0
		.amdhsa_system_sgpr_workgroup_id_x 1
		.amdhsa_system_sgpr_workgroup_id_y 1
		.amdhsa_system_sgpr_workgroup_id_z 1
		.amdhsa_system_sgpr_workgroup_info 0
		.amdhsa_system_vgpr_workitem_id 1
		.amdhsa_next_free_vgpr 6
		.amdhsa_next_free_sgpr 16
		.amdhsa_reserve_vcc 1
		.amdhsa_float_round_mode_32 0
		.amdhsa_float_round_mode_16_64 0
		.amdhsa_float_denorm_mode_32 3
		.amdhsa_float_denorm_mode_16_64 3
		.amdhsa_dx10_clamp 1
		.amdhsa_ieee_mode 1
		.amdhsa_fp16_overflow 0
		.amdhsa_workgroup_processor_mode 1
		.amdhsa_memory_ordered 1
		.amdhsa_forward_progress 0
		.amdhsa_shared_vgpr_count 0
		.amdhsa_exception_fp_ieee_invalid_op 0
		.amdhsa_exception_fp_denorm_src 0
		.amdhsa_exception_fp_ieee_div_zero 0
		.amdhsa_exception_fp_ieee_overflow 0
		.amdhsa_exception_fp_ieee_underflow 0
		.amdhsa_exception_fp_ieee_inexact 0
		.amdhsa_exception_int_div_zero 0
	.end_amdhsa_kernel
	.section	.text._ZN9rocsolver6v33100L8addmatA1IdPdEEviiT0_iilPT_,"axG",@progbits,_ZN9rocsolver6v33100L8addmatA1IdPdEEviiT0_iilPT_,comdat
.Lfunc_end73:
	.size	_ZN9rocsolver6v33100L8addmatA1IdPdEEviiT0_iilPT_, .Lfunc_end73-_ZN9rocsolver6v33100L8addmatA1IdPdEEviiT0_iilPT_
                                        ; -- End function
	.section	.AMDGPU.csdata,"",@progbits
; Kernel info:
; codeLenInByte = 340
; NumSgprs: 18
; NumVgprs: 6
; ScratchSize: 0
; MemoryBound: 0
; FloatMode: 240
; IeeeMode: 1
; LDSByteSize: 0 bytes/workgroup (compile time only)
; SGPRBlocks: 2
; VGPRBlocks: 0
; NumSGPRsForWavesPerEU: 18
; NumVGPRsForWavesPerEU: 6
; Occupancy: 16
; WaveLimiterHint : 0
; COMPUTE_PGM_RSRC2:SCRATCH_EN: 0
; COMPUTE_PGM_RSRC2:USER_SGPR: 13
; COMPUTE_PGM_RSRC2:TRAP_HANDLER: 0
; COMPUTE_PGM_RSRC2:TGID_X_EN: 1
; COMPUTE_PGM_RSRC2:TGID_Y_EN: 1
; COMPUTE_PGM_RSRC2:TGID_Z_EN: 1
; COMPUTE_PGM_RSRC2:TIDIG_COMP_CNT: 1
	.section	.text._ZN9rocsolver6v33100L15gesvdj_finalizeIddEEviPT0_lPT_ilS5_il,"axG",@progbits,_ZN9rocsolver6v33100L15gesvdj_finalizeIddEEviPT0_lPT_ilS5_il,comdat
	.globl	_ZN9rocsolver6v33100L15gesvdj_finalizeIddEEviPT0_lPT_ilS5_il ; -- Begin function _ZN9rocsolver6v33100L15gesvdj_finalizeIddEEviPT0_lPT_ilS5_il
	.p2align	8
	.type	_ZN9rocsolver6v33100L15gesvdj_finalizeIddEEviPT0_lPT_ilS5_il,@function
_ZN9rocsolver6v33100L15gesvdj_finalizeIddEEviPT0_lPT_ilS5_il: ; @_ZN9rocsolver6v33100L15gesvdj_finalizeIddEEviPT0_lPT_ilS5_il
; %bb.0:
	s_clause 0x1
	s_load_b32 s2, s[0:1], 0x54
	s_load_b32 s8, s[0:1], 0x0
	s_mov_b32 s3, exec_lo
	s_waitcnt lgkmcnt(0)
	s_and_b32 s2, s2, 0xffff
	s_delay_alu instid0(SALU_CYCLE_1) | instskip(SKIP_1) | instid1(VALU_DEP_1)
	v_mad_u64_u32 v[1:2], null, s14, s2, v[0:1]
	s_mov_b32 s2, 0
	v_max_i32_e32 v0, 0, v1
	s_delay_alu instid0(VALU_DEP_1)
	v_cmpx_gt_i32_e64 s8, v0
	s_cbranch_execz .LBB74_7
; %bb.1:
	s_clause 0x5
	s_load_b128 s[16:19], s[0:1], 0x8
	s_load_b128 s[4:7], s[0:1], 0x28
	s_load_b64 s[12:13], s[0:1], 0x40
	s_load_b32 s3, s[0:1], 0x20
	s_load_b32 s9, s[0:1], 0x38
	s_load_b64 s[10:11], s[0:1], 0x18
	s_ashr_i32 s14, s15, 31
	v_mov_b32_e32 v0, 0
	s_waitcnt lgkmcnt(0)
	s_mul_i32 s1, s15, s19
	s_mul_hi_u32 s19, s15, s18
	s_mul_i32 s20, s14, s18
	s_add_i32 s1, s19, s1
	s_mul_i32 s0, s15, s18
	s_add_i32 s1, s1, s20
	s_mul_i32 s21, s15, s5
	s_lshl_b64 s[0:1], s[0:1], 3
	s_mul_hi_u32 s19, s15, s4
	s_mul_i32 s20, s14, s4
	s_mul_i32 s18, s15, s4
	s_add_u32 s4, s16, s0
	s_addc_u32 s5, s17, s1
	s_add_i32 s0, s19, s21
	s_mul_i32 s13, s15, s13
	s_add_i32 s19, s0, s20
	s_mul_hi_u32 s0, s15, s12
	s_lshl_b64 s[16:17], s[18:19], 3
	s_mul_i32 s14, s14, s12
	s_add_u32 s1, s10, s16
	s_addc_u32 s10, s11, s17
	s_add_i32 s0, s0, s13
	s_mul_i32 s12, s15, s12
	s_add_i32 s13, s0, s14
	v_cmp_eq_u32_e64 s0, 0, v1
	s_lshl_b64 s[12:13], s[12:13], 3
	s_delay_alu instid0(SALU_CYCLE_1)
	s_add_u32 s6, s6, s12
	s_addc_u32 s7, s7, s13
	s_add_i32 s11, s3, 1
	s_set_inst_prefetch_distance 0x1
	s_branch .LBB74_3
	.p2align	6
.LBB74_2:                               ;   in Loop: Header=BB74_3 Depth=1
	s_add_i32 s8, s8, -1
	v_add_nc_u32_e32 v1, s9, v1
	s_add_i32 s2, s2, s11
	s_add_u32 s4, s4, 8
	s_addc_u32 s5, s5, 0
	s_cmp_lg_u32 s8, 0
	s_cbranch_scc0 .LBB74_7
.LBB74_3:                               ; =>This Inner Loop Header: Depth=1
	s_ashr_i32 s3, s2, 31
	s_delay_alu instid0(SALU_CYCLE_1) | instskip(NEXT) | instid1(SALU_CYCLE_1)
	s_lshl_b64 s[12:13], s[2:3], 3
	s_add_u32 s12, s1, s12
	s_addc_u32 s13, s10, s13
	global_load_b64 v[2:3], v0, s[12:13]
	s_and_saveexec_b32 s3, s0
	s_cbranch_execz .LBB74_5
; %bb.4:                                ;   in Loop: Header=BB74_3 Depth=1
	s_waitcnt vmcnt(0)
	v_dual_mov_b32 v4, v2 :: v_dual_and_b32 v5, 0x7fffffff, v3
	global_store_b64 v0, v[4:5], s[4:5]
.LBB74_5:                               ;   in Loop: Header=BB74_3 Depth=1
	s_or_b32 exec_lo, exec_lo, s3
	s_waitcnt vmcnt(0)
	v_cmp_ngt_f64_e32 vcc_lo, 0, v[2:3]
	s_cbranch_vccnz .LBB74_2
; %bb.6:                                ;   in Loop: Header=BB74_3 Depth=1
	v_ashrrev_i32_e32 v2, 31, v1
	s_delay_alu instid0(VALU_DEP_1) | instskip(NEXT) | instid1(VALU_DEP_1)
	v_lshlrev_b64 v[2:3], 3, v[1:2]
	v_add_co_u32 v2, vcc_lo, s6, v2
	s_delay_alu instid0(VALU_DEP_2)
	v_add_co_ci_u32_e32 v3, vcc_lo, s7, v3, vcc_lo
	global_load_b64 v[4:5], v[2:3], off
	s_waitcnt vmcnt(0)
	v_xor_b32_e32 v5, 0x80000000, v5
	global_store_b64 v[2:3], v[4:5], off
	s_branch .LBB74_2
.LBB74_7:
	s_set_inst_prefetch_distance 0x2
	s_nop 0
	s_sendmsg sendmsg(MSG_DEALLOC_VGPRS)
	s_endpgm
	.section	.rodata,"a",@progbits
	.p2align	6, 0x0
	.amdhsa_kernel _ZN9rocsolver6v33100L15gesvdj_finalizeIddEEviPT0_lPT_ilS5_il
		.amdhsa_group_segment_fixed_size 0
		.amdhsa_private_segment_fixed_size 0
		.amdhsa_kernarg_size 328
		.amdhsa_user_sgpr_count 14
		.amdhsa_user_sgpr_dispatch_ptr 0
		.amdhsa_user_sgpr_queue_ptr 0
		.amdhsa_user_sgpr_kernarg_segment_ptr 1
		.amdhsa_user_sgpr_dispatch_id 0
		.amdhsa_user_sgpr_private_segment_size 0
		.amdhsa_wavefront_size32 1
		.amdhsa_uses_dynamic_stack 0
		.amdhsa_enable_private_segment 0
		.amdhsa_system_sgpr_workgroup_id_x 1
		.amdhsa_system_sgpr_workgroup_id_y 1
		.amdhsa_system_sgpr_workgroup_id_z 0
		.amdhsa_system_sgpr_workgroup_info 0
		.amdhsa_system_vgpr_workitem_id 0
		.amdhsa_next_free_vgpr 6
		.amdhsa_next_free_sgpr 22
		.amdhsa_reserve_vcc 1
		.amdhsa_float_round_mode_32 0
		.amdhsa_float_round_mode_16_64 0
		.amdhsa_float_denorm_mode_32 3
		.amdhsa_float_denorm_mode_16_64 3
		.amdhsa_dx10_clamp 1
		.amdhsa_ieee_mode 1
		.amdhsa_fp16_overflow 0
		.amdhsa_workgroup_processor_mode 1
		.amdhsa_memory_ordered 1
		.amdhsa_forward_progress 0
		.amdhsa_shared_vgpr_count 0
		.amdhsa_exception_fp_ieee_invalid_op 0
		.amdhsa_exception_fp_denorm_src 0
		.amdhsa_exception_fp_ieee_div_zero 0
		.amdhsa_exception_fp_ieee_overflow 0
		.amdhsa_exception_fp_ieee_underflow 0
		.amdhsa_exception_fp_ieee_inexact 0
		.amdhsa_exception_int_div_zero 0
	.end_amdhsa_kernel
	.section	.text._ZN9rocsolver6v33100L15gesvdj_finalizeIddEEviPT0_lPT_ilS5_il,"axG",@progbits,_ZN9rocsolver6v33100L15gesvdj_finalizeIddEEviPT0_lPT_ilS5_il,comdat
.Lfunc_end74:
	.size	_ZN9rocsolver6v33100L15gesvdj_finalizeIddEEviPT0_lPT_ilS5_il, .Lfunc_end74-_ZN9rocsolver6v33100L15gesvdj_finalizeIddEEviPT0_lPT_ilS5_il
                                        ; -- End function
	.section	.AMDGPU.csdata,"",@progbits
; Kernel info:
; codeLenInByte = 452
; NumSgprs: 24
; NumVgprs: 6
; ScratchSize: 0
; MemoryBound: 0
; FloatMode: 240
; IeeeMode: 1
; LDSByteSize: 0 bytes/workgroup (compile time only)
; SGPRBlocks: 2
; VGPRBlocks: 0
; NumSGPRsForWavesPerEU: 24
; NumVGPRsForWavesPerEU: 6
; Occupancy: 16
; WaveLimiterHint : 0
; COMPUTE_PGM_RSRC2:SCRATCH_EN: 0
; COMPUTE_PGM_RSRC2:USER_SGPR: 14
; COMPUTE_PGM_RSRC2:TRAP_HANDLER: 0
; COMPUTE_PGM_RSRC2:TGID_X_EN: 1
; COMPUTE_PGM_RSRC2:TGID_Y_EN: 1
; COMPUTE_PGM_RSRC2:TGID_Z_EN: 0
; COMPUTE_PGM_RSRC2:TIDIG_COMP_CNT: 0
	.section	.text._ZN9rocsolver6v33100L16org2r_init_identIdPdEEviiiT0_iil,"axG",@progbits,_ZN9rocsolver6v33100L16org2r_init_identIdPdEEviiiT0_iil,comdat
	.globl	_ZN9rocsolver6v33100L16org2r_init_identIdPdEEviiiT0_iil ; -- Begin function _ZN9rocsolver6v33100L16org2r_init_identIdPdEEviiiT0_iil
	.p2align	8
	.type	_ZN9rocsolver6v33100L16org2r_init_identIdPdEEviiiT0_iil,@function
_ZN9rocsolver6v33100L16org2r_init_identIdPdEEviiiT0_iil: ; @_ZN9rocsolver6v33100L16org2r_init_identIdPdEEviiiT0_iil
; %bb.0:
	s_clause 0x1
	s_load_b32 s2, s[0:1], 0x34
	s_load_b128 s[4:7], s[0:1], 0x0
	v_and_b32_e32 v1, 0x3ff, v0
	v_bfe_u32 v0, v0, 10, 10
	s_waitcnt lgkmcnt(0)
	s_lshr_b32 s3, s2, 16
	s_and_b32 s2, s2, 0xffff
	s_delay_alu instid0(VALU_DEP_1) | instskip(SKIP_1) | instid1(VALU_DEP_2)
	v_mad_u64_u32 v[4:5], null, s14, s3, v[0:1]
	v_mad_u64_u32 v[6:7], null, s13, s2, v[1:2]
	v_cmp_gt_u32_e64 s2, s5, v4
	s_delay_alu instid0(VALU_DEP_2) | instskip(NEXT) | instid1(VALU_DEP_2)
	v_cmp_gt_u32_e32 vcc_lo, s4, v6
	s_and_b32 s2, vcc_lo, s2
	s_delay_alu instid0(SALU_CYCLE_1)
	s_and_saveexec_b32 s3, s2
	s_cbranch_execz .LBB75_5
; %bb.1:
	s_load_b64 s[2:3], s[0:1], 0x18
	s_mov_b32 s4, 0
                                        ; implicit-def: $vgpr2_vgpr3
                                        ; implicit-def: $vgpr0
	s_mov_b32 s5, exec_lo
	v_cmpx_ne_u32_e64 v6, v4
	s_xor_b32 s7, exec_lo, s5
	s_cbranch_execnz .LBB75_6
; %bb.2:
	s_and_not1_saveexec_b32 s5, s7
	s_cbranch_execnz .LBB75_13
.LBB75_3:
	s_or_b32 exec_lo, exec_lo, s5
	s_delay_alu instid0(SALU_CYCLE_1)
	s_and_b32 exec_lo, exec_lo, s4
	s_cbranch_execz .LBB75_5
.LBB75_4:
	s_clause 0x1
	s_load_b64 s[4:5], s[0:1], 0x20
	s_load_b64 s[0:1], s[0:1], 0x10
	v_mov_b32_e32 v1, 0
	s_delay_alu instid0(VALU_DEP_1)
	v_lshlrev_b64 v[0:1], 3, v[0:1]
	s_waitcnt lgkmcnt(0)
	s_mul_i32 s3, s15, s5
	s_mul_hi_u32 s5, s15, s4
	s_mul_i32 s4, s15, s4
	s_add_i32 s5, s5, s3
	s_ashr_i32 s3, s2, 31
	s_lshl_b64 s[4:5], s[4:5], 3
	s_delay_alu instid0(SALU_CYCLE_1) | instskip(SKIP_2) | instid1(SALU_CYCLE_1)
	s_add_u32 s4, s0, s4
	s_addc_u32 s5, s1, s5
	s_lshl_b64 s[0:1], s[2:3], 3
	s_add_u32 s0, s4, s0
	s_addc_u32 s1, s5, s1
	v_add_co_u32 v0, vcc_lo, s0, v0
	v_add_co_ci_u32_e32 v1, vcc_lo, s1, v1, vcc_lo
	global_store_b64 v[0:1], v[2:3], off
.LBB75_5:
	s_nop 0
	s_sendmsg sendmsg(MSG_DEALLOC_VGPRS)
	s_endpgm
.LBB75_6:
	s_mov_b32 s8, 0
	s_mov_b32 s9, exec_lo
                                        ; implicit-def: $sgpr4_sgpr5
                                        ; implicit-def: $vgpr0
	v_cmpx_le_u32_e64 v4, v6
	s_xor_b32 s9, exec_lo, s9
	s_cbranch_execz .LBB75_10
; %bb.7:
	v_cmp_le_u32_e32 vcc_lo, s6, v4
	s_mov_b32 s6, 0
                                        ; implicit-def: $sgpr4_sgpr5
                                        ; implicit-def: $vgpr0
	s_and_saveexec_b32 s8, vcc_lo
	s_delay_alu instid0(SALU_CYCLE_1)
	s_xor_b32 s8, exec_lo, s8
	s_cbranch_execz .LBB75_9
; %bb.8:
	s_waitcnt lgkmcnt(0)
	v_mad_u64_u32 v[0:1], null, v4, s3, v[6:7]
	s_mov_b32 s6, exec_lo
	s_mov_b64 s[4:5], 0
.LBB75_9:
	s_or_b32 exec_lo, exec_lo, s8
	s_delay_alu instid0(SALU_CYCLE_1)
	s_and_b32 s8, s6, exec_lo
                                        ; implicit-def: $vgpr6_vgpr7
                                        ; implicit-def: $vgpr4_vgpr5
.LBB75_10:
	s_or_saveexec_b32 s6, s9
	v_dual_mov_b32 v2, s4 :: v_dual_mov_b32 v3, s5
	s_xor_b32 exec_lo, exec_lo, s6
	s_cbranch_execz .LBB75_12
; %bb.11:
	v_mov_b32_e32 v2, 0
	s_waitcnt lgkmcnt(0)
	v_mad_u64_u32 v[0:1], null, v4, s3, v[6:7]
	v_mov_b32_e32 v3, 0
	s_or_b32 s8, s8, exec_lo
.LBB75_12:
	s_or_b32 exec_lo, exec_lo, s6
	s_delay_alu instid0(SALU_CYCLE_1)
	s_and_b32 s4, s8, exec_lo
                                        ; implicit-def: $vgpr4_vgpr5
	s_and_not1_saveexec_b32 s5, s7
	s_cbranch_execz .LBB75_3
.LBB75_13:
	s_waitcnt lgkmcnt(0)
	v_mad_u64_u32 v[0:1], null, v4, s3, v[4:5]
	v_mov_b32_e32 v2, 0
	v_mov_b32_e32 v3, 0x3ff00000
	s_or_b32 s4, s4, exec_lo
	s_or_b32 exec_lo, exec_lo, s5
	s_delay_alu instid0(SALU_CYCLE_1)
	s_and_b32 exec_lo, exec_lo, s4
	s_cbranch_execnz .LBB75_4
	s_branch .LBB75_5
	.section	.rodata,"a",@progbits
	.p2align	6, 0x0
	.amdhsa_kernel _ZN9rocsolver6v33100L16org2r_init_identIdPdEEviiiT0_iil
		.amdhsa_group_segment_fixed_size 0
		.amdhsa_private_segment_fixed_size 0
		.amdhsa_kernarg_size 296
		.amdhsa_user_sgpr_count 13
		.amdhsa_user_sgpr_dispatch_ptr 0
		.amdhsa_user_sgpr_queue_ptr 0
		.amdhsa_user_sgpr_kernarg_segment_ptr 1
		.amdhsa_user_sgpr_dispatch_id 0
		.amdhsa_user_sgpr_private_segment_size 0
		.amdhsa_wavefront_size32 1
		.amdhsa_uses_dynamic_stack 0
		.amdhsa_enable_private_segment 0
		.amdhsa_system_sgpr_workgroup_id_x 1
		.amdhsa_system_sgpr_workgroup_id_y 1
		.amdhsa_system_sgpr_workgroup_id_z 1
		.amdhsa_system_sgpr_workgroup_info 0
		.amdhsa_system_vgpr_workitem_id 1
		.amdhsa_next_free_vgpr 8
		.amdhsa_next_free_sgpr 16
		.amdhsa_reserve_vcc 1
		.amdhsa_float_round_mode_32 0
		.amdhsa_float_round_mode_16_64 0
		.amdhsa_float_denorm_mode_32 3
		.amdhsa_float_denorm_mode_16_64 3
		.amdhsa_dx10_clamp 1
		.amdhsa_ieee_mode 1
		.amdhsa_fp16_overflow 0
		.amdhsa_workgroup_processor_mode 1
		.amdhsa_memory_ordered 1
		.amdhsa_forward_progress 0
		.amdhsa_shared_vgpr_count 0
		.amdhsa_exception_fp_ieee_invalid_op 0
		.amdhsa_exception_fp_denorm_src 0
		.amdhsa_exception_fp_ieee_div_zero 0
		.amdhsa_exception_fp_ieee_overflow 0
		.amdhsa_exception_fp_ieee_underflow 0
		.amdhsa_exception_fp_ieee_inexact 0
		.amdhsa_exception_int_div_zero 0
	.end_amdhsa_kernel
	.section	.text._ZN9rocsolver6v33100L16org2r_init_identIdPdEEviiiT0_iil,"axG",@progbits,_ZN9rocsolver6v33100L16org2r_init_identIdPdEEviiiT0_iil,comdat
.Lfunc_end75:
	.size	_ZN9rocsolver6v33100L16org2r_init_identIdPdEEviiiT0_iil, .Lfunc_end75-_ZN9rocsolver6v33100L16org2r_init_identIdPdEEviiiT0_iil
                                        ; -- End function
	.section	.AMDGPU.csdata,"",@progbits
; Kernel info:
; codeLenInByte = 472
; NumSgprs: 18
; NumVgprs: 8
; ScratchSize: 0
; MemoryBound: 0
; FloatMode: 240
; IeeeMode: 1
; LDSByteSize: 0 bytes/workgroup (compile time only)
; SGPRBlocks: 2
; VGPRBlocks: 0
; NumSGPRsForWavesPerEU: 18
; NumVGPRsForWavesPerEU: 8
; Occupancy: 16
; WaveLimiterHint : 0
; COMPUTE_PGM_RSRC2:SCRATCH_EN: 0
; COMPUTE_PGM_RSRC2:USER_SGPR: 13
; COMPUTE_PGM_RSRC2:TRAP_HANDLER: 0
; COMPUTE_PGM_RSRC2:TGID_X_EN: 1
; COMPUTE_PGM_RSRC2:TGID_Y_EN: 1
; COMPUTE_PGM_RSRC2:TGID_Z_EN: 1
; COMPUTE_PGM_RSRC2:TIDIG_COMP_CNT: 1
	.section	.text._ZN9rocsolver6v33100L12subtract_tauIdPdEEviiT0_iilPT_l,"axG",@progbits,_ZN9rocsolver6v33100L12subtract_tauIdPdEEviiT0_iilPT_l,comdat
	.globl	_ZN9rocsolver6v33100L12subtract_tauIdPdEEviiT0_iilPT_l ; -- Begin function _ZN9rocsolver6v33100L12subtract_tauIdPdEEviiT0_iilPT_l
	.p2align	8
	.type	_ZN9rocsolver6v33100L12subtract_tauIdPdEEviiT0_iilPT_l,@function
_ZN9rocsolver6v33100L12subtract_tauIdPdEEviiT0_iilPT_l: ; @_ZN9rocsolver6v33100L12subtract_tauIdPdEEviiT0_iilPT_l
; %bb.0:
	s_clause 0x3
	s_load_b64 s[8:9], s[0:1], 0x10
	s_load_b128 s[4:7], s[0:1], 0x18
	s_load_b64 s[10:11], s[0:1], 0x28
	s_load_b128 s[0:3], s[0:1], 0x0
	s_waitcnt lgkmcnt(0)
	s_ashr_i32 s13, s8, 31
	s_mul_i32 s5, s15, s5
	s_mul_hi_u32 s12, s15, s4
	s_mul_i32 s4, s15, s4
	s_add_i32 s5, s12, s5
	s_mov_b32 s12, s8
	s_lshl_b64 s[4:5], s[4:5], 3
	s_mul_i32 s8, s15, s11
	s_add_u32 s4, s2, s4
	s_addc_u32 s5, s3, s5
	s_lshl_b64 s[2:3], s[12:13], 3
	s_mul_hi_u32 s11, s15, s10
	s_add_u32 s12, s4, s2
	s_addc_u32 s13, s5, s3
	s_add_i32 s3, s11, s8
	s_mul_i32 s2, s15, s10
	s_mul_i32 s1, s9, s1
	s_lshl_b64 s[2:3], s[2:3], 3
	s_delay_alu instid0(SALU_CYCLE_1) | instskip(SKIP_4) | instid1(SALU_CYCLE_1)
	s_add_u32 s2, s6, s2
	s_addc_u32 s3, s7, s3
	s_add_i32 s0, s1, s0
	s_load_b64 s[4:5], s[2:3], 0x0
	s_ashr_i32 s1, s0, 31
	s_lshl_b64 s[0:1], s[0:1], 3
	s_waitcnt lgkmcnt(0)
	v_add_f64 v[0:1], -s[4:5], 1.0
	s_xor_b32 s5, s5, 0x80000000
	s_delay_alu instid0(SALU_CYCLE_1)
	v_dual_mov_b32 v4, 0 :: v_dual_mov_b32 v3, s5
	v_mov_b32_e32 v2, s4
	s_add_u32 s0, s12, s0
	s_addc_u32 s1, s13, s1
	s_clause 0x1
	global_store_b64 v4, v[2:3], s[2:3]
	global_store_b64 v4, v[0:1], s[0:1]
	s_nop 0
	s_sendmsg sendmsg(MSG_DEALLOC_VGPRS)
	s_endpgm
	.section	.rodata,"a",@progbits
	.p2align	6, 0x0
	.amdhsa_kernel _ZN9rocsolver6v33100L12subtract_tauIdPdEEviiT0_iilPT_l
		.amdhsa_group_segment_fixed_size 0
		.amdhsa_private_segment_fixed_size 0
		.amdhsa_kernarg_size 48
		.amdhsa_user_sgpr_count 15
		.amdhsa_user_sgpr_dispatch_ptr 0
		.amdhsa_user_sgpr_queue_ptr 0
		.amdhsa_user_sgpr_kernarg_segment_ptr 1
		.amdhsa_user_sgpr_dispatch_id 0
		.amdhsa_user_sgpr_private_segment_size 0
		.amdhsa_wavefront_size32 1
		.amdhsa_uses_dynamic_stack 0
		.amdhsa_enable_private_segment 0
		.amdhsa_system_sgpr_workgroup_id_x 1
		.amdhsa_system_sgpr_workgroup_id_y 0
		.amdhsa_system_sgpr_workgroup_id_z 0
		.amdhsa_system_sgpr_workgroup_info 0
		.amdhsa_system_vgpr_workitem_id 0
		.amdhsa_next_free_vgpr 5
		.amdhsa_next_free_sgpr 16
		.amdhsa_reserve_vcc 0
		.amdhsa_float_round_mode_32 0
		.amdhsa_float_round_mode_16_64 0
		.amdhsa_float_denorm_mode_32 3
		.amdhsa_float_denorm_mode_16_64 3
		.amdhsa_dx10_clamp 1
		.amdhsa_ieee_mode 1
		.amdhsa_fp16_overflow 0
		.amdhsa_workgroup_processor_mode 1
		.amdhsa_memory_ordered 1
		.amdhsa_forward_progress 0
		.amdhsa_shared_vgpr_count 0
		.amdhsa_exception_fp_ieee_invalid_op 0
		.amdhsa_exception_fp_denorm_src 0
		.amdhsa_exception_fp_ieee_div_zero 0
		.amdhsa_exception_fp_ieee_overflow 0
		.amdhsa_exception_fp_ieee_underflow 0
		.amdhsa_exception_fp_ieee_inexact 0
		.amdhsa_exception_int_div_zero 0
	.end_amdhsa_kernel
	.section	.text._ZN9rocsolver6v33100L12subtract_tauIdPdEEviiT0_iilPT_l,"axG",@progbits,_ZN9rocsolver6v33100L12subtract_tauIdPdEEviiT0_iilPT_l,comdat
.Lfunc_end76:
	.size	_ZN9rocsolver6v33100L12subtract_tauIdPdEEviiT0_iilPT_l, .Lfunc_end76-_ZN9rocsolver6v33100L12subtract_tauIdPdEEviiT0_iilPT_l
                                        ; -- End function
	.section	.AMDGPU.csdata,"",@progbits
; Kernel info:
; codeLenInByte = 220
; NumSgprs: 16
; NumVgprs: 5
; ScratchSize: 0
; MemoryBound: 0
; FloatMode: 240
; IeeeMode: 1
; LDSByteSize: 0 bytes/workgroup (compile time only)
; SGPRBlocks: 1
; VGPRBlocks: 0
; NumSGPRsForWavesPerEU: 16
; NumVGPRsForWavesPerEU: 5
; Occupancy: 16
; WaveLimiterHint : 0
; COMPUTE_PGM_RSRC2:SCRATCH_EN: 0
; COMPUTE_PGM_RSRC2:USER_SGPR: 15
; COMPUTE_PGM_RSRC2:TRAP_HANDLER: 0
; COMPUTE_PGM_RSRC2:TGID_X_EN: 1
; COMPUTE_PGM_RSRC2:TGID_Y_EN: 0
; COMPUTE_PGM_RSRC2:TGID_Z_EN: 0
; COMPUTE_PGM_RSRC2:TIDIG_COMP_CNT: 0
	.section	.text._ZN9rocsolver6v33100L6restauIdEEviPT_l,"axG",@progbits,_ZN9rocsolver6v33100L6restauIdEEviPT_l,comdat
	.globl	_ZN9rocsolver6v33100L6restauIdEEviPT_l ; -- Begin function _ZN9rocsolver6v33100L6restauIdEEviPT_l
	.p2align	8
	.type	_ZN9rocsolver6v33100L6restauIdEEviPT_l,@function
_ZN9rocsolver6v33100L6restauIdEEviPT_l: ; @_ZN9rocsolver6v33100L6restauIdEEviPT_l
; %bb.0:
	s_clause 0x1
	s_load_b32 s2, s[0:1], 0x24
	s_load_b32 s3, s[0:1], 0x0
	s_waitcnt lgkmcnt(0)
	s_and_b32 s2, s2, 0xffff
	s_delay_alu instid0(SALU_CYCLE_1) | instskip(SKIP_1) | instid1(VALU_DEP_1)
	v_mad_u64_u32 v[1:2], null, s14, s2, v[0:1]
	s_mov_b32 s2, exec_lo
	v_cmpx_gt_u32_e64 s3, v1
	s_cbranch_execz .LBB77_2
; %bb.1:
	s_load_b128 s[0:3], s[0:1], 0x8
	v_mov_b32_e32 v2, 0
	s_delay_alu instid0(VALU_DEP_1)
	v_lshlrev_b64 v[0:1], 3, v[1:2]
	s_waitcnt lgkmcnt(0)
	s_mul_i32 s3, s15, s3
	s_mul_hi_u32 s4, s15, s2
	s_mul_i32 s2, s15, s2
	s_add_i32 s3, s4, s3
	s_delay_alu instid0(SALU_CYCLE_1) | instskip(NEXT) | instid1(SALU_CYCLE_1)
	s_lshl_b64 s[2:3], s[2:3], 3
	s_add_u32 s0, s0, s2
	s_addc_u32 s1, s1, s3
	v_add_co_u32 v0, vcc_lo, s0, v0
	v_add_co_ci_u32_e32 v1, vcc_lo, s1, v1, vcc_lo
	global_load_b64 v[2:3], v[0:1], off
	s_waitcnt vmcnt(0)
	v_xor_b32_e32 v3, 0x80000000, v3
	global_store_b64 v[0:1], v[2:3], off
.LBB77_2:
	s_nop 0
	s_sendmsg sendmsg(MSG_DEALLOC_VGPRS)
	s_endpgm
	.section	.rodata,"a",@progbits
	.p2align	6, 0x0
	.amdhsa_kernel _ZN9rocsolver6v33100L6restauIdEEviPT_l
		.amdhsa_group_segment_fixed_size 0
		.amdhsa_private_segment_fixed_size 0
		.amdhsa_kernarg_size 280
		.amdhsa_user_sgpr_count 14
		.amdhsa_user_sgpr_dispatch_ptr 0
		.amdhsa_user_sgpr_queue_ptr 0
		.amdhsa_user_sgpr_kernarg_segment_ptr 1
		.amdhsa_user_sgpr_dispatch_id 0
		.amdhsa_user_sgpr_private_segment_size 0
		.amdhsa_wavefront_size32 1
		.amdhsa_uses_dynamic_stack 0
		.amdhsa_enable_private_segment 0
		.amdhsa_system_sgpr_workgroup_id_x 1
		.amdhsa_system_sgpr_workgroup_id_y 1
		.amdhsa_system_sgpr_workgroup_id_z 0
		.amdhsa_system_sgpr_workgroup_info 0
		.amdhsa_system_vgpr_workitem_id 0
		.amdhsa_next_free_vgpr 4
		.amdhsa_next_free_sgpr 16
		.amdhsa_reserve_vcc 1
		.amdhsa_float_round_mode_32 0
		.amdhsa_float_round_mode_16_64 0
		.amdhsa_float_denorm_mode_32 3
		.amdhsa_float_denorm_mode_16_64 3
		.amdhsa_dx10_clamp 1
		.amdhsa_ieee_mode 1
		.amdhsa_fp16_overflow 0
		.amdhsa_workgroup_processor_mode 1
		.amdhsa_memory_ordered 1
		.amdhsa_forward_progress 0
		.amdhsa_shared_vgpr_count 0
		.amdhsa_exception_fp_ieee_invalid_op 0
		.amdhsa_exception_fp_denorm_src 0
		.amdhsa_exception_fp_ieee_div_zero 0
		.amdhsa_exception_fp_ieee_overflow 0
		.amdhsa_exception_fp_ieee_underflow 0
		.amdhsa_exception_fp_ieee_inexact 0
		.amdhsa_exception_int_div_zero 0
	.end_amdhsa_kernel
	.section	.text._ZN9rocsolver6v33100L6restauIdEEviPT_l,"axG",@progbits,_ZN9rocsolver6v33100L6restauIdEEviPT_l,comdat
.Lfunc_end77:
	.size	_ZN9rocsolver6v33100L6restauIdEEviPT_l, .Lfunc_end77-_ZN9rocsolver6v33100L6restauIdEEviPT_l
                                        ; -- End function
	.section	.AMDGPU.csdata,"",@progbits
; Kernel info:
; codeLenInByte = 172
; NumSgprs: 18
; NumVgprs: 4
; ScratchSize: 0
; MemoryBound: 0
; FloatMode: 240
; IeeeMode: 1
; LDSByteSize: 0 bytes/workgroup (compile time only)
; SGPRBlocks: 2
; VGPRBlocks: 0
; NumSGPRsForWavesPerEU: 18
; NumVGPRsForWavesPerEU: 4
; Occupancy: 16
; WaveLimiterHint : 0
; COMPUTE_PGM_RSRC2:SCRATCH_EN: 0
; COMPUTE_PGM_RSRC2:USER_SGPR: 14
; COMPUTE_PGM_RSRC2:TRAP_HANDLER: 0
; COMPUTE_PGM_RSRC2:TGID_X_EN: 1
; COMPUTE_PGM_RSRC2:TGID_Y_EN: 1
; COMPUTE_PGM_RSRC2:TGID_Z_EN: 0
; COMPUTE_PGM_RSRC2:TIDIG_COMP_CNT: 0
	.section	.text._ZN9rocsolver6v33100L8set_zeroIdPdEEviiT0_iil13rocblas_fill_,"axG",@progbits,_ZN9rocsolver6v33100L8set_zeroIdPdEEviiT0_iil13rocblas_fill_,comdat
	.globl	_ZN9rocsolver6v33100L8set_zeroIdPdEEviiT0_iil13rocblas_fill_ ; -- Begin function _ZN9rocsolver6v33100L8set_zeroIdPdEEviiT0_iil13rocblas_fill_
	.p2align	8
	.type	_ZN9rocsolver6v33100L8set_zeroIdPdEEviiT0_iil13rocblas_fill_,@function
_ZN9rocsolver6v33100L8set_zeroIdPdEEviiT0_iil13rocblas_fill_: ; @_ZN9rocsolver6v33100L8set_zeroIdPdEEviiT0_iil13rocblas_fill_
; %bb.0:
	s_clause 0x1
	s_load_b32 s4, s[0:1], 0x34
	s_load_b64 s[2:3], s[0:1], 0x0
	v_and_b32_e32 v2, 0x3ff, v0
	v_bfe_u32 v3, v0, 10, 10
	s_waitcnt lgkmcnt(0)
	s_lshr_b32 s5, s4, 16
	s_and_b32 s4, s4, 0xffff
	s_delay_alu instid0(VALU_DEP_1) | instid1(SALU_CYCLE_1)
	v_mad_u64_u32 v[0:1], null, s13, s4, v[2:3]
	v_mad_u64_u32 v[1:2], null, s14, s5, v[3:4]
	s_delay_alu instid0(VALU_DEP_2) | instskip(NEXT) | instid1(VALU_DEP_2)
	v_cmp_gt_u32_e32 vcc_lo, s2, v0
	v_cmp_gt_u32_e64 s2, s3, v1
	s_delay_alu instid0(VALU_DEP_1) | instskip(NEXT) | instid1(SALU_CYCLE_1)
	s_and_b32 s2, vcc_lo, s2
	s_and_saveexec_b32 s3, s2
	s_cbranch_execz .LBB78_12
; %bb.1:
	s_load_b32 s3, s[0:1], 0x20
	s_waitcnt lgkmcnt(0)
	s_cmpk_lt_i32 s3, 0x7a
	s_cbranch_scc1 .LBB78_4
; %bb.2:
	s_cmpk_gt_i32 s3, 0x7a
	s_cbranch_scc0 .LBB78_5
; %bb.3:
	s_cmpk_eq_i32 s3, 0x7b
	s_cselect_b32 s2, -1, 0
	s_cbranch_execz .LBB78_6
	s_branch .LBB78_7
.LBB78_4:
	s_mov_b32 s2, 0
	s_cbranch_execnz .LBB78_8
	s_branch .LBB78_10
.LBB78_5:
	s_mov_b32 s2, 0
.LBB78_6:
	v_cmp_gt_u32_e32 vcc_lo, v1, v0
	s_and_not1_b32 s2, s2, exec_lo
	s_and_b32 s4, vcc_lo, exec_lo
	s_delay_alu instid0(SALU_CYCLE_1)
	s_or_b32 s2, s2, s4
.LBB78_7:
	s_branch .LBB78_10
.LBB78_8:
	s_cmpk_eq_i32 s3, 0x79
	s_cbranch_scc0 .LBB78_10
; %bb.9:
	v_cmp_gt_u32_e32 vcc_lo, v0, v1
	s_and_not1_b32 s2, s2, exec_lo
	s_and_b32 s3, vcc_lo, exec_lo
	s_delay_alu instid0(SALU_CYCLE_1)
	s_or_b32 s2, s2, s3
.LBB78_10:
	s_delay_alu instid0(SALU_CYCLE_1)
	s_and_b32 exec_lo, exec_lo, s2
	s_cbranch_execz .LBB78_12
; %bb.11:
	s_clause 0x1
	s_load_b128 s[4:7], s[0:1], 0x8
	s_load_b64 s[0:1], s[0:1], 0x18
	s_waitcnt lgkmcnt(0)
	v_mad_u64_u32 v[2:3], null, v1, s7, v[0:1]
	s_mul_i32 s1, s15, s1
	s_mul_hi_u32 s2, s15, s0
	v_mov_b32_e32 v3, 0
	s_mul_i32 s0, s15, s0
	s_add_i32 s1, s2, s1
	s_ashr_i32 s3, s6, 31
	s_lshl_b64 s[0:1], s[0:1], 3
	s_mov_b32 s2, s6
	v_lshlrev_b64 v[0:1], 3, v[2:3]
	s_add_u32 s4, s4, s0
	s_addc_u32 s5, s5, s1
	s_lshl_b64 s[0:1], s[2:3], 3
	v_mov_b32_e32 v2, v3
	s_add_u32 s0, s4, s0
	s_addc_u32 s1, s5, s1
	v_add_co_u32 v0, vcc_lo, s0, v0
	v_add_co_ci_u32_e32 v1, vcc_lo, s1, v1, vcc_lo
	global_store_b64 v[0:1], v[2:3], off
.LBB78_12:
	s_nop 0
	s_sendmsg sendmsg(MSG_DEALLOC_VGPRS)
	s_endpgm
	.section	.rodata,"a",@progbits
	.p2align	6, 0x0
	.amdhsa_kernel _ZN9rocsolver6v33100L8set_zeroIdPdEEviiT0_iil13rocblas_fill_
		.amdhsa_group_segment_fixed_size 0
		.amdhsa_private_segment_fixed_size 0
		.amdhsa_kernarg_size 296
		.amdhsa_user_sgpr_count 13
		.amdhsa_user_sgpr_dispatch_ptr 0
		.amdhsa_user_sgpr_queue_ptr 0
		.amdhsa_user_sgpr_kernarg_segment_ptr 1
		.amdhsa_user_sgpr_dispatch_id 0
		.amdhsa_user_sgpr_private_segment_size 0
		.amdhsa_wavefront_size32 1
		.amdhsa_uses_dynamic_stack 0
		.amdhsa_enable_private_segment 0
		.amdhsa_system_sgpr_workgroup_id_x 1
		.amdhsa_system_sgpr_workgroup_id_y 1
		.amdhsa_system_sgpr_workgroup_id_z 1
		.amdhsa_system_sgpr_workgroup_info 0
		.amdhsa_system_vgpr_workitem_id 1
		.amdhsa_next_free_vgpr 5
		.amdhsa_next_free_sgpr 16
		.amdhsa_reserve_vcc 1
		.amdhsa_float_round_mode_32 0
		.amdhsa_float_round_mode_16_64 0
		.amdhsa_float_denorm_mode_32 3
		.amdhsa_float_denorm_mode_16_64 3
		.amdhsa_dx10_clamp 1
		.amdhsa_ieee_mode 1
		.amdhsa_fp16_overflow 0
		.amdhsa_workgroup_processor_mode 1
		.amdhsa_memory_ordered 1
		.amdhsa_forward_progress 0
		.amdhsa_shared_vgpr_count 0
		.amdhsa_exception_fp_ieee_invalid_op 0
		.amdhsa_exception_fp_denorm_src 0
		.amdhsa_exception_fp_ieee_div_zero 0
		.amdhsa_exception_fp_ieee_overflow 0
		.amdhsa_exception_fp_ieee_underflow 0
		.amdhsa_exception_fp_ieee_inexact 0
		.amdhsa_exception_int_div_zero 0
	.end_amdhsa_kernel
	.section	.text._ZN9rocsolver6v33100L8set_zeroIdPdEEviiT0_iil13rocblas_fill_,"axG",@progbits,_ZN9rocsolver6v33100L8set_zeroIdPdEEviiT0_iil13rocblas_fill_,comdat
.Lfunc_end78:
	.size	_ZN9rocsolver6v33100L8set_zeroIdPdEEviiT0_iil13rocblas_fill_, .Lfunc_end78-_ZN9rocsolver6v33100L8set_zeroIdPdEEviiT0_iil13rocblas_fill_
                                        ; -- End function
	.section	.AMDGPU.csdata,"",@progbits
; Kernel info:
; codeLenInByte = 356
; NumSgprs: 18
; NumVgprs: 5
; ScratchSize: 0
; MemoryBound: 0
; FloatMode: 240
; IeeeMode: 1
; LDSByteSize: 0 bytes/workgroup (compile time only)
; SGPRBlocks: 2
; VGPRBlocks: 0
; NumSGPRsForWavesPerEU: 18
; NumVGPRsForWavesPerEU: 5
; Occupancy: 16
; WaveLimiterHint : 0
; COMPUTE_PGM_RSRC2:SCRATCH_EN: 0
; COMPUTE_PGM_RSRC2:USER_SGPR: 13
; COMPUTE_PGM_RSRC2:TRAP_HANDLER: 0
; COMPUTE_PGM_RSRC2:TGID_X_EN: 1
; COMPUTE_PGM_RSRC2:TGID_Y_EN: 1
; COMPUTE_PGM_RSRC2:TGID_Z_EN: 1
; COMPUTE_PGM_RSRC2:TIDIG_COMP_CNT: 1
	.section	.text._ZN9rocsolver6v33100L6iota_nI19rocblas_complex_numIfEEEvPT_jS4_,"axG",@progbits,_ZN9rocsolver6v33100L6iota_nI19rocblas_complex_numIfEEEvPT_jS4_,comdat
	.globl	_ZN9rocsolver6v33100L6iota_nI19rocblas_complex_numIfEEEvPT_jS4_ ; -- Begin function _ZN9rocsolver6v33100L6iota_nI19rocblas_complex_numIfEEEvPT_jS4_
	.p2align	8
	.type	_ZN9rocsolver6v33100L6iota_nI19rocblas_complex_numIfEEEvPT_jS4_,@function
_ZN9rocsolver6v33100L6iota_nI19rocblas_complex_numIfEEEvPT_jS4_: ; @_ZN9rocsolver6v33100L6iota_nI19rocblas_complex_numIfEEEvPT_jS4_
; %bb.0:
	s_load_b32 s2, s[0:1], 0x8
	s_waitcnt lgkmcnt(0)
	v_cmp_gt_u32_e32 vcc_lo, s2, v0
	s_and_saveexec_b32 s2, vcc_lo
	s_cbranch_execz .LBB79_2
; %bb.1:
	s_clause 0x1
	s_load_b64 s[2:3], s[0:1], 0xc
	s_load_b64 s[0:1], s[0:1], 0x0
	v_cvt_f32_ubyte0_e32 v1, v0
	s_waitcnt lgkmcnt(0)
	s_delay_alu instid0(VALU_DEP_1)
	v_dual_add_f32 v1, s2, v1 :: v_dual_lshlrev_b32 v0, 3, v0
	v_add_f32_e64 v2, s3, 0
	global_store_b64 v0, v[1:2], s[0:1]
.LBB79_2:
	s_nop 0
	s_sendmsg sendmsg(MSG_DEALLOC_VGPRS)
	s_endpgm
	.section	.rodata,"a",@progbits
	.p2align	6, 0x0
	.amdhsa_kernel _ZN9rocsolver6v33100L6iota_nI19rocblas_complex_numIfEEEvPT_jS4_
		.amdhsa_group_segment_fixed_size 0
		.amdhsa_private_segment_fixed_size 0
		.amdhsa_kernarg_size 20
		.amdhsa_user_sgpr_count 15
		.amdhsa_user_sgpr_dispatch_ptr 0
		.amdhsa_user_sgpr_queue_ptr 0
		.amdhsa_user_sgpr_kernarg_segment_ptr 1
		.amdhsa_user_sgpr_dispatch_id 0
		.amdhsa_user_sgpr_private_segment_size 0
		.amdhsa_wavefront_size32 1
		.amdhsa_uses_dynamic_stack 0
		.amdhsa_enable_private_segment 0
		.amdhsa_system_sgpr_workgroup_id_x 1
		.amdhsa_system_sgpr_workgroup_id_y 0
		.amdhsa_system_sgpr_workgroup_id_z 0
		.amdhsa_system_sgpr_workgroup_info 0
		.amdhsa_system_vgpr_workitem_id 0
		.amdhsa_next_free_vgpr 3
		.amdhsa_next_free_sgpr 4
		.amdhsa_reserve_vcc 1
		.amdhsa_float_round_mode_32 0
		.amdhsa_float_round_mode_16_64 0
		.amdhsa_float_denorm_mode_32 3
		.amdhsa_float_denorm_mode_16_64 3
		.amdhsa_dx10_clamp 1
		.amdhsa_ieee_mode 1
		.amdhsa_fp16_overflow 0
		.amdhsa_workgroup_processor_mode 1
		.amdhsa_memory_ordered 1
		.amdhsa_forward_progress 0
		.amdhsa_shared_vgpr_count 0
		.amdhsa_exception_fp_ieee_invalid_op 0
		.amdhsa_exception_fp_denorm_src 0
		.amdhsa_exception_fp_ieee_div_zero 0
		.amdhsa_exception_fp_ieee_overflow 0
		.amdhsa_exception_fp_ieee_underflow 0
		.amdhsa_exception_fp_ieee_inexact 0
		.amdhsa_exception_int_div_zero 0
	.end_amdhsa_kernel
	.section	.text._ZN9rocsolver6v33100L6iota_nI19rocblas_complex_numIfEEEvPT_jS4_,"axG",@progbits,_ZN9rocsolver6v33100L6iota_nI19rocblas_complex_numIfEEEvPT_jS4_,comdat
.Lfunc_end79:
	.size	_ZN9rocsolver6v33100L6iota_nI19rocblas_complex_numIfEEEvPT_jS4_, .Lfunc_end79-_ZN9rocsolver6v33100L6iota_nI19rocblas_complex_numIfEEEvPT_jS4_
                                        ; -- End function
	.section	.AMDGPU.csdata,"",@progbits
; Kernel info:
; codeLenInByte = 92
; NumSgprs: 6
; NumVgprs: 3
; ScratchSize: 0
; MemoryBound: 0
; FloatMode: 240
; IeeeMode: 1
; LDSByteSize: 0 bytes/workgroup (compile time only)
; SGPRBlocks: 0
; VGPRBlocks: 0
; NumSGPRsForWavesPerEU: 6
; NumVGPRsForWavesPerEU: 3
; Occupancy: 16
; WaveLimiterHint : 0
; COMPUTE_PGM_RSRC2:SCRATCH_EN: 0
; COMPUTE_PGM_RSRC2:USER_SGPR: 15
; COMPUTE_PGM_RSRC2:TRAP_HANDLER: 0
; COMPUTE_PGM_RSRC2:TGID_X_EN: 1
; COMPUTE_PGM_RSRC2:TGID_Y_EN: 0
; COMPUTE_PGM_RSRC2:TGID_Z_EN: 0
; COMPUTE_PGM_RSRC2:TIDIG_COMP_CNT: 0
	.section	.text._ZN9rocsolver6v33100L16syev_scalar_caseI19rocblas_complex_numIfEfPS3_TnNSt9enable_ifIX18rocblas_is_complexIT_EEiE4typeELi0EEEv14rocblas_evect_T1_lPT0_li,"axG",@progbits,_ZN9rocsolver6v33100L16syev_scalar_caseI19rocblas_complex_numIfEfPS3_TnNSt9enable_ifIX18rocblas_is_complexIT_EEiE4typeELi0EEEv14rocblas_evect_T1_lPT0_li,comdat
	.globl	_ZN9rocsolver6v33100L16syev_scalar_caseI19rocblas_complex_numIfEfPS3_TnNSt9enable_ifIX18rocblas_is_complexIT_EEiE4typeELi0EEEv14rocblas_evect_T1_lPT0_li ; -- Begin function _ZN9rocsolver6v33100L16syev_scalar_caseI19rocblas_complex_numIfEfPS3_TnNSt9enable_ifIX18rocblas_is_complexIT_EEiE4typeELi0EEEv14rocblas_evect_T1_lPT0_li
	.p2align	8
	.type	_ZN9rocsolver6v33100L16syev_scalar_caseI19rocblas_complex_numIfEfPS3_TnNSt9enable_ifIX18rocblas_is_complexIT_EEiE4typeELi0EEEv14rocblas_evect_T1_lPT0_li,@function
_ZN9rocsolver6v33100L16syev_scalar_caseI19rocblas_complex_numIfEfPS3_TnNSt9enable_ifIX18rocblas_is_complexIT_EEiE4typeELi0EEEv14rocblas_evect_T1_lPT0_li: ; @_ZN9rocsolver6v33100L16syev_scalar_caseI19rocblas_complex_numIfEfPS3_TnNSt9enable_ifIX18rocblas_is_complexIT_EEiE4typeELi0EEEv14rocblas_evect_T1_lPT0_li
; %bb.0:
	s_clause 0x1
	s_load_b32 s2, s[0:1], 0x3c
	s_load_b32 s3, s[0:1], 0x28
	s_waitcnt lgkmcnt(0)
	s_and_b32 s2, s2, 0xffff
	s_delay_alu instid0(SALU_CYCLE_1) | instskip(SKIP_1) | instid1(VALU_DEP_1)
	v_mad_u64_u32 v[1:2], null, s15, s2, v[0:1]
	s_mov_b32 s2, exec_lo
	v_cmpx_gt_i32_e64 s3, v1
	s_cbranch_execz .LBB80_3
; %bb.1:
	s_load_b256 s[4:11], s[0:1], 0x8
	v_ashrrev_i32_e32 v0, 31, v1
	s_load_b32 s0, s[0:1], 0x0
	s_waitcnt lgkmcnt(0)
	v_mul_lo_u32 v4, v1, s7
	s_delay_alu instid0(VALU_DEP_2) | instskip(SKIP_4) | instid1(VALU_DEP_3)
	v_mul_lo_u32 v5, v0, s6
	v_mad_u64_u32 v[2:3], null, v1, s6, 0
	v_mul_lo_u32 v7, v1, s11
	v_mul_lo_u32 v0, v0, s10
	s_cmpk_lg_i32 s0, 0xd3
	v_add3_u32 v3, v3, v4, v5
	v_mad_u64_u32 v[4:5], null, v1, s10, 0
	s_delay_alu instid0(VALU_DEP_2) | instskip(NEXT) | instid1(VALU_DEP_2)
	v_lshlrev_b64 v[2:3], 3, v[2:3]
	v_add3_u32 v5, v5, v7, v0
	s_delay_alu instid0(VALU_DEP_2) | instskip(NEXT) | instid1(VALU_DEP_3)
	v_add_co_u32 v2, vcc_lo, s4, v2
	v_add_co_ci_u32_e32 v3, vcc_lo, s5, v3, vcc_lo
	s_delay_alu instid0(VALU_DEP_3)
	v_lshlrev_b64 v[0:1], 2, v[4:5]
	global_load_b32 v6, v[2:3], off
	v_add_co_u32 v0, vcc_lo, s8, v0
	v_add_co_ci_u32_e32 v1, vcc_lo, s9, v1, vcc_lo
	s_waitcnt vmcnt(0)
	global_store_b32 v[0:1], v6, off
	s_cbranch_scc1 .LBB80_3
; %bb.2:
	v_dual_mov_b32 v0, 1.0 :: v_dual_mov_b32 v1, 0
	global_store_b64 v[2:3], v[0:1], off
.LBB80_3:
	s_nop 0
	s_sendmsg sendmsg(MSG_DEALLOC_VGPRS)
	s_endpgm
	.section	.rodata,"a",@progbits
	.p2align	6, 0x0
	.amdhsa_kernel _ZN9rocsolver6v33100L16syev_scalar_caseI19rocblas_complex_numIfEfPS3_TnNSt9enable_ifIX18rocblas_is_complexIT_EEiE4typeELi0EEEv14rocblas_evect_T1_lPT0_li
		.amdhsa_group_segment_fixed_size 0
		.amdhsa_private_segment_fixed_size 0
		.amdhsa_kernarg_size 304
		.amdhsa_user_sgpr_count 15
		.amdhsa_user_sgpr_dispatch_ptr 0
		.amdhsa_user_sgpr_queue_ptr 0
		.amdhsa_user_sgpr_kernarg_segment_ptr 1
		.amdhsa_user_sgpr_dispatch_id 0
		.amdhsa_user_sgpr_private_segment_size 0
		.amdhsa_wavefront_size32 1
		.amdhsa_uses_dynamic_stack 0
		.amdhsa_enable_private_segment 0
		.amdhsa_system_sgpr_workgroup_id_x 1
		.amdhsa_system_sgpr_workgroup_id_y 0
		.amdhsa_system_sgpr_workgroup_id_z 0
		.amdhsa_system_sgpr_workgroup_info 0
		.amdhsa_system_vgpr_workitem_id 0
		.amdhsa_next_free_vgpr 8
		.amdhsa_next_free_sgpr 16
		.amdhsa_reserve_vcc 1
		.amdhsa_float_round_mode_32 0
		.amdhsa_float_round_mode_16_64 0
		.amdhsa_float_denorm_mode_32 3
		.amdhsa_float_denorm_mode_16_64 3
		.amdhsa_dx10_clamp 1
		.amdhsa_ieee_mode 1
		.amdhsa_fp16_overflow 0
		.amdhsa_workgroup_processor_mode 1
		.amdhsa_memory_ordered 1
		.amdhsa_forward_progress 0
		.amdhsa_shared_vgpr_count 0
		.amdhsa_exception_fp_ieee_invalid_op 0
		.amdhsa_exception_fp_denorm_src 0
		.amdhsa_exception_fp_ieee_div_zero 0
		.amdhsa_exception_fp_ieee_overflow 0
		.amdhsa_exception_fp_ieee_underflow 0
		.amdhsa_exception_fp_ieee_inexact 0
		.amdhsa_exception_int_div_zero 0
	.end_amdhsa_kernel
	.section	.text._ZN9rocsolver6v33100L16syev_scalar_caseI19rocblas_complex_numIfEfPS3_TnNSt9enable_ifIX18rocblas_is_complexIT_EEiE4typeELi0EEEv14rocblas_evect_T1_lPT0_li,"axG",@progbits,_ZN9rocsolver6v33100L16syev_scalar_caseI19rocblas_complex_numIfEfPS3_TnNSt9enable_ifIX18rocblas_is_complexIT_EEiE4typeELi0EEEv14rocblas_evect_T1_lPT0_li,comdat
.Lfunc_end80:
	.size	_ZN9rocsolver6v33100L16syev_scalar_caseI19rocblas_complex_numIfEfPS3_TnNSt9enable_ifIX18rocblas_is_complexIT_EEiE4typeELi0EEEv14rocblas_evect_T1_lPT0_li, .Lfunc_end80-_ZN9rocsolver6v33100L16syev_scalar_caseI19rocblas_complex_numIfEfPS3_TnNSt9enable_ifIX18rocblas_is_complexIT_EEiE4typeELi0EEEv14rocblas_evect_T1_lPT0_li
                                        ; -- End function
	.section	.AMDGPU.csdata,"",@progbits
; Kernel info:
; codeLenInByte = 260
; NumSgprs: 18
; NumVgprs: 8
; ScratchSize: 0
; MemoryBound: 0
; FloatMode: 240
; IeeeMode: 1
; LDSByteSize: 0 bytes/workgroup (compile time only)
; SGPRBlocks: 2
; VGPRBlocks: 0
; NumSGPRsForWavesPerEU: 18
; NumVGPRsForWavesPerEU: 8
; Occupancy: 16
; WaveLimiterHint : 0
; COMPUTE_PGM_RSRC2:SCRATCH_EN: 0
; COMPUTE_PGM_RSRC2:USER_SGPR: 15
; COMPUTE_PGM_RSRC2:TRAP_HANDLER: 0
; COMPUTE_PGM_RSRC2:TGID_X_EN: 1
; COMPUTE_PGM_RSRC2:TGID_Y_EN: 0
; COMPUTE_PGM_RSRC2:TGID_Z_EN: 0
; COMPUTE_PGM_RSRC2:TIDIG_COMP_CNT: 0
	.section	.text._ZN9rocsolver6v33100L18syevj_small_kernelI19rocblas_complex_numIfEfPS3_EEv14rocblas_esort_14rocblas_evect_13rocblas_fill_iT1_iilT0_S9_PS9_iPiSA_lSB_PT_,"axG",@progbits,_ZN9rocsolver6v33100L18syevj_small_kernelI19rocblas_complex_numIfEfPS3_EEv14rocblas_esort_14rocblas_evect_13rocblas_fill_iT1_iilT0_S9_PS9_iPiSA_lSB_PT_,comdat
	.globl	_ZN9rocsolver6v33100L18syevj_small_kernelI19rocblas_complex_numIfEfPS3_EEv14rocblas_esort_14rocblas_evect_13rocblas_fill_iT1_iilT0_S9_PS9_iPiSA_lSB_PT_ ; -- Begin function _ZN9rocsolver6v33100L18syevj_small_kernelI19rocblas_complex_numIfEfPS3_EEv14rocblas_esort_14rocblas_evect_13rocblas_fill_iT1_iilT0_S9_PS9_iPiSA_lSB_PT_
	.p2align	8
	.type	_ZN9rocsolver6v33100L18syevj_small_kernelI19rocblas_complex_numIfEfPS3_EEv14rocblas_esort_14rocblas_evect_13rocblas_fill_iT1_iilT0_S9_PS9_iPiSA_lSB_PT_,@function
_ZN9rocsolver6v33100L18syevj_small_kernelI19rocblas_complex_numIfEfPS3_EEv14rocblas_esort_14rocblas_evect_13rocblas_fill_iT1_iilT0_S9_PS9_iPiSA_lSB_PT_: ; @_ZN9rocsolver6v33100L18syevj_small_kernelI19rocblas_complex_numIfEfPS3_EEv14rocblas_esort_14rocblas_evect_13rocblas_fill_iT1_iilT0_S9_PS9_iPiSA_lSB_PT_
; %bb.0:
	s_mov_b32 s36, s15
	s_clause 0x2
	s_load_b256 s[12:19], s[0:1], 0x0
	s_load_b64 s[2:3], s[0:1], 0x20
	s_load_b64 s[6:7], s[0:1], 0x60
	s_ashr_i32 s37, s36, 31
	s_load_b256 s[20:27], s[0:1], 0x40
	s_waitcnt lgkmcnt(0)
	s_lshr_b32 s4, s15, 31
	s_mul_i32 s3, s36, s3
	s_add_i32 s4, s15, s4
	s_mul_hi_u32 s5, s36, s2
	s_and_b32 s4, s4, -2
	s_mul_i32 s10, s37, s2
	s_sub_i32 s44, s15, s4
	s_add_i32 s3, s5, s3
	s_add_i32 s44, s44, s15
	s_mul_i32 s2, s36, s2
	s_lshr_b32 s4, s44, 31
	s_add_i32 s3, s3, s10
	s_add_i32 s10, s44, s4
	s_lshl_b64 s[4:5], s[2:3], 3
	s_ashr_i32 s9, s18, 31
	s_mov_b32 s8, s18
	s_ashr_i32 s28, s10, 1
	s_mul_i32 s11, s36, s15
	s_add_u32 s3, s16, s4
	s_addc_u32 s18, s17, s5
	s_lshl_b64 s[38:39], s[8:9], 3
	s_mul_i32 s2, s11, s15
	s_add_u32 s10, s3, s38
	s_addc_u32 s11, s18, s39
	s_ashr_i32 s3, s2, 31
	s_delay_alu instid0(SALU_CYCLE_1) | instskip(NEXT) | instid1(SALU_CYCLE_1)
	s_lshl_b64 s[8:9], s[2:3], 3
	s_add_u32 s30, s6, s8
	s_addc_u32 s31, s7, s9
	s_min_i32 s33, s28, 0x100
	s_delay_alu instid0(SALU_CYCLE_1) | instskip(SKIP_3) | instid1(VALU_DEP_1)
	s_abs_i32 s2, s33
	s_ashr_i32 s45, s33, 31
	v_cvt_f32_u32_e32 v1, s2
	s_sub_i32 s18, 0, s2
	v_rcp_iflag_f32_e32 v1, v1
	s_waitcnt_depctr 0xfff
	v_mul_f32_e32 v1, 0x4f7ffffe, v1
	s_delay_alu instid0(VALU_DEP_1) | instskip(NEXT) | instid1(VALU_DEP_1)
	v_cvt_u32_f32_e32 v1, v1
	v_readfirstlane_b32 s3, v1
	s_delay_alu instid0(VALU_DEP_1) | instskip(NEXT) | instid1(SALU_CYCLE_1)
	s_mul_i32 s18, s18, s3
	s_mul_hi_u32 s18, s3, s18
	s_delay_alu instid0(SALU_CYCLE_1) | instskip(NEXT) | instid1(SALU_CYCLE_1)
	s_add_i32 s3, s3, s18
	v_mul_hi_u32 v1, v0, s3
	s_lshr_b32 s3, s3, 22
	s_delay_alu instid0(SALU_CYCLE_1) | instskip(SKIP_2) | instid1(SALU_CYCLE_1)
	s_mul_i32 s18, s3, s2
	s_add_i32 s29, s3, 1
	s_sub_i32 s18, 0x400, s18
	s_sub_i32 s34, s18, s2
	s_delay_alu instid0(VALU_DEP_1)
	v_mul_lo_u32 v2, v1, s2
	v_add_nc_u32_e32 v3, 1, v1
	s_cmp_ge_u32 s18, s2
	s_cselect_b32 s3, s29, s3
	s_cselect_b32 s18, s34, s18
	s_add_i32 s29, s3, 1
	s_cmp_ge_u32 s18, s2
	s_delay_alu instid0(VALU_DEP_2) | instskip(NEXT) | instid1(VALU_DEP_1)
	v_sub_nc_u32_e32 v2, v0, v2
	v_subrev_nc_u32_e32 v4, s2, v2
	v_cmp_le_u32_e32 vcc_lo, s2, v2
	s_delay_alu instid0(VALU_DEP_2) | instskip(NEXT) | instid1(VALU_DEP_1)
	v_dual_cndmask_b32 v2, v2, v4 :: v_dual_cndmask_b32 v1, v1, v3
	v_cmp_le_u32_e32 vcc_lo, s2, v2
	s_delay_alu instid0(VALU_DEP_2) | instskip(SKIP_1) | instid1(SALU_CYCLE_1)
	v_add_nc_u32_e32 v3, 1, v1
	s_cselect_b32 s2, s29, s3
	s_xor_b32 s2, s2, s45
	s_delay_alu instid0(VALU_DEP_1) | instskip(SKIP_1) | instid1(SALU_CYCLE_1)
	v_cndmask_b32_e32 v1, v1, v3, vcc_lo
	s_sub_i32 s34, s2, s45
	s_min_i32 s18, s28, s34
	s_delay_alu instid0(VALU_DEP_1) | instskip(SKIP_1) | instid1(SALU_CYCLE_1)
	v_xor_b32_e32 v3, s45, v1
	s_lshl_b32 s46, s18, 2
	s_add_i32 s47, s46, 0
	s_delay_alu instid0(VALU_DEP_1) | instskip(NEXT) | instid1(VALU_DEP_1)
	v_subrev_nc_u32_e32 v1, s45, v3
	v_mul_lo_u32 v22, v1, s33
	s_delay_alu instid0(VALU_DEP_1) | instskip(NEXT) | instid1(VALU_DEP_1)
	v_sub_nc_u32_e32 v23, v0, v22
	v_cmp_eq_u32_e64 s2, 0, v23
	s_delay_alu instid0(VALU_DEP_1)
	s_and_saveexec_b32 s48, s2
	s_cbranch_execz .LBB81_32
; %bb.1:
	v_cmp_gt_i32_e64 s3, s15, v1
	s_cmpk_eq_i32 s14, 0x79
	s_cbranch_scc1 .LBB81_13
; %bb.2:
	v_dual_mov_b32 v24, 0 :: v_dual_mov_b32 v25, 0
	s_mov_b32 s14, 0
	s_and_saveexec_b32 s49, s3
	s_cbranch_execz .LBB81_15
; %bb.3:
	v_ashrrev_i32_e32 v2, 31, v1
	s_cmpk_lg_i32 s13, 0xd5
	v_dual_mov_b32 v11, 0 :: v_dual_mov_b32 v10, 1.0
	s_cselect_b32 s50, -1, 0
	s_add_u32 s29, s6, s8
	s_addc_u32 s35, s7, s9
	s_add_u32 s52, s29, 4
	v_lshlrev_b64 v[8:9], 3, v[1:2]
	s_addc_u32 s53, s35, 0
	s_add_u32 s4, s4, s38
	s_addc_u32 s5, s5, s39
	s_add_u32 s4, s16, s4
	s_addc_u32 s5, s17, s5
	v_add_co_u32 v2, vcc_lo, s4, v8
	s_ashr_i32 s29, s28, 31
	s_ashr_i32 s35, s34, 31
	v_add_co_ci_u32_e32 v5, vcc_lo, s5, v9, vcc_lo
	v_cmp_lt_i64_e64 s4, s[28:29], s[34:35]
	v_add_co_u32 v6, vcc_lo, v2, 4
	v_mul_lo_u32 v26, s19, v1
	v_mul_lo_u32 v4, s15, v1
	v_add_co_ci_u32_e32 v7, vcc_lo, 0, v5, vcc_lo
	v_add_co_u32 v8, vcc_lo, s52, v8
	s_and_b32 s4, s4, exec_lo
	v_add_co_ci_u32_e32 v9, vcc_lo, s53, v9, vcc_lo
	v_dual_mov_b32 v2, v1 :: v_dual_mov_b32 v25, v11
	v_mov_b32_e32 v24, v11
	s_cselect_b32 s17, s29, s35
	s_cselect_b32 s16, s28, s34
	s_ashr_i32 s39, s19, 31
	s_mov_b32 s38, s19
	s_ashr_i32 s41, s15, 31
	s_mov_b32 s40, s15
	s_mul_i32 s51, s19, s18
	s_mul_i32 s5, s15, s18
	s_lshl_b64 s[16:17], s[16:17], 3
	s_lshl_b64 s[38:39], s[38:39], 3
	;; [unrolled: 1-line block ×3, first 2 shown]
	s_mov_b32 s42, 0
	s_mov_b32 s29, 0
	s_branch .LBB81_6
.LBB81_4:                               ;   in Loop: Header=BB81_6 Depth=1
	s_set_inst_prefetch_distance 0x2
	s_or_b32 exec_lo, exec_lo, s54
.LBB81_5:                               ;   in Loop: Header=BB81_6 Depth=1
	s_delay_alu instid0(SALU_CYCLE_1) | instskip(SKIP_3) | instid1(VALU_DEP_3)
	s_or_b32 exec_lo, exec_lo, s35
	v_dual_mul_f32 v5, v13, v13 :: v_dual_add_nc_u32 v2, s18, v2
	v_add_nc_u32_e32 v26, s51, v26
	v_add_co_u32 v6, vcc_lo, v6, s16
	v_fmac_f32_e32 v5, v12, v12
	v_add_co_ci_u32_e32 v7, vcc_lo, s17, v7, vcc_lo
	v_cmp_le_i32_e32 vcc_lo, s15, v2
	v_add_co_u32 v8, s4, v8, s16
	s_delay_alu instid0(VALU_DEP_4) | instskip(SKIP_2) | instid1(SALU_CYCLE_1)
	v_dual_add_f32 v25, v25, v5 :: v_dual_add_nc_u32 v4, s5, v4
	v_add_co_ci_u32_e64 v9, s4, s17, v9, s4
	s_or_b32 s29, vcc_lo, s29
	s_and_not1_b32 exec_lo, exec_lo, s29
	s_cbranch_execz .LBB81_14
.LBB81_6:                               ; =>This Loop Header: Depth=1
                                        ;     Child Loop BB81_11 Depth 2
	v_mad_u64_u32 v[12:13], null, v2, s19, v[2:3]
	v_mad_u64_u32 v[16:17], null, v2, s15, v[2:3]
	s_delay_alu instid0(VALU_DEP_2) | instskip(NEXT) | instid1(VALU_DEP_2)
	v_ashrrev_i32_e32 v13, 31, v12
	v_ashrrev_i32_e32 v17, 31, v16
	s_delay_alu instid0(VALU_DEP_2) | instskip(NEXT) | instid1(VALU_DEP_2)
	v_lshlrev_b64 v[12:13], 3, v[12:13]
	v_lshlrev_b64 v[16:17], 3, v[16:17]
	s_delay_alu instid0(VALU_DEP_2) | instskip(NEXT) | instid1(VALU_DEP_3)
	v_add_co_u32 v14, vcc_lo, s10, v12
	v_add_co_ci_u32_e32 v15, vcc_lo, s11, v13, vcc_lo
	s_delay_alu instid0(VALU_DEP_3) | instskip(NEXT) | instid1(VALU_DEP_4)
	v_add_co_u32 v16, vcc_lo, s30, v16
	v_add_co_ci_u32_e32 v17, vcc_lo, s31, v17, vcc_lo
	global_load_b64 v[12:13], v[14:15], off
	s_and_not1_b32 vcc_lo, exec_lo, s50
	s_waitcnt vmcnt(0)
	global_store_b64 v[16:17], v[12:13], off
	s_cbranch_vccnz .LBB81_8
; %bb.7:                                ;   in Loop: Header=BB81_6 Depth=1
	global_store_b64 v[14:15], v[10:11], off
.LBB81_8:                               ;   in Loop: Header=BB81_6 Depth=1
	s_mov_b32 s35, exec_lo
	v_cmpx_lt_i32_e32 0, v2
	s_cbranch_execz .LBB81_5
; %bb.9:                                ;   in Loop: Header=BB81_6 Depth=1
	v_ashrrev_i32_e32 v5, 31, v4
	v_dual_mov_b32 v15, v9 :: v_dual_mov_b32 v14, v8
	v_dual_mov_b32 v19, v7 :: v_dual_mov_b32 v18, v6
	s_delay_alu instid0(VALU_DEP_3) | instskip(SKIP_2) | instid1(VALU_DEP_1)
	v_lshlrev_b64 v[16:17], 3, v[4:5]
	s_mov_b32 s54, 0
	s_mov_b32 s55, 0
	v_add_co_u32 v16, vcc_lo, s52, v16
	s_delay_alu instid0(VALU_DEP_2)
	v_add_co_ci_u32_e32 v17, vcc_lo, s53, v17, vcc_lo
	s_set_inst_prefetch_distance 0x1
	s_branch .LBB81_11
	.p2align	6
.LBB81_10:                              ;   in Loop: Header=BB81_11 Depth=2
	v_mul_f32_e32 v5, v21, v21
	v_add_co_u32 v16, vcc_lo, v16, 8
	v_add_co_ci_u32_e32 v17, vcc_lo, 0, v17, vcc_lo
	s_delay_alu instid0(VALU_DEP_3)
	v_fmac_f32_e32 v5, v20, v20
	v_add_co_u32 v18, vcc_lo, v18, s38
	s_add_i32 s55, s55, 1
	v_add_co_ci_u32_e32 v19, vcc_lo, s39, v19, vcc_lo
	v_cmp_ge_i32_e32 vcc_lo, s55, v2
	v_add_co_u32 v14, s4, v14, s40
	v_fmac_f32_e32 v24, 2.0, v5
	v_add_co_ci_u32_e64 v15, s4, s41, v15, s4
	s_or_b32 s54, vcc_lo, s54
	s_delay_alu instid0(SALU_CYCLE_1)
	s_and_not1_b32 exec_lo, exec_lo, s54
	s_cbranch_execz .LBB81_4
.LBB81_11:                              ;   Parent Loop BB81_6 Depth=1
                                        ; =>  This Inner Loop Header: Depth=2
	global_load_b64 v[20:21], v[18:19], off offset:-4
	s_and_not1_b32 vcc_lo, exec_lo, s50
	s_waitcnt vmcnt(0)
	v_xor_b32_e32 v28, 0x80000000, v21
	v_mov_b32_e32 v27, v20
	global_store_b64 v[14:15], v[20:21], off offset:-4
	global_store_b64 v[16:17], v[27:28], off offset:-4
	s_cbranch_vccnz .LBB81_10
; %bb.12:                               ;   in Loop: Header=BB81_11 Depth=2
	s_mov_b32 s43, s42
	v_add_nc_u32_e32 v27, s55, v26
	v_dual_mov_b32 v29, s42 :: v_dual_mov_b32 v30, s43
	s_delay_alu instid0(VALU_DEP_2) | instskip(NEXT) | instid1(VALU_DEP_1)
	v_ashrrev_i32_e32 v28, 31, v27
	v_lshlrev_b64 v[27:28], 3, v[27:28]
	s_delay_alu instid0(VALU_DEP_1) | instskip(NEXT) | instid1(VALU_DEP_2)
	v_add_co_u32 v27, vcc_lo, s10, v27
	v_add_co_ci_u32_e32 v28, vcc_lo, s11, v28, vcc_lo
	global_store_b64 v[18:19], v[29:30], off offset:-4
	global_store_b64 v[27:28], v[29:30], off
	s_branch .LBB81_10
.LBB81_13:
                                        ; implicit-def: $vgpr24
                                        ; implicit-def: $vgpr25
	s_branch .LBB81_16
.LBB81_14:
	s_or_b32 exec_lo, exec_lo, s29
.LBB81_15:
	s_delay_alu instid0(SALU_CYCLE_1) | instskip(NEXT) | instid1(SALU_CYCLE_1)
	s_or_b32 exec_lo, exec_lo, s49
	s_and_not1_b32 vcc_lo, exec_lo, s14
	s_cbranch_vccnz .LBB81_29
.LBB81_16:
	v_dual_mov_b32 v24, 0 :: v_dual_mov_b32 v25, 0
	s_mov_b32 s4, 0
	s_and_saveexec_b32 s16, s3
	s_cbranch_execz .LBB81_28
; %bb.17:
	s_cmpk_lg_i32 s13, 0xd5
	v_mul_lo_u32 v20, s19, v1
	s_cselect_b32 s3, -1, 0
	s_add_i32 s14, s15, -1
	s_add_u32 s5, s6, s8
	v_mad_u64_u32 v[6:7], null, s15, s14, v[3:4]
	v_mad_u64_u32 v[8:9], null, s19, s14, v[3:4]
	v_mov_b32_e32 v7, 0
	v_mad_u64_u32 v[4:5], null, s15, v1, s[14:15]
	s_addc_u32 s35, s7, s9
	s_delay_alu instid0(VALU_DEP_4)
	v_subrev_nc_u32_e32 v21, s45, v6
	v_mov_b32_e32 v6, 1.0
	v_subrev_nc_u32_e32 v26, s45, v8
	v_dual_mov_b32 v2, v1 :: v_dual_mov_b32 v25, v7
	v_mov_b32_e32 v24, v7
	s_add_u32 s29, s5, 4
	s_mul_i32 s17, s19, s18
	s_addc_u32 s35, s35, 0
	s_mul_i32 s39, s15, s18
	s_mov_b32 s38, 0
	s_branch .LBB81_20
.LBB81_18:                              ;   in Loop: Header=BB81_20 Depth=1
	s_or_b32 exec_lo, exec_lo, s41
.LBB81_19:                              ;   in Loop: Header=BB81_20 Depth=1
	s_delay_alu instid0(SALU_CYCLE_1) | instskip(SKIP_3) | instid1(VALU_DEP_3)
	s_or_b32 exec_lo, exec_lo, s40
	v_dual_mul_f32 v5, v9, v9 :: v_dual_add_nc_u32 v2, s18, v2
	v_add_nc_u32_e32 v4, s39, v4
	v_add_nc_u32_e32 v21, s18, v21
	v_dual_fmac_f32 v5, v8, v8 :: v_dual_add_nc_u32 v26, s18, v26
	s_delay_alu instid0(VALU_DEP_4) | instskip(NEXT) | instid1(VALU_DEP_2)
	v_cmp_le_i32_e32 vcc_lo, s15, v2
	v_dual_add_f32 v25, v25, v5 :: v_dual_add_nc_u32 v20, s17, v20
	s_or_b32 s38, vcc_lo, s38
	s_delay_alu instid0(SALU_CYCLE_1)
	s_and_not1_b32 exec_lo, exec_lo, s38
	s_cbranch_execz .LBB81_27
.LBB81_20:                              ; =>This Loop Header: Depth=1
                                        ;     Child Loop BB81_25 Depth 2
	v_mad_u64_u32 v[8:9], null, v2, s19, v[2:3]
	v_mad_u64_u32 v[12:13], null, v2, s15, v[2:3]
	s_delay_alu instid0(VALU_DEP_2) | instskip(NEXT) | instid1(VALU_DEP_2)
	v_ashrrev_i32_e32 v9, 31, v8
	v_ashrrev_i32_e32 v13, 31, v12
	s_delay_alu instid0(VALU_DEP_2) | instskip(NEXT) | instid1(VALU_DEP_2)
	v_lshlrev_b64 v[8:9], 3, v[8:9]
	v_lshlrev_b64 v[12:13], 3, v[12:13]
	s_delay_alu instid0(VALU_DEP_2) | instskip(NEXT) | instid1(VALU_DEP_3)
	v_add_co_u32 v10, vcc_lo, s10, v8
	v_add_co_ci_u32_e32 v11, vcc_lo, s11, v9, vcc_lo
	s_delay_alu instid0(VALU_DEP_3) | instskip(NEXT) | instid1(VALU_DEP_4)
	v_add_co_u32 v12, vcc_lo, s30, v12
	v_add_co_ci_u32_e32 v13, vcc_lo, s31, v13, vcc_lo
	global_load_b64 v[8:9], v[10:11], off
	s_and_not1_b32 vcc_lo, exec_lo, s3
	s_waitcnt vmcnt(0)
	global_store_b64 v[12:13], v[8:9], off
	s_cbranch_vccnz .LBB81_22
; %bb.21:                               ;   in Loop: Header=BB81_20 Depth=1
	global_store_b64 v[10:11], v[6:7], off
.LBB81_22:                              ;   in Loop: Header=BB81_20 Depth=1
	s_mov_b32 s40, exec_lo
	v_cmpx_gt_i32_e64 s14, v2
	s_cbranch_execz .LBB81_19
; %bb.23:                               ;   in Loop: Header=BB81_20 Depth=1
	v_ashrrev_i32_e32 v5, 31, v4
	v_mov_b32_e32 v10, v26
	v_mov_b32_e32 v14, v21
	s_mov_b32 s41, 0
	s_mov_b32 s42, s14
	v_lshlrev_b64 v[12:13], 3, v[4:5]
	s_delay_alu instid0(VALU_DEP_1) | instskip(NEXT) | instid1(VALU_DEP_2)
	v_add_co_u32 v12, vcc_lo, s29, v12
	v_add_co_ci_u32_e32 v13, vcc_lo, s35, v13, vcc_lo
	s_branch .LBB81_25
.LBB81_24:                              ;   in Loop: Header=BB81_25 Depth=2
	v_mul_f32_e32 v5, v17, v17
	v_add_co_u32 v12, vcc_lo, v12, -8
	s_add_i32 s42, s42, -1
	v_add_co_ci_u32_e32 v13, vcc_lo, -1, v13, vcc_lo
	s_delay_alu instid0(VALU_DEP_3) | instskip(SKIP_3) | instid1(VALU_DEP_4)
	v_fmac_f32_e32 v5, v16, v16
	v_cmp_le_i32_e32 vcc_lo, s42, v2
	v_subrev_nc_u32_e32 v14, s15, v14
	v_subrev_nc_u32_e32 v10, s19, v10
	v_fmac_f32_e32 v24, 2.0, v5
	s_or_b32 s41, vcc_lo, s41
	s_delay_alu instid0(SALU_CYCLE_1)
	s_and_not1_b32 exec_lo, exec_lo, s41
	s_cbranch_execz .LBB81_18
.LBB81_25:                              ;   Parent Loop BB81_20 Depth=1
                                        ; =>  This Inner Loop Header: Depth=2
	v_ashrrev_i32_e32 v11, 31, v10
	s_delay_alu instid0(VALU_DEP_1) | instskip(NEXT) | instid1(VALU_DEP_1)
	v_lshlrev_b64 v[15:16], 3, v[10:11]
	v_add_co_u32 v18, vcc_lo, s10, v15
	s_delay_alu instid0(VALU_DEP_2) | instskip(SKIP_3) | instid1(VALU_DEP_1)
	v_add_co_ci_u32_e32 v19, vcc_lo, s11, v16, vcc_lo
	v_ashrrev_i32_e32 v15, 31, v14
	global_load_b64 v[16:17], v[18:19], off
	v_lshlrev_b64 v[27:28], 3, v[14:15]
	v_add_co_u32 v27, vcc_lo, s30, v27
	s_delay_alu instid0(VALU_DEP_2)
	v_add_co_ci_u32_e32 v28, vcc_lo, s31, v28, vcc_lo
	s_and_not1_b32 vcc_lo, exec_lo, s3
	s_waitcnt vmcnt(0)
	v_xor_b32_e32 v30, 0x80000000, v17
	v_mov_b32_e32 v29, v16
	global_store_b64 v[27:28], v[16:17], off
	global_store_b64 v[12:13], v[29:30], off offset:-4
	s_cbranch_vccnz .LBB81_24
; %bb.26:                               ;   in Loop: Header=BB81_25 Depth=2
	s_mov_b32 s5, s4
	s_delay_alu instid0(SALU_CYCLE_1) | instskip(SKIP_1) | instid1(VALU_DEP_2)
	v_dual_mov_b32 v30, s5 :: v_dual_add_nc_u32 v27, s42, v20
	v_mov_b32_e32 v29, s4
	v_ashrrev_i32_e32 v28, 31, v27
	s_delay_alu instid0(VALU_DEP_1) | instskip(NEXT) | instid1(VALU_DEP_1)
	v_lshlrev_b64 v[27:28], 3, v[27:28]
	v_add_co_u32 v27, vcc_lo, s10, v27
	s_delay_alu instid0(VALU_DEP_2)
	v_add_co_ci_u32_e32 v28, vcc_lo, s11, v28, vcc_lo
	s_clause 0x1
	global_store_b64 v[18:19], v[29:30], off
	global_store_b64 v[27:28], v[29:30], off
	s_branch .LBB81_24
.LBB81_27:
	s_or_b32 exec_lo, exec_lo, s38
.LBB81_28:
	s_delay_alu instid0(SALU_CYCLE_1)
	s_or_b32 exec_lo, exec_lo, s16
.LBB81_29:
	v_lshl_add_u32 v2, v1, 2, 0
	v_cmp_gt_i32_e32 vcc_lo, s28, v1
	v_lshl_add_u32 v4, v1, 3, s47
	v_mov_b32_e32 v5, 0
	s_mov_b32 s3, 0
	ds_store_b32 v2, v24
	ds_store_2addr_b32 v4, v25, v5 offset1:1
	s_and_b32 exec_lo, exec_lo, vcc_lo
	s_cbranch_execz .LBB81_32
; %bb.30:
	s_mul_i32 s4, s18, 12
	v_lshlrev_b32_e32 v4, 1, v3
	v_lshl_add_u32 v2, v3, 2, s4
	s_lshl_b32 s4, s45, 2
	s_lshl_b32 s5, s18, 1
	s_delay_alu instid0(VALU_DEP_1) | instskip(SKIP_1) | instid1(SALU_CYCLE_1)
	v_subrev_nc_u32_e32 v5, s4, v2
	s_lshl_b32 s4, s45, 1
	v_subrev_nc_u32_e32 v2, s4, v4
	s_lshl_b32 s4, s28, 2
	s_delay_alu instid0(VALU_DEP_2)
	v_dual_mov_b32 v5, v1 :: v_dual_add_nc_u32 v4, 0, v5
.LBB81_31:                              ; =>This Inner Loop Header: Depth=1
	s_delay_alu instid0(VALU_DEP_1)
	v_add_nc_u32_e32 v5, s18, v5
	ds_store_b32 v4, v2
	v_add_nc_u32_e32 v6, 1, v2
	v_add_nc_u32_e32 v7, s4, v4
	;; [unrolled: 1-line block ×3, first 2 shown]
	v_cmp_le_i32_e32 vcc_lo, s28, v5
	v_add_nc_u32_e32 v2, s5, v2
	ds_store_b32 v7, v6
	s_or_b32 s3, vcc_lo, s3
	s_delay_alu instid0(SALU_CYCLE_1)
	s_and_not1_b32 exec_lo, exec_lo, s3
	s_cbranch_execnz .LBB81_31
.LBB81_32:
	s_or_b32 exec_lo, exec_lo, s48
	v_mov_b32_e32 v2, 0
	v_mov_b32_e32 v4, 0
	s_cmp_gt_i32 s18, 0
	s_mov_b32 s3, 0
	s_cselect_b32 s14, -1, 0
	s_cmp_lt_i32 s18, 1
	s_waitcnt lgkmcnt(0)
	s_waitcnt_vscnt null, 0x0
	s_barrier
	buffer_gl0_inv
	s_cbranch_scc1 .LBB81_40
; %bb.33:
	v_mov_b32_e32 v4, 0
	s_cmp_lt_u32 s18, 8
	s_cbranch_scc1 .LBB81_37
; %bb.34:
	v_mov_b32_e32 v2, 0
	v_mov_b32_e32 v4, 0
	s_and_b32 s3, s18, 0x7ffffff8
	s_mov_b32 s4, 0
	s_mov_b32 s5, s47
	;; [unrolled: 1-line block ×3, first 2 shown]
	s_set_inst_prefetch_distance 0x1
	.p2align	6
.LBB81_35:                              ; =>This Inner Loop Header: Depth=1
	v_mov_b32_e32 v9, s4
	v_mov_b32_e32 v19, s5
	s_add_i32 s16, s16, 8
	s_add_i32 s5, s5, 64
	;; [unrolled: 1-line block ×3, first 2 shown]
	ds_load_2addr_b64 v[5:8], v9 offset1:1
	ds_load_2addr_b32 v[13:14], v19 offset1:2
	ds_load_2addr_b32 v[15:16], v19 offset0:4 offset1:6
	ds_load_2addr_b32 v[17:18], v19 offset0:8 offset1:10
	ds_load_2addr_b64 v[9:12], v9 offset0:2 offset1:3
	s_cmp_lg_u32 s3, s16
	s_waitcnt lgkmcnt(4)
	v_add_f32_e32 v2, v2, v5
	s_waitcnt lgkmcnt(3)
	v_add_f32_e32 v4, v4, v13
	s_delay_alu instid0(VALU_DEP_2) | instskip(NEXT) | instid1(VALU_DEP_2)
	v_add_f32_e32 v2, v2, v6
	v_add_f32_e32 v6, v4, v14
	ds_load_2addr_b32 v[4:5], v19 offset0:12 offset1:14
	v_add_f32_e32 v2, v2, v7
	s_waitcnt lgkmcnt(3)
	v_add_f32_e32 v6, v6, v15
	s_delay_alu instid0(VALU_DEP_2) | instskip(NEXT) | instid1(VALU_DEP_2)
	v_add_f32_e32 v2, v2, v8
	v_add_f32_e32 v6, v6, v16
	s_waitcnt lgkmcnt(1)
	s_delay_alu instid0(VALU_DEP_2) | instskip(NEXT) | instid1(VALU_DEP_2)
	v_add_f32_e32 v2, v2, v9
	v_add_f32_e32 v6, v6, v17
	s_delay_alu instid0(VALU_DEP_2) | instskip(NEXT) | instid1(VALU_DEP_2)
	v_add_f32_e32 v2, v2, v10
	v_add_f32_e32 v6, v6, v18
	s_delay_alu instid0(VALU_DEP_2) | instskip(SKIP_1) | instid1(VALU_DEP_2)
	v_add_f32_e32 v2, v2, v11
	s_waitcnt lgkmcnt(0)
	v_add_f32_e32 v4, v6, v4
	s_delay_alu instid0(VALU_DEP_2) | instskip(NEXT) | instid1(VALU_DEP_2)
	v_add_f32_e32 v2, v2, v12
	v_add_f32_e32 v4, v4, v5
	s_cbranch_scc1 .LBB81_35
; %bb.36:
	s_set_inst_prefetch_distance 0x2
	s_and_b32 s4, s18, 7
	s_delay_alu instid0(SALU_CYCLE_1)
	s_cmp_eq_u32 s4, 0
	s_cbranch_scc0 .LBB81_38
	s_branch .LBB81_40
.LBB81_37:
	v_mov_b32_e32 v2, 0
	s_and_b32 s4, s18, 7
	s_delay_alu instid0(SALU_CYCLE_1)
	s_cmp_eq_u32 s4, 0
	s_cbranch_scc1 .LBB81_40
.LBB81_38:
	s_lshl_b32 s5, s3, 3
	s_lshl_b32 s16, s3, 2
	s_add_i32 s5, s5, s46
	s_delay_alu instid0(SALU_CYCLE_1)
	s_add_i32 s3, s5, 0
	s_add_i32 s5, s16, 0
.LBB81_39:                              ; =>This Inner Loop Header: Depth=1
	s_delay_alu instid0(SALU_CYCLE_1)
	v_dual_mov_b32 v5, s5 :: v_dual_mov_b32 v6, s3
	s_add_i32 s4, s4, -1
	s_add_i32 s3, s3, 8
	s_add_i32 s5, s5, 4
	ds_load_b32 v5, v5
	ds_load_b32 v6, v6
	s_cmp_lg_u32 s4, 0
	s_waitcnt lgkmcnt(1)
	v_add_f32_e32 v2, v2, v5
	s_waitcnt lgkmcnt(0)
	v_add_f32_e32 v4, v4, v6
	s_cbranch_scc1 .LBB81_39
.LBB81_40:
	s_clause 0x1
	s_load_b64 s[4:5], s[0:1], 0x28
	s_load_b32 s46, s[0:1], 0x38
	v_add_f32_e32 v4, v4, v2
	s_mov_b32 s29, 0
	s_waitcnt lgkmcnt(0)
	s_delay_alu instid0(VALU_DEP_1) | instskip(SKIP_2) | instid1(VALU_DEP_1)
	v_mul_f32_e32 v4, s4, v4
	s_cmp_gt_i32 s46, 0
	s_cselect_b32 s3, -1, 0
	v_mul_f32_e32 v18, s4, v4
	s_delay_alu instid0(VALU_DEP_1) | instskip(SKIP_1) | instid1(SALU_CYCLE_1)
	v_cmp_gt_f32_e32 vcc_lo, v2, v18
	s_and_b32 s3, s3, vcc_lo
	s_and_not1_b32 vcc_lo, exec_lo, s3
	s_cbranch_vccnz .LBB81_129
; %bb.41:
	s_abs_i32 s17, s18
	v_div_scale_f32 v4, null, s5, s5, 0x800000
	v_cvt_f32_u32_e32 v2, s17
	s_mov_b32 s29, 0x800000
	v_sub_nc_u32_e32 v6, s45, v3
	s_delay_alu instid0(VALU_DEP_3)
	v_rcp_f32_e32 v5, v4
	v_div_scale_f32 v3, vcc_lo, s29, s5, s29
	v_rcp_iflag_f32_e32 v2, v2
	s_lshl_b32 s35, s18, 3
	v_lshl_add_u32 v20, v1, 3, s47
	s_add_i32 s47, s47, s35
	s_sub_i32 s35, 0, s17
	s_add_i32 s39, s28, -1
	s_lshl_b32 s38, s28, 2
	s_xor_b32 s40, s39, s18
	s_abs_i32 s39, s39
	s_add_i32 s48, s47, s38
	s_waitcnt_depctr 0xfff
	v_mul_f32_e32 v2, 0x4f7ffffe, v2
	v_cmp_gt_i32_e64 s3, s28, v23
	v_lshl_add_u32 v19, v1, 2, 0
	v_cmp_gt_i32_e64 s4, s15, v1
	s_mov_b32 s16, 0
	v_cvt_u32_f32_e32 v2, v2
                                        ; implicit-def: $vgpr25
                                        ; implicit-def: $vgpr14
                                        ; implicit-def: $vgpr13
	v_lshlrev_b32_e32 v8, 1, v0
	s_delay_alu instid0(VALU_DEP_2) | instskip(SKIP_1) | instid1(VALU_DEP_2)
	v_readfirstlane_b32 s29, v2
	v_fma_f32 v2, -v4, v5, 1.0
	s_mul_i32 s35, s35, s29
	s_delay_alu instid0(VALU_DEP_1) | instskip(SKIP_1) | instid1(SALU_CYCLE_1)
	v_fmac_f32_e32 v5, v2, v5
	s_mul_hi_u32 s35, s29, s35
	s_add_i32 s29, s29, s35
	s_ashr_i32 s35, s40, 31
	s_mul_hi_u32 s29, s39, s29
	v_mul_f32_e32 v2, v3, v5
	s_mul_i32 s38, s29, s17
	s_delay_alu instid0(SALU_CYCLE_1)
	s_sub_i32 s38, s39, s38
	s_add_i32 s39, s29, 1
	s_sub_i32 s40, s38, s17
	s_cmp_ge_u32 s38, s17
	v_fma_f32 v7, -v4, v2, v3
	s_cselect_b32 s29, s39, s29
	s_cselect_b32 s38, s40, s38
	s_add_i32 s39, s29, 1
	s_cmp_ge_u32 s38, s17
	v_dual_fmac_f32 v2, v7, v5 :: v_dual_lshlrev_b32 v7, 1, v22
	s_cselect_b32 s17, s39, s29
	s_add_i32 s49, s44, -1
	s_xor_b32 s17, s17, s35
	s_delay_alu instid0(VALU_DEP_1)
	v_fma_f32 v3, -v4, v2, v3
	s_sub_i32 s50, s17, s35
	s_cmp_gt_i32 s44, 1
	s_cselect_b32 s51, -1, 0
	s_cmp_gt_i32 s50, -1
	v_div_fmas_f32 v2, v3, v5, v2
	s_cselect_b32 s52, -1, 0
	s_add_i32 s53, s15, 1
	s_cmpk_lg_i32 s13, 0xd5
	v_mad_u64_u32 v[4:5], null, s33, v6, v[0:1]
	s_cselect_b32 s54, -1, 0
	s_max_i32 s55, s49, 1
	s_and_b32 s56, s18, 7
	s_cmp_gt_u32 s18, 7
	v_div_fixup_f32 v21, v2, s5, 0x800000
	v_ashrrev_i32_e32 v2, 31, v1
	s_cselect_b32 s57, -1, 0
	s_and_b32 s58, s18, 0x7ffffff8
	s_cmp_lg_u32 s56, 0
	v_sub_nc_u32_e32 v3, v8, v7
	s_cselect_b32 s59, -1, 0
	s_lshl_b32 s38, s33, 1
	v_lshlrev_b64 v[5:6], 3, v[1:2]
	s_ashr_i32 s39, s38, 31
	s_mul_i32 s5, s15, s33
	s_lshl_b64 s[40:41], s[38:39], 3
	s_lshl_b32 s39, s5, 1
	s_add_u32 s5, s6, s8
	v_or_b32_e32 v22, 1, v3
	s_addc_u32 s6, s7, s9
	s_ashr_i32 s29, s28, 31
	s_ashr_i32 s35, s34, 31
	v_add_co_u32 v0, vcc_lo, s5, v5
	v_cmp_lt_i64_e64 s5, s[28:29], s[34:35]
	v_add_co_ci_u32_e32 v2, vcc_lo, s6, v6, vcc_lo
	v_mul_lo_u32 v23, s15, v22
	v_mul_lo_u32 v24, s15, v3
	v_add_co_u32 v5, vcc_lo, v0, 4
	s_delay_alu instid0(VALU_DEP_4)
	v_add_co_ci_u32_e32 v6, vcc_lo, 0, v2, vcc_lo
	s_and_b32 s5, s5, exec_lo
	s_cselect_b32 s7, s29, s35
	s_cselect_b32 s6, s28, s34
	s_ashr_i32 s9, s15, 31
	s_mov_b32 s8, s15
	s_lshl_b64 s[42:43], s[6:7], 3
	s_lshl_b64 s[44:45], s[8:9], 3
	s_mov_b32 s29, 0
                                        ; implicit-def: $vgpr8
	s_branch .LBB81_43
.LBB81_42:                              ;   in Loop: Header=BB81_43 Depth=1
	s_add_i32 s29, s29, 1
	s_delay_alu instid0(VALU_DEP_1) | instskip(SKIP_2) | instid1(SALU_CYCLE_1)
	v_cmp_gt_f32_e32 vcc_lo, v2, v18
	s_cmp_lt_i32 s29, s46
	s_cselect_b32 s5, -1, 0
	s_and_b32 s5, s5, vcc_lo
	s_delay_alu instid0(SALU_CYCLE_1)
	s_and_b32 vcc_lo, exec_lo, s5
	s_cbranch_vccz .LBB81_129
.LBB81_43:                              ; =>This Loop Header: Depth=1
                                        ;     Child Loop BB81_46 Depth 2
                                        ;       Child Loop BB81_48 Depth 3
                                        ;         Child Loop BB81_83 Depth 4
                                        ;         Child Loop BB81_93 Depth 4
                                        ;     Child Loop BB81_115 Depth 2
                                        ;       Child Loop BB81_117 Depth 3
                                        ;     Child Loop BB81_124 Depth 2
                                        ;     Child Loop BB81_128 Depth 2
	s_and_not1_b32 vcc_lo, exec_lo, s51
	s_cbranch_vccnz .LBB81_111
; %bb.44:                               ;   in Loop: Header=BB81_43 Depth=1
	s_mov_b32 s35, 0
	s_branch .LBB81_46
.LBB81_45:                              ;   in Loop: Header=BB81_46 Depth=2
	s_add_i32 s35, s35, 1
	s_delay_alu instid0(SALU_CYCLE_1)
	s_cmp_eq_u32 s35, s55
	s_cbranch_scc1 .LBB81_111
.LBB81_46:                              ;   Parent Loop BB81_43 Depth=1
                                        ; =>  This Loop Header: Depth=2
                                        ;       Child Loop BB81_48 Depth 3
                                        ;         Child Loop BB81_83 Depth 4
                                        ;         Child Loop BB81_93 Depth 4
	s_and_not1_b32 vcc_lo, exec_lo, s52
	s_cbranch_vccnz .LBB81_45
; %bb.47:                               ;   in Loop: Header=BB81_46 Depth=2
	s_mov_b32 s60, 0
.LBB81_48:                              ;   Parent Loop BB81_43 Depth=1
                                        ;     Parent Loop BB81_46 Depth=2
                                        ; =>    This Loop Header: Depth=3
                                        ;         Child Loop BB81_83 Depth 4
                                        ;         Child Loop BB81_93 Depth 4
	s_delay_alu instid0(SALU_CYCLE_1) | instskip(SKIP_1) | instid1(VALU_DEP_2)
	v_mad_u64_u32 v[9:10], null, s60, s18, v[1:2]
	v_mov_b32_e32 v2, s15
	v_cmp_gt_i32_e64 s5, s28, v9
	s_delay_alu instid0(VALU_DEP_1)
	s_and_saveexec_b32 s6, s5
	s_cbranch_execz .LBB81_50
; %bb.49:                               ;   in Loop: Header=BB81_48 Depth=3
	v_lshl_add_u32 v0, v9, 2, s47
	ds_load_b32 v2, v0
.LBB81_50:                              ;   in Loop: Header=BB81_48 Depth=3
	s_or_b32 exec_lo, exec_lo, s6
	v_mov_b32_e32 v0, s15
	v_lshl_add_u32 v26, v9, 2, s48
	s_and_saveexec_b32 s6, s5
	s_cbranch_execz .LBB81_52
; %bb.51:                               ;   in Loop: Header=BB81_48 Depth=3
	ds_load_b32 v0, v26
.LBB81_52:                              ;   in Loop: Header=BB81_48 Depth=3
	s_or_b32 exec_lo, exec_lo, s6
	s_waitcnt lgkmcnt(0)
	v_cmp_gt_i32_e64 s6, s15, v2
	v_cmp_gt_i32_e64 s7, s15, v0
	s_delay_alu instid0(VALU_DEP_2)
	s_and_b32 s8, s2, s6
	s_delay_alu instid0(VALU_DEP_1) | instid1(SALU_CYCLE_1)
	s_and_b32 s17, s8, s7
	s_delay_alu instid0(SALU_CYCLE_1)
	s_and_saveexec_b32 s9, s17
	s_cbranch_execz .LBB81_78
; %bb.53:                               ;   in Loop: Header=BB81_48 Depth=3
	v_mul_lo_u32 v15, v0, s15
                                        ; implicit-def: $vgpr12
	s_mov_b32 s8, exec_lo
	s_delay_alu instid0(VALU_DEP_1) | instskip(NEXT) | instid1(VALU_DEP_1)
	v_add_nc_u32_e32 v10, v15, v2
	v_ashrrev_i32_e32 v11, 31, v10
	s_delay_alu instid0(VALU_DEP_1) | instskip(NEXT) | instid1(VALU_DEP_1)
	v_lshlrev_b64 v[10:11], 3, v[10:11]
	v_add_co_u32 v10, vcc_lo, s30, v10
	s_delay_alu instid0(VALU_DEP_2)
	v_add_co_ci_u32_e32 v11, vcc_lo, s31, v11, vcc_lo
	global_load_b64 v[10:11], v[10:11], off
	s_waitcnt vmcnt(0)
	v_cmp_gt_f32_e32 vcc_lo, 0, v10
	v_cndmask_b32_e64 v8, v10, -v10, vcc_lo
	v_cmp_gt_f32_e32 vcc_lo, 0, v11
	v_cndmask_b32_e64 v14, v11, -v11, vcc_lo
	s_delay_alu instid0(VALU_DEP_1)
	v_cmpx_ngt_f32_e32 v8, v14
	s_xor_b32 s61, exec_lo, s8
	s_cbranch_execz .LBB81_57
; %bb.54:                               ;   in Loop: Header=BB81_48 Depth=3
	v_mov_b32_e32 v12, 0
	s_mov_b32 s62, exec_lo
	v_cmpx_neq_f32_e32 0, v11
	s_cbranch_execz .LBB81_56
; %bb.55:                               ;   in Loop: Header=BB81_48 Depth=3
	v_div_scale_f32 v12, null, v14, v14, v8
	v_div_scale_f32 v25, vcc_lo, v8, v14, v8
	s_delay_alu instid0(VALU_DEP_2) | instskip(SKIP_2) | instid1(VALU_DEP_1)
	v_rcp_f32_e32 v16, v12
	s_waitcnt_depctr 0xfff
	v_fma_f32 v17, -v12, v16, 1.0
	v_fmac_f32_e32 v16, v17, v16
	s_delay_alu instid0(VALU_DEP_1) | instskip(NEXT) | instid1(VALU_DEP_1)
	v_mul_f32_e32 v17, v25, v16
	v_fma_f32 v27, -v12, v17, v25
	s_delay_alu instid0(VALU_DEP_1) | instskip(NEXT) | instid1(VALU_DEP_1)
	v_fmac_f32_e32 v17, v27, v16
	v_fma_f32 v12, -v12, v17, v25
	s_delay_alu instid0(VALU_DEP_1) | instskip(NEXT) | instid1(VALU_DEP_1)
	v_div_fmas_f32 v12, v12, v16, v17
	v_div_fixup_f32 v8, v12, v14, v8
	s_delay_alu instid0(VALU_DEP_1) | instskip(NEXT) | instid1(VALU_DEP_1)
	v_fma_f32 v8, v8, v8, 1.0
	v_mul_f32_e32 v12, 0x4f800000, v8
	v_cmp_gt_f32_e32 vcc_lo, 0xf800000, v8
	s_delay_alu instid0(VALU_DEP_2) | instskip(NEXT) | instid1(VALU_DEP_1)
	v_cndmask_b32_e32 v8, v8, v12, vcc_lo
	v_sqrt_f32_e32 v12, v8
	s_waitcnt_depctr 0xfff
	v_add_nc_u32_e32 v16, -1, v12
	v_add_nc_u32_e32 v17, 1, v12
	s_delay_alu instid0(VALU_DEP_2) | instskip(NEXT) | instid1(VALU_DEP_2)
	v_fma_f32 v25, -v16, v12, v8
	v_fma_f32 v27, -v17, v12, v8
	s_delay_alu instid0(VALU_DEP_2) | instskip(NEXT) | instid1(VALU_DEP_1)
	v_cmp_ge_f32_e64 s8, 0, v25
	v_cndmask_b32_e64 v12, v12, v16, s8
	s_delay_alu instid0(VALU_DEP_3) | instskip(NEXT) | instid1(VALU_DEP_1)
	v_cmp_lt_f32_e64 s8, 0, v27
	v_cndmask_b32_e64 v12, v12, v17, s8
	s_delay_alu instid0(VALU_DEP_1) | instskip(NEXT) | instid1(VALU_DEP_1)
	v_mul_f32_e32 v16, 0x37800000, v12
	v_cndmask_b32_e32 v12, v12, v16, vcc_lo
	v_cmp_class_f32_e64 vcc_lo, v8, 0x260
	s_delay_alu instid0(VALU_DEP_2) | instskip(NEXT) | instid1(VALU_DEP_1)
	v_cndmask_b32_e32 v8, v12, v8, vcc_lo
	v_mul_f32_e32 v12, v14, v8
.LBB81_56:                              ;   in Loop: Header=BB81_48 Depth=3
	s_or_b32 exec_lo, exec_lo, s62
                                        ; implicit-def: $vgpr8
                                        ; implicit-def: $vgpr14
.LBB81_57:                              ;   in Loop: Header=BB81_48 Depth=3
	s_and_not1_saveexec_b32 s61, s61
	s_cbranch_execz .LBB81_59
; %bb.58:                               ;   in Loop: Header=BB81_48 Depth=3
	v_div_scale_f32 v12, null, v8, v8, v14
	v_div_scale_f32 v25, vcc_lo, v14, v8, v14
	s_delay_alu instid0(VALU_DEP_2) | instskip(SKIP_2) | instid1(VALU_DEP_1)
	v_rcp_f32_e32 v16, v12
	s_waitcnt_depctr 0xfff
	v_fma_f32 v17, -v12, v16, 1.0
	v_fmac_f32_e32 v16, v17, v16
	s_delay_alu instid0(VALU_DEP_1) | instskip(NEXT) | instid1(VALU_DEP_1)
	v_mul_f32_e32 v17, v25, v16
	v_fma_f32 v27, -v12, v17, v25
	s_delay_alu instid0(VALU_DEP_1) | instskip(NEXT) | instid1(VALU_DEP_1)
	v_fmac_f32_e32 v17, v27, v16
	v_fma_f32 v12, -v12, v17, v25
	s_delay_alu instid0(VALU_DEP_1) | instskip(NEXT) | instid1(VALU_DEP_1)
	v_div_fmas_f32 v12, v12, v16, v17
	v_div_fixup_f32 v12, v12, v8, v14
	s_delay_alu instid0(VALU_DEP_1) | instskip(NEXT) | instid1(VALU_DEP_1)
	v_fma_f32 v12, v12, v12, 1.0
	v_mul_f32_e32 v14, 0x4f800000, v12
	v_cmp_gt_f32_e32 vcc_lo, 0xf800000, v12
	s_delay_alu instid0(VALU_DEP_2) | instskip(NEXT) | instid1(VALU_DEP_1)
	v_cndmask_b32_e32 v12, v12, v14, vcc_lo
	v_sqrt_f32_e32 v14, v12
	s_waitcnt_depctr 0xfff
	v_add_nc_u32_e32 v16, -1, v14
	v_add_nc_u32_e32 v17, 1, v14
	s_delay_alu instid0(VALU_DEP_2) | instskip(NEXT) | instid1(VALU_DEP_2)
	v_fma_f32 v25, -v16, v14, v12
	v_fma_f32 v27, -v17, v14, v12
	s_delay_alu instid0(VALU_DEP_2) | instskip(NEXT) | instid1(VALU_DEP_1)
	v_cmp_ge_f32_e64 s8, 0, v25
	v_cndmask_b32_e64 v14, v14, v16, s8
	s_delay_alu instid0(VALU_DEP_3) | instskip(NEXT) | instid1(VALU_DEP_1)
	v_cmp_lt_f32_e64 s8, 0, v27
	v_cndmask_b32_e64 v14, v14, v17, s8
	s_delay_alu instid0(VALU_DEP_1) | instskip(NEXT) | instid1(VALU_DEP_1)
	v_mul_f32_e32 v16, 0x37800000, v14
	v_cndmask_b32_e32 v14, v14, v16, vcc_lo
	v_cmp_class_f32_e64 vcc_lo, v12, 0x260
	s_delay_alu instid0(VALU_DEP_2) | instskip(NEXT) | instid1(VALU_DEP_1)
	v_cndmask_b32_e32 v12, v14, v12, vcc_lo
	v_mul_f32_e32 v12, v8, v12
.LBB81_59:                              ;   in Loop: Header=BB81_48 Depth=3
	s_or_b32 exec_lo, exec_lo, s61
	s_delay_alu instid0(VALU_DEP_1) | instskip(SKIP_1) | instid1(VALU_DEP_2)
	v_dual_mul_f32 v14, v12, v12 :: v_dual_mov_b32 v25, 1.0
	v_mov_b32_e32 v8, 0
	v_cmp_nlt_f32_e32 vcc_lo, v14, v21
	s_delay_alu instid0(VALU_DEP_2)
	v_mov_b32_e32 v14, v8
	s_and_saveexec_b32 s61, vcc_lo
	s_cbranch_execz .LBB81_77
; %bb.60:                               ;   in Loop: Header=BB81_48 Depth=3
	v_add_nc_u32_e32 v14, v15, v0
	v_mul_lo_u32 v16, v2, s53
	s_mov_b32 s8, exec_lo
	s_delay_alu instid0(VALU_DEP_2) | instskip(NEXT) | instid1(VALU_DEP_2)
	v_ashrrev_i32_e32 v15, 31, v14
	v_ashrrev_i32_e32 v17, 31, v16
	s_delay_alu instid0(VALU_DEP_2) | instskip(NEXT) | instid1(VALU_DEP_2)
	v_lshlrev_b64 v[14:15], 3, v[14:15]
	v_lshlrev_b64 v[16:17], 3, v[16:17]
	s_delay_alu instid0(VALU_DEP_2) | instskip(NEXT) | instid1(VALU_DEP_3)
	v_add_co_u32 v14, vcc_lo, s30, v14
	v_add_co_ci_u32_e32 v15, vcc_lo, s31, v15, vcc_lo
	s_delay_alu instid0(VALU_DEP_3) | instskip(NEXT) | instid1(VALU_DEP_4)
	v_add_co_u32 v16, vcc_lo, s30, v16
	v_add_co_ci_u32_e32 v17, vcc_lo, s31, v17, vcc_lo
	s_clause 0x1
	global_load_b32 v14, v[14:15], off
	global_load_b32 v15, v[16:17], off
	s_waitcnt vmcnt(0)
	v_dual_add_f32 v8, v12, v12 :: v_dual_sub_f32 v15, v14, v15
	s_delay_alu instid0(VALU_DEP_1) | instskip(NEXT) | instid1(VALU_DEP_1)
	v_max_f32_e64 v14, |v15|, |v8|
	v_cvt_f64_f32_e32 v[16:17], v14
	s_delay_alu instid0(VALU_DEP_1) | instskip(NEXT) | instid1(VALU_DEP_1)
	v_frexp_exp_i32_f64_e32 v17, v[16:17]
	v_sub_nc_u32_e32 v16, 0, v17
	s_delay_alu instid0(VALU_DEP_1) | instskip(SKIP_1) | instid1(VALU_DEP_2)
	v_ldexp_f32 v25, |v8|, v16
	v_ldexp_f32 v16, |v15|, v16
	v_mul_f32_e32 v25, v25, v25
	s_delay_alu instid0(VALU_DEP_1) | instskip(NEXT) | instid1(VALU_DEP_1)
	v_fmac_f32_e32 v25, v16, v16
                                        ; implicit-def: $vgpr16
	v_sqrt_f32_e32 v25, v25
	v_cmpx_ngt_f32_e32 0, v15
	s_xor_b32 s8, exec_lo, s8
; %bb.61:                               ;   in Loop: Header=BB81_48 Depth=3
	s_waitcnt_depctr 0xfff
	v_ldexp_f32 v16, v25, v17
	v_cmp_neq_f32_e32 vcc_lo, 0x7f800000, v14
                                        ; implicit-def: $vgpr25
                                        ; implicit-def: $vgpr17
                                        ; implicit-def: $vgpr14
	s_delay_alu instid0(VALU_DEP_2)
	v_cndmask_b32_e32 v16, 0x7f800000, v16, vcc_lo
; %bb.62:                               ;   in Loop: Header=BB81_48 Depth=3
	s_and_not1_saveexec_b32 s8, s8
; %bb.63:                               ;   in Loop: Header=BB81_48 Depth=3
	v_ldexp_f32 v16, -v25, v17
	v_cmp_neq_f32_e32 vcc_lo, 0x7f800000, v14
	s_delay_alu instid0(VALU_DEP_2)
	v_cndmask_b32_e32 v16, 0xff800000, v16, vcc_lo
; %bb.64:                               ;   in Loop: Header=BB81_48 Depth=3
	s_or_b32 exec_lo, exec_lo, s8
	v_dual_mov_b32 v14, 0 :: v_dual_mov_b32 v25, 1.0
	s_mov_b32 s62, exec_lo
	v_cmpx_neq_f32_e32 0, v8
	s_cbranch_execz .LBB81_72
; %bb.65:                               ;   in Loop: Header=BB81_48 Depth=3
	v_dual_add_f32 v15, v15, v16 :: v_dual_mov_b32 v14, 1.0
	v_mov_b32_e32 v25, 0
	s_mov_b32 s63, exec_lo
	s_delay_alu instid0(VALU_DEP_2)
	v_cmpx_neq_f32_e32 0, v15
	s_cbranch_execz .LBB81_71
; %bb.66:                               ;   in Loop: Header=BB81_48 Depth=3
	s_mov_b32 s64, exec_lo
                                        ; implicit-def: $vgpr25
                                        ; implicit-def: $vgpr14
	v_cmpx_ngt_f32_e64 |v8|, |v15|
	s_xor_b32 s64, exec_lo, s64
	s_cbranch_execz .LBB81_68
; %bb.67:                               ;   in Loop: Header=BB81_48 Depth=3
	v_div_scale_f32 v14, null, v15, v15, -v8
	v_div_scale_f32 v25, vcc_lo, -v8, v15, -v8
	s_delay_alu instid0(VALU_DEP_2) | instskip(SKIP_2) | instid1(VALU_DEP_1)
	v_rcp_f32_e32 v16, v14
	s_waitcnt_depctr 0xfff
	v_fma_f32 v17, -v14, v16, 1.0
	v_fmac_f32_e32 v16, v17, v16
	s_delay_alu instid0(VALU_DEP_1) | instskip(NEXT) | instid1(VALU_DEP_1)
	v_mul_f32_e32 v17, v25, v16
	v_fma_f32 v27, -v14, v17, v25
	s_delay_alu instid0(VALU_DEP_1) | instskip(NEXT) | instid1(VALU_DEP_1)
	v_fmac_f32_e32 v17, v27, v16
	v_fma_f32 v14, -v14, v17, v25
	s_delay_alu instid0(VALU_DEP_1) | instskip(NEXT) | instid1(VALU_DEP_1)
	v_div_fmas_f32 v14, v14, v16, v17
	v_div_fixup_f32 v8, v14, v15, -v8
	s_delay_alu instid0(VALU_DEP_1) | instskip(NEXT) | instid1(VALU_DEP_1)
	v_fma_f32 v14, v8, v8, 1.0
	v_mul_f32_e32 v15, 0x4f800000, v14
	v_cmp_gt_f32_e32 vcc_lo, 0xf800000, v14
	s_delay_alu instid0(VALU_DEP_2) | instskip(NEXT) | instid1(VALU_DEP_1)
	v_cndmask_b32_e32 v14, v14, v15, vcc_lo
	v_sqrt_f32_e32 v15, v14
	s_waitcnt_depctr 0xfff
	v_add_nc_u32_e32 v16, -1, v15
	v_add_nc_u32_e32 v17, 1, v15
	s_delay_alu instid0(VALU_DEP_2) | instskip(NEXT) | instid1(VALU_DEP_2)
	v_fma_f32 v25, -v16, v15, v14
	v_fma_f32 v27, -v17, v15, v14
	s_delay_alu instid0(VALU_DEP_2) | instskip(NEXT) | instid1(VALU_DEP_1)
	v_cmp_ge_f32_e64 s8, 0, v25
	v_cndmask_b32_e64 v15, v15, v16, s8
	s_delay_alu instid0(VALU_DEP_3) | instskip(NEXT) | instid1(VALU_DEP_1)
	v_cmp_lt_f32_e64 s8, 0, v27
	v_cndmask_b32_e64 v15, v15, v17, s8
	s_delay_alu instid0(VALU_DEP_1) | instskip(NEXT) | instid1(VALU_DEP_1)
	v_mul_f32_e32 v16, 0x37800000, v15
	v_cndmask_b32_e32 v15, v15, v16, vcc_lo
	v_cmp_class_f32_e64 vcc_lo, v14, 0x260
	s_delay_alu instid0(VALU_DEP_2) | instskip(NEXT) | instid1(VALU_DEP_1)
	v_cndmask_b32_e32 v14, v15, v14, vcc_lo
	v_div_scale_f32 v15, null, v14, v14, 1.0
	s_delay_alu instid0(VALU_DEP_1) | instskip(SKIP_2) | instid1(VALU_DEP_1)
	v_rcp_f32_e32 v16, v15
	s_waitcnt_depctr 0xfff
	v_fma_f32 v17, -v15, v16, 1.0
	v_fmac_f32_e32 v16, v17, v16
	v_div_scale_f32 v17, vcc_lo, 1.0, v14, 1.0
	s_delay_alu instid0(VALU_DEP_1) | instskip(NEXT) | instid1(VALU_DEP_1)
	v_mul_f32_e32 v25, v17, v16
	v_fma_f32 v27, -v15, v25, v17
	s_delay_alu instid0(VALU_DEP_1) | instskip(NEXT) | instid1(VALU_DEP_1)
	v_fmac_f32_e32 v25, v27, v16
	v_fma_f32 v15, -v15, v25, v17
	s_delay_alu instid0(VALU_DEP_1) | instskip(NEXT) | instid1(VALU_DEP_1)
	v_div_fmas_f32 v15, v15, v16, v25
	v_div_fixup_f32 v25, v15, v14, 1.0
                                        ; implicit-def: $vgpr15
	s_delay_alu instid0(VALU_DEP_1)
	v_mul_f32_e32 v14, v8, v25
                                        ; implicit-def: $vgpr8
.LBB81_68:                              ;   in Loop: Header=BB81_48 Depth=3
	s_and_not1_saveexec_b32 s64, s64
	s_cbranch_execz .LBB81_70
; %bb.69:                               ;   in Loop: Header=BB81_48 Depth=3
	v_div_scale_f32 v14, null, v8, v8, -v15
	v_div_scale_f32 v25, vcc_lo, -v15, v8, -v15
	s_delay_alu instid0(VALU_DEP_2) | instskip(SKIP_2) | instid1(VALU_DEP_1)
	v_rcp_f32_e32 v16, v14
	s_waitcnt_depctr 0xfff
	v_fma_f32 v17, -v14, v16, 1.0
	v_fmac_f32_e32 v16, v17, v16
	s_delay_alu instid0(VALU_DEP_1) | instskip(NEXT) | instid1(VALU_DEP_1)
	v_mul_f32_e32 v17, v25, v16
	v_fma_f32 v27, -v14, v17, v25
	s_delay_alu instid0(VALU_DEP_1) | instskip(NEXT) | instid1(VALU_DEP_1)
	v_fmac_f32_e32 v17, v27, v16
	v_fma_f32 v14, -v14, v17, v25
	s_delay_alu instid0(VALU_DEP_1) | instskip(NEXT) | instid1(VALU_DEP_1)
	v_div_fmas_f32 v14, v14, v16, v17
	v_div_fixup_f32 v8, v14, v8, -v15
	s_delay_alu instid0(VALU_DEP_1) | instskip(NEXT) | instid1(VALU_DEP_1)
	v_fma_f32 v14, v8, v8, 1.0
	v_mul_f32_e32 v15, 0x4f800000, v14
	v_cmp_gt_f32_e32 vcc_lo, 0xf800000, v14
	s_delay_alu instid0(VALU_DEP_2) | instskip(NEXT) | instid1(VALU_DEP_1)
	v_cndmask_b32_e32 v14, v14, v15, vcc_lo
	v_sqrt_f32_e32 v15, v14
	s_waitcnt_depctr 0xfff
	v_add_nc_u32_e32 v16, -1, v15
	v_add_nc_u32_e32 v17, 1, v15
	s_delay_alu instid0(VALU_DEP_2) | instskip(NEXT) | instid1(VALU_DEP_2)
	v_fma_f32 v25, -v16, v15, v14
	v_fma_f32 v27, -v17, v15, v14
	s_delay_alu instid0(VALU_DEP_2) | instskip(NEXT) | instid1(VALU_DEP_1)
	v_cmp_ge_f32_e64 s8, 0, v25
	v_cndmask_b32_e64 v15, v15, v16, s8
	s_delay_alu instid0(VALU_DEP_3) | instskip(NEXT) | instid1(VALU_DEP_1)
	v_cmp_lt_f32_e64 s8, 0, v27
	v_cndmask_b32_e64 v15, v15, v17, s8
	s_delay_alu instid0(VALU_DEP_1) | instskip(NEXT) | instid1(VALU_DEP_1)
	v_mul_f32_e32 v16, 0x37800000, v15
	v_cndmask_b32_e32 v15, v15, v16, vcc_lo
	v_cmp_class_f32_e64 vcc_lo, v14, 0x260
	s_delay_alu instid0(VALU_DEP_2) | instskip(NEXT) | instid1(VALU_DEP_1)
	v_cndmask_b32_e32 v14, v15, v14, vcc_lo
	v_div_scale_f32 v15, null, v14, v14, 1.0
	s_delay_alu instid0(VALU_DEP_1) | instskip(SKIP_2) | instid1(VALU_DEP_1)
	v_rcp_f32_e32 v16, v15
	s_waitcnt_depctr 0xfff
	v_fma_f32 v17, -v15, v16, 1.0
	v_fmac_f32_e32 v16, v17, v16
	v_div_scale_f32 v17, vcc_lo, 1.0, v14, 1.0
	s_delay_alu instid0(VALU_DEP_1) | instskip(NEXT) | instid1(VALU_DEP_1)
	v_mul_f32_e32 v25, v17, v16
	v_fma_f32 v27, -v15, v25, v17
	s_delay_alu instid0(VALU_DEP_1) | instskip(NEXT) | instid1(VALU_DEP_1)
	v_fmac_f32_e32 v25, v27, v16
	v_fma_f32 v15, -v15, v25, v17
	s_delay_alu instid0(VALU_DEP_1) | instskip(NEXT) | instid1(VALU_DEP_1)
	v_div_fmas_f32 v15, v15, v16, v25
	v_div_fixup_f32 v14, v15, v14, 1.0
	s_delay_alu instid0(VALU_DEP_1)
	v_mul_f32_e32 v25, v8, v14
.LBB81_70:                              ;   in Loop: Header=BB81_48 Depth=3
	s_or_b32 exec_lo, exec_lo, s64
.LBB81_71:                              ;   in Loop: Header=BB81_48 Depth=3
	s_delay_alu instid0(SALU_CYCLE_1)
	s_or_b32 exec_lo, exec_lo, s63
.LBB81_72:                              ;   in Loop: Header=BB81_48 Depth=3
	s_delay_alu instid0(SALU_CYCLE_1)
	s_or_b32 exec_lo, exec_lo, s62
	v_cmp_gt_f32_e32 vcc_lo, 0, v12
	v_mul_f32_e32 v15, v10, v14
	v_mul_f32_e32 v10, v11, v14
	s_mov_b32 s8, exec_lo
                                        ; implicit-def: $vgpr14
	v_cndmask_b32_e64 v8, v12, -v12, vcc_lo
	s_delay_alu instid0(VALU_DEP_1)
	v_cmpx_nlt_f32_e32 0, v8
	s_xor_b32 s8, exec_lo, s8
	s_cbranch_execz .LBB81_74
; %bb.73:                               ;   in Loop: Header=BB81_48 Depth=3
	v_div_scale_f32 v8, null, 0, 0, v12
	v_div_scale_f32 v16, vcc_lo, v12, 0, v12
	s_delay_alu instid0(VALU_DEP_2) | instskip(SKIP_2) | instid1(VALU_DEP_1)
	v_rcp_f32_e32 v11, v8
	s_waitcnt_depctr 0xfff
	v_fma_f32 v14, -v8, v11, 1.0
	v_fmac_f32_e32 v11, v14, v11
	s_delay_alu instid0(VALU_DEP_1) | instskip(NEXT) | instid1(VALU_DEP_1)
	v_mul_f32_e32 v14, v16, v11
	v_fma_f32 v17, -v8, v14, v16
	s_delay_alu instid0(VALU_DEP_1) | instskip(NEXT) | instid1(VALU_DEP_1)
	v_fmac_f32_e32 v14, v17, v11
	v_fma_f32 v8, -v8, v14, v16
	s_delay_alu instid0(VALU_DEP_1) | instskip(NEXT) | instid1(VALU_DEP_1)
	v_div_fmas_f32 v8, v8, v11, v14
	v_div_fixup_f32 v8, v8, 0, v12
	s_delay_alu instid0(VALU_DEP_1) | instskip(NEXT) | instid1(VALU_DEP_1)
	v_fma_f32 v11, v12, v8, 0
	v_div_scale_f32 v12, null, v11, v11, 1.0
	v_div_scale_f32 v17, vcc_lo, 1.0, v11, 1.0
	s_delay_alu instid0(VALU_DEP_2) | instskip(SKIP_2) | instid1(VALU_DEP_1)
	v_rcp_f32_e32 v14, v12
	s_waitcnt_depctr 0xfff
	v_fma_f32 v16, -v12, v14, 1.0
	v_fmac_f32_e32 v14, v16, v14
	s_delay_alu instid0(VALU_DEP_1) | instskip(NEXT) | instid1(VALU_DEP_1)
	v_mul_f32_e32 v16, v17, v14
	v_fma_f32 v27, -v12, v16, v17
	s_delay_alu instid0(VALU_DEP_1) | instskip(NEXT) | instid1(VALU_DEP_1)
	v_fmac_f32_e32 v16, v27, v14
	v_fma_f32 v12, -v12, v16, v17
	s_delay_alu instid0(VALU_DEP_1) | instskip(SKIP_2) | instid1(VALU_DEP_3)
	v_div_fmas_f32 v12, v12, v14, v16
	v_fma_f32 v14, v8, v15, v10
	v_fma_f32 v8, v8, v10, -v15
                                        ; implicit-def: $vgpr10
                                        ; implicit-def: $vgpr15
	v_div_fixup_f32 v11, v12, v11, 1.0
                                        ; implicit-def: $vgpr12
	s_delay_alu instid0(VALU_DEP_1) | instskip(NEXT) | instid1(VALU_DEP_3)
	v_mul_f32_e32 v14, v11, v14
	v_mul_f32_e32 v8, v11, v8
.LBB81_74:                              ;   in Loop: Header=BB81_48 Depth=3
	s_and_not1_saveexec_b32 s8, s8
	s_cbranch_execz .LBB81_76
; %bb.75:                               ;   in Loop: Header=BB81_48 Depth=3
	v_div_scale_f32 v8, null, v12, v12, 0
	v_div_scale_f32 v16, vcc_lo, 0, v12, 0
	s_delay_alu instid0(VALU_DEP_2) | instskip(SKIP_2) | instid1(VALU_DEP_1)
	v_rcp_f32_e32 v11, v8
	s_waitcnt_depctr 0xfff
	v_fma_f32 v14, -v8, v11, 1.0
	v_fmac_f32_e32 v11, v14, v11
	s_delay_alu instid0(VALU_DEP_1) | instskip(NEXT) | instid1(VALU_DEP_1)
	v_mul_f32_e32 v14, v16, v11
	v_fma_f32 v17, -v8, v14, v16
	s_delay_alu instid0(VALU_DEP_1) | instskip(NEXT) | instid1(VALU_DEP_1)
	v_fmac_f32_e32 v14, v17, v11
	v_fma_f32 v8, -v8, v14, v16
	s_delay_alu instid0(VALU_DEP_1) | instskip(NEXT) | instid1(VALU_DEP_1)
	v_div_fmas_f32 v8, v8, v11, v14
	v_div_fixup_f32 v8, v8, v12, 0
	s_delay_alu instid0(VALU_DEP_1) | instskip(NEXT) | instid1(VALU_DEP_1)
	v_fmac_f32_e32 v12, 0, v8
	v_div_scale_f32 v11, null, v12, v12, 1.0
	v_div_scale_f32 v17, vcc_lo, 1.0, v12, 1.0
	s_delay_alu instid0(VALU_DEP_2) | instskip(SKIP_2) | instid1(VALU_DEP_1)
	v_rcp_f32_e32 v14, v11
	s_waitcnt_depctr 0xfff
	v_fma_f32 v16, -v11, v14, 1.0
	v_fmac_f32_e32 v14, v16, v14
	s_delay_alu instid0(VALU_DEP_1) | instskip(NEXT) | instid1(VALU_DEP_1)
	v_mul_f32_e32 v16, v17, v14
	v_fma_f32 v27, -v11, v16, v17
	s_delay_alu instid0(VALU_DEP_1) | instskip(NEXT) | instid1(VALU_DEP_1)
	v_fmac_f32_e32 v16, v27, v14
	v_fma_f32 v11, -v11, v16, v17
	s_delay_alu instid0(VALU_DEP_1) | instskip(SKIP_2) | instid1(VALU_DEP_3)
	v_div_fmas_f32 v11, v11, v14, v16
	v_fma_f32 v14, v8, v10, v15
	v_fma_f32 v8, -v8, v15, v10
	v_div_fixup_f32 v11, v11, v12, 1.0
	s_delay_alu instid0(VALU_DEP_1) | instskip(NEXT) | instid1(VALU_DEP_3)
	v_mul_f32_e32 v14, v11, v14
	v_mul_f32_e32 v8, v11, v8
.LBB81_76:                              ;   in Loop: Header=BB81_48 Depth=3
	s_or_b32 exec_lo, exec_lo, s8
.LBB81_77:                              ;   in Loop: Header=BB81_48 Depth=3
	s_delay_alu instid0(SALU_CYCLE_1)
	s_or_b32 exec_lo, exec_lo, s61
	ds_store_b32 v19, v25
	ds_store_2addr_b32 v20, v14, v8 offset1:1
.LBB81_78:                              ;   in Loop: Header=BB81_48 Depth=3
	s_or_b32 exec_lo, exec_lo, s9
	s_and_b32 s6, s6, s7
	s_mov_b32 s8, 0
	s_waitcnt lgkmcnt(0)
	s_barrier
	buffer_gl0_inv
	s_and_saveexec_b32 s7, s6
	s_cbranch_execz .LBB81_90
; %bb.79:                               ;   in Loop: Header=BB81_48 Depth=3
	ds_load_b32 v25, v19
	ds_load_2addr_b32 v[7:8], v20 offset1:1
	s_mov_b32 s6, 0
	s_and_saveexec_b32 s61, s3
	s_cbranch_execz .LBB81_89
; %bb.80:                               ;   in Loop: Header=BB81_48 Depth=3
	v_mad_u64_u32 v[10:11], null, v2, s15, v[3:4]
	v_mad_u64_u32 v[12:13], null, v0, s15, v[3:4]
	v_mul_lo_u32 v27, v2, s19
	v_mul_lo_u32 v28, v0, s19
	v_dual_mov_b32 v29, v22 :: v_dual_mov_b32 v30, v4
	v_ashrrev_i32_e32 v11, 31, v10
	s_mov_b32 s62, 0
	v_ashrrev_i32_e32 v13, 31, v12
	s_mov_b64 s[8:9], s[30:31]
	s_delay_alu instid0(VALU_DEP_2) | instskip(NEXT) | instid1(VALU_DEP_2)
	v_lshlrev_b64 v[10:11], 3, v[10:11]
	v_lshlrev_b64 v[12:13], 3, v[12:13]
	s_branch .LBB81_83
.LBB81_81:                              ;   in Loop: Header=BB81_83 Depth=4
	s_or_b32 exec_lo, exec_lo, s63
.LBB81_82:                              ;   in Loop: Header=BB81_83 Depth=4
	v_add_nc_u32_e32 v30, s33, v30
	v_add_nc_u32_e32 v29, s38, v29
	s_add_u32 s8, s8, s40
	s_addc_u32 s9, s9, s41
	s_delay_alu instid0(VALU_DEP_2) | instskip(SKIP_1) | instid1(SALU_CYCLE_1)
	v_cmp_le_i32_e32 vcc_lo, s28, v30
	s_or_b32 s62, vcc_lo, s62
	s_and_not1_b32 exec_lo, exec_lo, s62
	s_cbranch_execz .LBB81_88
.LBB81_83:                              ;   Parent Loop BB81_43 Depth=1
                                        ;     Parent Loop BB81_46 Depth=2
                                        ;       Parent Loop BB81_48 Depth=3
                                        ; =>      This Inner Loop Header: Depth=4
	s_delay_alu instid0(VALU_DEP_1) | instskip(NEXT) | instid1(VALU_DEP_2)
	v_add_co_u32 v14, vcc_lo, s8, v12
	v_add_co_ci_u32_e32 v15, vcc_lo, s9, v13, vcc_lo
	s_delay_alu instid0(VALU_DEP_4)
	v_add_co_u32 v16, vcc_lo, s8, v10
	v_add_co_ci_u32_e32 v17, vcc_lo, s9, v11, vcc_lo
	v_cmp_gt_i32_e64 s6, s15, v29
	s_clause 0x1
	global_load_b64 v[31:32], v[14:15], off
	global_load_b64 v[33:34], v[16:17], off
	s_waitcnt vmcnt(0) lgkmcnt(0)
	v_dual_mul_f32 v35, v8, v32 :: v_dual_mul_f32 v38, v7, v34
	v_dual_mul_f32 v36, v8, v31 :: v_dual_mul_f32 v37, v7, v33
	s_delay_alu instid0(VALU_DEP_2) | instskip(NEXT) | instid1(VALU_DEP_2)
	v_fma_f32 v38, v33, -v8, -v38
	v_fma_f32 v36, v7, v32, -v36
	s_delay_alu instid0(VALU_DEP_4) | instskip(NEXT) | instid1(VALU_DEP_4)
	v_fmac_f32_e32 v35, v7, v31
	v_fma_f32 v37, v8, v34, -v37
	s_delay_alu instid0(VALU_DEP_4) | instskip(NEXT) | instid1(VALU_DEP_4)
	v_fmac_f32_e32 v38, v25, v32
	v_fmac_f32_e32 v36, v25, v34
	s_delay_alu instid0(VALU_DEP_4) | instskip(NEXT) | instid1(VALU_DEP_4)
	v_fmac_f32_e32 v35, v25, v33
	v_fmac_f32_e32 v37, v25, v31
	s_clause 0x1
	global_store_b64 v[16:17], v[35:36], off
	global_store_b64 v[14:15], v[37:38], off
	s_and_saveexec_b32 s63, s6
	s_cbranch_execz .LBB81_85
; %bb.84:                               ;   in Loop: Header=BB81_83 Depth=4
	s_clause 0x1
	global_load_b64 v[31:32], v[14:15], off offset:8
	global_load_b64 v[33:34], v[16:17], off offset:8
	s_waitcnt vmcnt(0)
	v_dual_mul_f32 v35, v8, v32 :: v_dual_mul_f32 v38, v7, v34
	v_dual_mul_f32 v36, v8, v31 :: v_dual_mul_f32 v37, v7, v33
	s_delay_alu instid0(VALU_DEP_2) | instskip(NEXT) | instid1(VALU_DEP_2)
	v_fma_f32 v38, v33, -v8, -v38
	v_fma_f32 v36, v7, v32, -v36
	s_delay_alu instid0(VALU_DEP_4) | instskip(NEXT) | instid1(VALU_DEP_4)
	v_fmac_f32_e32 v35, v7, v31
	v_fma_f32 v37, v8, v34, -v37
	s_delay_alu instid0(VALU_DEP_4) | instskip(NEXT) | instid1(VALU_DEP_4)
	v_fmac_f32_e32 v38, v25, v32
	v_fmac_f32_e32 v36, v25, v34
	s_delay_alu instid0(VALU_DEP_4) | instskip(NEXT) | instid1(VALU_DEP_4)
	v_fmac_f32_e32 v35, v25, v33
	v_fmac_f32_e32 v37, v25, v31
	s_clause 0x1
	global_store_b64 v[16:17], v[35:36], off offset:8
	global_store_b64 v[14:15], v[37:38], off offset:8
.LBB81_85:                              ;   in Loop: Header=BB81_83 Depth=4
	s_or_b32 exec_lo, exec_lo, s63
	s_delay_alu instid0(SALU_CYCLE_1)
	s_and_not1_b32 vcc_lo, exec_lo, s54
	s_cbranch_vccnz .LBB81_82
; %bb.86:                               ;   in Loop: Header=BB81_83 Depth=4
	v_add3_u32 v14, v28, v29, -1
	v_add3_u32 v16, v27, v29, -1
	s_delay_alu instid0(VALU_DEP_2) | instskip(NEXT) | instid1(VALU_DEP_2)
	v_ashrrev_i32_e32 v15, 31, v14
	v_ashrrev_i32_e32 v17, 31, v16
	s_delay_alu instid0(VALU_DEP_2) | instskip(NEXT) | instid1(VALU_DEP_2)
	v_lshlrev_b64 v[14:15], 3, v[14:15]
	v_lshlrev_b64 v[16:17], 3, v[16:17]
	s_delay_alu instid0(VALU_DEP_2) | instskip(NEXT) | instid1(VALU_DEP_3)
	v_add_co_u32 v14, vcc_lo, s10, v14
	v_add_co_ci_u32_e32 v15, vcc_lo, s11, v15, vcc_lo
	s_delay_alu instid0(VALU_DEP_3) | instskip(NEXT) | instid1(VALU_DEP_4)
	v_add_co_u32 v16, vcc_lo, s10, v16
	v_add_co_ci_u32_e32 v17, vcc_lo, s11, v17, vcc_lo
	s_clause 0x1
	global_load_b64 v[31:32], v[14:15], off
	global_load_b64 v[33:34], v[16:17], off
	s_waitcnt vmcnt(0)
	v_dual_mul_f32 v35, v8, v32 :: v_dual_mul_f32 v38, v7, v34
	v_dual_mul_f32 v36, v8, v31 :: v_dual_mul_f32 v37, v7, v33
	s_delay_alu instid0(VALU_DEP_2) | instskip(NEXT) | instid1(VALU_DEP_2)
	v_fma_f32 v38, v33, -v8, -v38
	v_fma_f32 v36, v7, v32, -v36
	s_delay_alu instid0(VALU_DEP_4) | instskip(NEXT) | instid1(VALU_DEP_4)
	v_fmac_f32_e32 v35, v7, v31
	v_fma_f32 v37, v8, v34, -v37
	s_delay_alu instid0(VALU_DEP_4) | instskip(NEXT) | instid1(VALU_DEP_4)
	v_fmac_f32_e32 v38, v25, v32
	v_fmac_f32_e32 v36, v25, v34
	s_delay_alu instid0(VALU_DEP_4) | instskip(NEXT) | instid1(VALU_DEP_4)
	v_fmac_f32_e32 v35, v25, v33
	v_fmac_f32_e32 v37, v25, v31
	s_clause 0x1
	global_store_b64 v[16:17], v[35:36], off
	global_store_b64 v[14:15], v[37:38], off
	s_and_saveexec_b32 s63, s6
	s_cbranch_execz .LBB81_81
; %bb.87:                               ;   in Loop: Header=BB81_83 Depth=4
	s_clause 0x1
	global_load_b64 v[31:32], v[14:15], off offset:8
	global_load_b64 v[33:34], v[16:17], off offset:8
	s_waitcnt vmcnt(0)
	v_dual_mul_f32 v35, v8, v32 :: v_dual_mul_f32 v38, v7, v34
	v_dual_mul_f32 v36, v8, v31 :: v_dual_mul_f32 v37, v7, v33
	s_delay_alu instid0(VALU_DEP_2) | instskip(NEXT) | instid1(VALU_DEP_2)
	v_fma_f32 v38, v33, -v8, -v38
	v_fma_f32 v36, v7, v32, -v36
	s_delay_alu instid0(VALU_DEP_4) | instskip(NEXT) | instid1(VALU_DEP_4)
	v_fmac_f32_e32 v35, v7, v31
	v_fma_f32 v37, v8, v34, -v37
	s_delay_alu instid0(VALU_DEP_4) | instskip(NEXT) | instid1(VALU_DEP_4)
	v_fmac_f32_e32 v38, v25, v32
	v_fmac_f32_e32 v36, v25, v34
	s_delay_alu instid0(VALU_DEP_4) | instskip(NEXT) | instid1(VALU_DEP_4)
	v_fmac_f32_e32 v35, v25, v33
	v_fmac_f32_e32 v37, v25, v31
	s_clause 0x1
	global_store_b64 v[16:17], v[35:36], off offset:8
	global_store_b64 v[14:15], v[37:38], off offset:8
	s_branch .LBB81_81
.LBB81_88:                              ;   in Loop: Header=BB81_48 Depth=3
	s_or_b32 exec_lo, exec_lo, s62
	s_delay_alu instid0(SALU_CYCLE_1)
	s_mov_b32 s6, exec_lo
.LBB81_89:                              ;   in Loop: Header=BB81_48 Depth=3
	s_or_b32 exec_lo, exec_lo, s61
	s_waitcnt lgkmcnt(0)
	v_xor_b32_e32 v13, 0x80000000, v8
	v_mov_b32_e32 v14, v7
	s_and_b32 s8, s6, exec_lo
.LBB81_90:                              ;   in Loop: Header=BB81_48 Depth=3
	s_or_b32 exec_lo, exec_lo, s7
	s_waitcnt_vscnt null, 0x0
	s_barrier
	buffer_gl0_inv
	s_and_saveexec_b32 s6, s8
	s_cbranch_execz .LBB81_95
; %bb.91:                               ;   in Loop: Header=BB81_48 Depth=3
	v_dual_mov_b32 v17, v4 :: v_dual_add_nc_u32 v10, v23, v2
	v_dual_mov_b32 v16, v22 :: v_dual_add_nc_u32 v11, v23, v0
	v_add_nc_u32_e32 v12, v24, v0
	v_add_nc_u32_e32 v15, v24, v2
	s_mov_b32 s7, 0
	s_mov_b32 s8, 0
	s_branch .LBB81_93
.LBB81_92:                              ;   in Loop: Header=BB81_93 Depth=4
	s_or_b32 exec_lo, exec_lo, s9
	v_add_nc_u32_e32 v17, s33, v17
	v_add_nc_u32_e32 v16, s38, v16
	s_add_i32 s8, s8, s39
	s_delay_alu instid0(VALU_DEP_2) | instskip(SKIP_1) | instid1(SALU_CYCLE_1)
	v_cmp_le_i32_e32 vcc_lo, s28, v17
	s_or_b32 s7, vcc_lo, s7
	s_and_not1_b32 exec_lo, exec_lo, s7
	s_cbranch_execz .LBB81_95
.LBB81_93:                              ;   Parent Loop BB81_43 Depth=1
                                        ;     Parent Loop BB81_46 Depth=2
                                        ;       Parent Loop BB81_48 Depth=3
                                        ; =>      This Inner Loop Header: Depth=4
	v_add_nc_u32_e32 v27, s8, v12
	v_add_nc_u32_e32 v29, s8, v15
	s_mov_b32 s9, exec_lo
	s_delay_alu instid0(VALU_DEP_2) | instskip(NEXT) | instid1(VALU_DEP_2)
	v_ashrrev_i32_e32 v28, 31, v27
	v_ashrrev_i32_e32 v30, 31, v29
	s_delay_alu instid0(VALU_DEP_2) | instskip(NEXT) | instid1(VALU_DEP_2)
	v_lshlrev_b64 v[27:28], 3, v[27:28]
	v_lshlrev_b64 v[29:30], 3, v[29:30]
	s_delay_alu instid0(VALU_DEP_2) | instskip(NEXT) | instid1(VALU_DEP_3)
	v_add_co_u32 v27, vcc_lo, s30, v27
	v_add_co_ci_u32_e32 v28, vcc_lo, s31, v28, vcc_lo
	s_delay_alu instid0(VALU_DEP_3) | instskip(NEXT) | instid1(VALU_DEP_4)
	v_add_co_u32 v29, vcc_lo, s30, v29
	v_add_co_ci_u32_e32 v30, vcc_lo, s31, v30, vcc_lo
	s_clause 0x1
	global_load_b64 v[31:32], v[27:28], off
	global_load_b64 v[33:34], v[29:30], off
	s_waitcnt vmcnt(0)
	v_dual_mul_f32 v36, v14, v32 :: v_dual_mul_f32 v37, v7, v33
	v_mul_f32_e32 v38, v7, v34
	s_delay_alu instid0(VALU_DEP_2) | instskip(SKIP_1) | instid1(VALU_DEP_4)
	v_fmac_f32_e32 v36, v8, v31
	v_mul_f32_e32 v35, v8, v32
	v_fma_f32 v37, v13, v34, -v37
	s_delay_alu instid0(VALU_DEP_4) | instskip(NEXT) | instid1(VALU_DEP_4)
	v_fma_f32 v38, v33, -v13, -v38
	v_fmac_f32_e32 v36, v25, v34
	s_delay_alu instid0(VALU_DEP_4) | instskip(NEXT) | instid1(VALU_DEP_4)
	v_fma_f32 v35, v14, v31, -v35
	v_fmac_f32_e32 v37, v25, v31
	s_delay_alu instid0(VALU_DEP_4) | instskip(NEXT) | instid1(VALU_DEP_3)
	v_fmac_f32_e32 v38, v25, v32
	v_fmac_f32_e32 v35, v25, v33
	s_clause 0x1
	global_store_b64 v[29:30], v[35:36], off
	global_store_b64 v[27:28], v[37:38], off
	v_cmpx_gt_i32_e64 s15, v16
	s_cbranch_execz .LBB81_92
; %bb.94:                               ;   in Loop: Header=BB81_93 Depth=4
	v_add_nc_u32_e32 v27, s8, v11
	v_add_nc_u32_e32 v29, s8, v10
	s_delay_alu instid0(VALU_DEP_2) | instskip(NEXT) | instid1(VALU_DEP_2)
	v_ashrrev_i32_e32 v28, 31, v27
	v_ashrrev_i32_e32 v30, 31, v29
	s_delay_alu instid0(VALU_DEP_2) | instskip(NEXT) | instid1(VALU_DEP_2)
	v_lshlrev_b64 v[27:28], 3, v[27:28]
	v_lshlrev_b64 v[29:30], 3, v[29:30]
	s_delay_alu instid0(VALU_DEP_2) | instskip(NEXT) | instid1(VALU_DEP_3)
	v_add_co_u32 v27, vcc_lo, s30, v27
	v_add_co_ci_u32_e32 v28, vcc_lo, s31, v28, vcc_lo
	s_delay_alu instid0(VALU_DEP_3) | instskip(NEXT) | instid1(VALU_DEP_4)
	v_add_co_u32 v29, vcc_lo, s30, v29
	v_add_co_ci_u32_e32 v30, vcc_lo, s31, v30, vcc_lo
	s_clause 0x1
	global_load_b64 v[31:32], v[27:28], off
	global_load_b64 v[33:34], v[29:30], off
	s_waitcnt vmcnt(1)
	v_mul_f32_e32 v36, v14, v32
	s_waitcnt vmcnt(0)
	v_dual_mul_f32 v35, v8, v32 :: v_dual_mul_f32 v38, v7, v34
	s_delay_alu instid0(VALU_DEP_2) | instskip(NEXT) | instid1(VALU_DEP_2)
	v_dual_fmac_f32 v36, v8, v31 :: v_dual_mul_f32 v37, v7, v33
	v_fma_f32 v35, v14, v31, -v35
	s_delay_alu instid0(VALU_DEP_3) | instskip(NEXT) | instid1(VALU_DEP_3)
	v_fma_f32 v38, v33, -v13, -v38
	v_fmac_f32_e32 v36, v25, v34
	s_delay_alu instid0(VALU_DEP_4) | instskip(NEXT) | instid1(VALU_DEP_4)
	v_fma_f32 v37, v13, v34, -v37
	v_fmac_f32_e32 v35, v25, v33
	s_delay_alu instid0(VALU_DEP_4) | instskip(NEXT) | instid1(VALU_DEP_3)
	v_fmac_f32_e32 v38, v25, v32
	v_fmac_f32_e32 v37, v25, v31
	s_clause 0x1
	global_store_b64 v[29:30], v[35:36], off
	global_store_b64 v[27:28], v[37:38], off
	s_branch .LBB81_92
.LBB81_95:                              ;   in Loop: Header=BB81_48 Depth=3
	s_or_b32 exec_lo, exec_lo, s6
	s_waitcnt_vscnt null, 0x0
	s_barrier
	buffer_gl0_inv
	s_and_saveexec_b32 s6, s17
	s_cbranch_execz .LBB81_97
; %bb.96:                               ;   in Loop: Header=BB81_48 Depth=3
	v_mad_u64_u32 v[10:11], null, v0, s15, v[2:3]
	v_mad_u64_u32 v[15:16], null, v2, s15, v[0:1]
	s_mov_b32 s17, s16
	s_delay_alu instid0(SALU_CYCLE_1) | instskip(NEXT) | instid1(VALU_DEP_3)
	v_dual_mov_b32 v28, s17 :: v_dual_mov_b32 v27, s16
	v_ashrrev_i32_e32 v11, 31, v10
	s_delay_alu instid0(VALU_DEP_3) | instskip(NEXT) | instid1(VALU_DEP_2)
	v_ashrrev_i32_e32 v16, 31, v15
	v_lshlrev_b64 v[10:11], 3, v[10:11]
	s_delay_alu instid0(VALU_DEP_2) | instskip(NEXT) | instid1(VALU_DEP_2)
	v_lshlrev_b64 v[15:16], 3, v[15:16]
	v_add_co_u32 v10, vcc_lo, s30, v10
	s_delay_alu instid0(VALU_DEP_3) | instskip(NEXT) | instid1(VALU_DEP_3)
	v_add_co_ci_u32_e32 v11, vcc_lo, s31, v11, vcc_lo
	v_add_co_u32 v15, vcc_lo, s30, v15
	s_delay_alu instid0(VALU_DEP_4)
	v_add_co_ci_u32_e32 v16, vcc_lo, s31, v16, vcc_lo
	s_clause 0x1
	global_store_b64 v[10:11], v[27:28], off
	global_store_b64 v[15:16], v[27:28], off
.LBB81_97:                              ;   in Loop: Header=BB81_48 Depth=3
	s_or_b32 exec_lo, exec_lo, s6
	s_and_b32 s5, s2, s5
	s_waitcnt_vscnt null, 0x0
	s_barrier
	buffer_gl0_inv
	s_and_saveexec_b32 s6, s5
	s_cbranch_execz .LBB81_109
; %bb.98:                               ;   in Loop: Header=BB81_48 Depth=3
	s_mov_b32 s7, exec_lo
	v_cmpx_lt_i32_e32 0, v2
	s_cbranch_execz .LBB81_104
; %bb.99:                               ;   in Loop: Header=BB81_48 Depth=3
	v_cmp_ne_u32_e32 vcc_lo, 2, v2
	v_cmp_ne_u32_e64 s5, s49, v2
                                        ; implicit-def: $vgpr10
	s_delay_alu instid0(VALU_DEP_1) | instskip(NEXT) | instid1(SALU_CYCLE_1)
	s_and_b32 s5, vcc_lo, s5
	s_and_saveexec_b32 s8, s5
	s_delay_alu instid0(SALU_CYCLE_1)
	s_xor_b32 s5, exec_lo, s8
; %bb.100:                              ;   in Loop: Header=BB81_48 Depth=3
	v_and_b32_e32 v10, 1, v2
	s_delay_alu instid0(VALU_DEP_1) | instskip(SKIP_1) | instid1(VALU_DEP_1)
	v_cmp_eq_u32_e32 vcc_lo, 0, v10
	v_cndmask_b32_e64 v10, 2, -2, vcc_lo
	v_add_nc_u32_e32 v10, v10, v2
                                        ; implicit-def: $vgpr2
; %bb.101:                              ;   in Loop: Header=BB81_48 Depth=3
	s_and_not1_saveexec_b32 s5, s5
; %bb.102:                              ;   in Loop: Header=BB81_48 Depth=3
	v_add_nc_u32_e32 v10, -1, v2
; %bb.103:                              ;   in Loop: Header=BB81_48 Depth=3
	s_or_b32 exec_lo, exec_lo, s5
	v_lshl_add_u32 v2, v9, 2, s47
	ds_store_b32 v2, v10
.LBB81_104:                             ;   in Loop: Header=BB81_48 Depth=3
	s_or_b32 exec_lo, exec_lo, s7
	v_cmp_ne_u32_e32 vcc_lo, 2, v0
	v_cmp_ne_u32_e64 s5, s49, v0
                                        ; implicit-def: $vgpr2
	s_delay_alu instid0(VALU_DEP_1) | instskip(NEXT) | instid1(SALU_CYCLE_1)
	s_and_b32 s5, vcc_lo, s5
	s_and_saveexec_b32 s7, s5
	s_delay_alu instid0(SALU_CYCLE_1)
	s_xor_b32 s5, exec_lo, s7
; %bb.105:                              ;   in Loop: Header=BB81_48 Depth=3
	v_and_b32_e32 v2, 1, v0
	s_delay_alu instid0(VALU_DEP_1) | instskip(SKIP_1) | instid1(VALU_DEP_1)
	v_cmp_eq_u32_e32 vcc_lo, 0, v2
	v_cndmask_b32_e64 v2, 2, -2, vcc_lo
	v_add_nc_u32_e32 v2, v2, v0
                                        ; implicit-def: $vgpr0
; %bb.106:                              ;   in Loop: Header=BB81_48 Depth=3
	s_and_not1_saveexec_b32 s5, s5
; %bb.107:                              ;   in Loop: Header=BB81_48 Depth=3
	v_add_nc_u32_e32 v2, -1, v0
; %bb.108:                              ;   in Loop: Header=BB81_48 Depth=3
	s_or_b32 exec_lo, exec_lo, s5
	ds_store_b32 v26, v2
.LBB81_109:                             ;   in Loop: Header=BB81_48 Depth=3
	s_or_b32 exec_lo, exec_lo, s6
	s_add_i32 s5, s60, 1
	s_cmp_eq_u32 s60, s50
	s_waitcnt lgkmcnt(0)
	s_barrier
	buffer_gl0_inv
	s_cbranch_scc1 .LBB81_45
; %bb.110:                              ;   in Loop: Header=BB81_48 Depth=3
	s_mov_b32 s60, s5
	s_branch .LBB81_48
.LBB81_111:                             ;   in Loop: Header=BB81_43 Depth=1
	s_and_saveexec_b32 s6, s2
	s_cbranch_execz .LBB81_121
; %bb.112:                              ;   in Loop: Header=BB81_43 Depth=1
	v_mov_b32_e32 v0, 0
	s_and_saveexec_b32 s7, s4
	s_cbranch_execz .LBB81_120
; %bb.113:                              ;   in Loop: Header=BB81_43 Depth=1
	v_mov_b32_e32 v10, v6
	v_dual_mov_b32 v0, 0 :: v_dual_mov_b32 v9, v5
	v_mov_b32_e32 v2, v1
	s_mov_b32 s8, 0
	s_set_inst_prefetch_distance 0x1
	s_branch .LBB81_115
	.p2align	6
.LBB81_114:                             ;   in Loop: Header=BB81_115 Depth=2
	s_or_b32 exec_lo, exec_lo, s9
	v_add_nc_u32_e32 v2, s18, v2
	v_add_co_u32 v9, s5, v9, s42
	s_delay_alu instid0(VALU_DEP_1) | instskip(NEXT) | instid1(VALU_DEP_3)
	v_add_co_ci_u32_e64 v10, s5, s43, v10, s5
	v_cmp_le_i32_e32 vcc_lo, s15, v2
	s_or_b32 s8, vcc_lo, s8
	s_delay_alu instid0(SALU_CYCLE_1)
	s_and_not1_b32 exec_lo, exec_lo, s8
	s_cbranch_execz .LBB81_119
.LBB81_115:                             ;   Parent Loop BB81_43 Depth=1
                                        ; =>  This Loop Header: Depth=2
                                        ;       Child Loop BB81_117 Depth 3
	s_mov_b32 s9, exec_lo
	v_cmpx_lt_i32_e32 0, v2
	s_cbranch_execz .LBB81_114
; %bb.116:                              ;   in Loop: Header=BB81_115 Depth=2
	v_dual_mov_b32 v12, v10 :: v_dual_mov_b32 v11, v9
	s_mov_b32 s17, 0
	s_mov_b32 s35, 0
.LBB81_117:                             ;   Parent Loop BB81_43 Depth=1
                                        ;     Parent Loop BB81_115 Depth=2
                                        ; =>    This Inner Loop Header: Depth=3
	global_load_b64 v[15:16], v[11:12], off offset:-4
	s_add_i32 s35, s35, 1
	v_add_co_u32 v11, vcc_lo, v11, s44
	v_cmp_ge_i32_e64 s5, s35, v2
	v_add_co_ci_u32_e32 v12, vcc_lo, s45, v12, vcc_lo
	s_delay_alu instid0(VALU_DEP_2) | instskip(SKIP_2) | instid1(VALU_DEP_1)
	s_or_b32 s17, s5, s17
	s_waitcnt vmcnt(0)
	v_mul_f32_e32 v16, v16, v16
	v_fmac_f32_e32 v16, v15, v15
	s_delay_alu instid0(VALU_DEP_1)
	v_fmac_f32_e32 v0, 2.0, v16
	s_and_not1_b32 exec_lo, exec_lo, s17
	s_cbranch_execnz .LBB81_117
; %bb.118:                              ;   in Loop: Header=BB81_115 Depth=2
	s_or_b32 exec_lo, exec_lo, s17
	s_branch .LBB81_114
.LBB81_119:                             ;   in Loop: Header=BB81_43 Depth=1
	s_set_inst_prefetch_distance 0x2
	s_or_b32 exec_lo, exec_lo, s8
.LBB81_120:                             ;   in Loop: Header=BB81_43 Depth=1
	s_delay_alu instid0(SALU_CYCLE_1)
	s_or_b32 exec_lo, exec_lo, s7
	ds_store_b32 v19, v0
.LBB81_121:                             ;   in Loop: Header=BB81_43 Depth=1
	s_or_b32 exec_lo, exec_lo, s6
	v_mov_b32_e32 v2, 0
	s_and_not1_b32 vcc_lo, exec_lo, s14
	s_waitcnt lgkmcnt(0)
	s_barrier
	buffer_gl0_inv
	s_cbranch_vccnz .LBB81_42
; %bb.122:                              ;   in Loop: Header=BB81_43 Depth=1
	s_mov_b32 s5, 0
	s_and_not1_b32 vcc_lo, exec_lo, s57
	s_cbranch_vccnz .LBB81_126
; %bb.123:                              ;   in Loop: Header=BB81_43 Depth=1
	s_mov_b32 s6, 0
	.p2align	6
.LBB81_124:                             ;   Parent Loop BB81_43 Depth=1
                                        ; =>  This Inner Loop Header: Depth=2
	s_delay_alu instid0(SALU_CYCLE_1)
	v_mov_b32_e32 v0, s6
	s_add_i32 s5, s5, 8
	s_add_i32 s6, s6, 32
	s_cmp_lg_u32 s58, s5
	ds_load_2addr_b64 v[9:12], v0 offset1:1
	ds_load_2addr_b64 v[26:29], v0 offset0:2 offset1:3
	s_waitcnt lgkmcnt(1)
	v_add_f32_e32 v0, v2, v9
	s_delay_alu instid0(VALU_DEP_1) | instskip(NEXT) | instid1(VALU_DEP_1)
	v_add_f32_e32 v0, v0, v10
	v_add_f32_e32 v0, v0, v11
	s_delay_alu instid0(VALU_DEP_1) | instskip(SKIP_1) | instid1(VALU_DEP_1)
	v_add_f32_e32 v0, v0, v12
	s_waitcnt lgkmcnt(0)
	v_add_f32_e32 v0, v0, v26
	s_delay_alu instid0(VALU_DEP_1) | instskip(NEXT) | instid1(VALU_DEP_1)
	v_add_f32_e32 v0, v0, v27
	v_add_f32_e32 v0, v0, v28
	s_delay_alu instid0(VALU_DEP_1)
	v_add_f32_e32 v2, v0, v29
	s_cbranch_scc1 .LBB81_124
; %bb.125:                              ;   in Loop: Header=BB81_43 Depth=1
	s_mov_b32 s5, s58
.LBB81_126:                             ;   in Loop: Header=BB81_43 Depth=1
	s_and_not1_b32 vcc_lo, exec_lo, s59
	s_cbranch_vccnz .LBB81_42
; %bb.127:                              ;   in Loop: Header=BB81_43 Depth=1
	s_lshl_b32 s5, s5, 2
	s_mov_b32 s6, s56
	s_add_i32 s5, s5, 0
.LBB81_128:                             ;   Parent Loop BB81_43 Depth=1
                                        ; =>  This Inner Loop Header: Depth=2
	s_delay_alu instid0(SALU_CYCLE_1)
	v_mov_b32_e32 v0, s5
	s_add_i32 s6, s6, -1
	s_add_i32 s5, s5, 4
	s_cmp_lg_u32 s6, 0
	ds_load_b32 v0, v0
	s_waitcnt lgkmcnt(0)
	v_add_f32_e32 v2, v2, v0
	s_cbranch_scc1 .LBB81_128
	s_branch .LBB81_42
.LBB81_129:
	s_mul_i32 s3, s36, s25
	s_mul_hi_u32 s4, s36, s24
	s_mul_i32 s5, s37, s24
	s_add_i32 s3, s4, s3
	s_mul_i32 s4, s36, s24
	s_add_i32 s5, s3, s5
	s_and_saveexec_b32 s3, s2
	s_cbranch_execz .LBB81_135
; %bb.130:
	s_mov_b32 s6, exec_lo
	v_cmpx_eq_u32_e32 0, v1
	s_cbranch_execz .LBB81_132
; %bb.131:
	v_mul_f32_e32 v0, 0x4f800000, v2
	v_cmp_gt_f32_e32 vcc_lo, 0xf800000, v2
	s_load_b64 s[8:9], s[0:1], 0x30
	s_lshl_b64 s[16:17], s[36:37], 2
	s_delay_alu instid0(VALU_DEP_2) | instskip(NEXT) | instid1(VALU_DEP_1)
	v_cndmask_b32_e32 v0, v2, v0, vcc_lo
	v_sqrt_f32_e32 v2, v0
	s_waitcnt_depctr 0xfff
	v_add_nc_u32_e32 v3, -1, v2
	v_add_nc_u32_e32 v4, 1, v2
	s_delay_alu instid0(VALU_DEP_2) | instskip(NEXT) | instid1(VALU_DEP_2)
	v_fma_f32 v5, -v3, v2, v0
	v_fma_f32 v6, -v4, v2, v0
	s_delay_alu instid0(VALU_DEP_2) | instskip(NEXT) | instid1(VALU_DEP_1)
	v_cmp_ge_f32_e64 s0, 0, v5
	v_cndmask_b32_e64 v2, v2, v3, s0
	s_delay_alu instid0(VALU_DEP_3) | instskip(NEXT) | instid1(VALU_DEP_1)
	v_cmp_lt_f32_e64 s0, 0, v6
	v_cndmask_b32_e64 v2, v2, v4, s0
	s_waitcnt lgkmcnt(0)
	s_add_u32 s0, s8, s16
	s_addc_u32 s1, s9, s17
	s_add_u32 s8, s20, s16
	s_addc_u32 s9, s21, s17
	v_mul_f32_e32 v3, 0x37800000, v2
	s_add_u32 s16, s26, s16
	s_addc_u32 s17, s27, s17
	s_cmp_gt_i32 s29, s46
	s_delay_alu instid0(VALU_DEP_1)
	v_cndmask_b32_e32 v2, v2, v3, vcc_lo
	v_cmp_class_f32_e64 vcc_lo, v0, 0x260
	s_cselect_b32 s7, -1, 0
	s_min_i32 s14, s29, s46
	v_mov_b32_e32 v3, 0
	v_cndmask_b32_e64 v4, 0, 1, s7
	v_cndmask_b32_e32 v0, v2, v0, vcc_lo
	v_mov_b32_e32 v2, s14
	s_clause 0x2
	global_store_b32 v3, v0, s[0:1]
	global_store_b32 v3, v2, s[8:9]
	;; [unrolled: 1-line block ×3, first 2 shown]
.LBB81_132:
	s_or_b32 exec_lo, exec_lo, s6
	v_cmp_gt_i32_e32 vcc_lo, s15, v1
	s_and_b32 exec_lo, exec_lo, vcc_lo
	s_cbranch_execz .LBB81_135
; %bb.133:
	v_ashrrev_i32_e32 v2, 31, v1
	s_lshl_b64 s[0:1], s[4:5], 2
	s_add_i32 s8, s15, 1
	s_add_u32 s0, s22, s0
	s_addc_u32 s1, s23, s1
	v_lshlrev_b64 v[2:3], 2, v[1:2]
	s_ashr_i32 s29, s28, 31
	s_ashr_i32 s35, s34, 31
	v_mov_b32_e32 v0, v1
	v_cmp_lt_i64_e64 s6, s[28:29], s[34:35]
	s_delay_alu instid0(VALU_DEP_3) | instskip(SKIP_1) | instid1(VALU_DEP_3)
	v_add_co_u32 v2, vcc_lo, s0, v2
	v_add_co_ci_u32_e32 v3, vcc_lo, s1, v3, vcc_lo
	s_and_b32 s0, s6, exec_lo
	s_delay_alu instid0(VALU_DEP_2) | instskip(SKIP_2) | instid1(SALU_CYCLE_1)
	v_mad_u64_u32 v[4:5], null, v1, s15, v[1:2]
	s_cselect_b32 s1, s29, s35
	s_cselect_b32 s0, s28, s34
	s_lshl_b64 s[6:7], s[0:1], 2
	s_mul_i32 s1, s18, s8
	s_mov_b32 s8, 0
	.p2align	6
.LBB81_134:                             ; =>This Inner Loop Header: Depth=1
	s_delay_alu instid0(VALU_DEP_1) | instskip(SKIP_1) | instid1(VALU_DEP_2)
	v_ashrrev_i32_e32 v5, 31, v4
	v_add_nc_u32_e32 v0, s18, v0
	v_lshlrev_b64 v[5:6], 3, v[4:5]
	v_add_nc_u32_e32 v4, s1, v4
	s_delay_alu instid0(VALU_DEP_2) | instskip(NEXT) | instid1(VALU_DEP_3)
	v_add_co_u32 v5, vcc_lo, s30, v5
	v_add_co_ci_u32_e32 v6, vcc_lo, s31, v6, vcc_lo
	v_cmp_le_i32_e32 vcc_lo, s15, v0
	global_load_b32 v5, v[5:6], off
	s_or_b32 s8, vcc_lo, s8
	s_waitcnt vmcnt(0)
	global_store_b32 v[2:3], v5, off
	v_add_co_u32 v2, s0, v2, s6
	s_delay_alu instid0(VALU_DEP_1)
	v_add_co_ci_u32_e64 v3, s0, s7, v3, s0
	s_and_not1_b32 exec_lo, exec_lo, s8
	s_cbranch_execnz .LBB81_134
.LBB81_135:
	s_or_b32 exec_lo, exec_lo, s3
	s_cmpk_eq_i32 s12, 0xfb
	s_waitcnt_vscnt null, 0x0
	s_cselect_b32 s0, -1, 0
	s_cmp_lt_i32 s15, 2
	s_barrier
	s_cselect_b32 s1, -1, 0
	buffer_gl0_inv
	s_or_b32 s0, s0, s1
	s_delay_alu instid0(SALU_CYCLE_1)
	s_and_b32 vcc_lo, exec_lo, s0
	s_cbranch_vccnz .LBB81_146
; %bb.136:
	s_lshl_b64 s[4:5], s[4:5], 2
	v_cmp_gt_i32_e32 vcc_lo, s15, v1
	s_add_u32 s1, s4, s22
	s_addc_u32 s3, s5, s23
	s_cmpk_lg_i32 s13, 0xd5
	v_mov_b32_e32 v0, 0
	s_cselect_b32 s0, -1, 0
	s_add_i32 s14, s15, -2
	s_and_b32 s22, s0, vcc_lo
	s_add_u32 s4, s1, 4
	s_addc_u32 s5, s3, 0
	s_ashr_i32 s29, s28, 31
	s_ashr_i32 s35, s34, 31
	v_cmp_eq_u32_e32 vcc_lo, 0, v1
	v_cmp_lt_i64_e64 s0, s[28:29], s[34:35]
	v_mov_b32_e32 v2, v1
	s_mov_b32 s7, 0
	s_delay_alu instid0(SALU_CYCLE_1) | instskip(NEXT) | instid1(VALU_DEP_2)
	s_mov_b32 s6, s7
	s_and_b32 s0, s0, exec_lo
	s_cselect_b32 s9, s29, s35
	s_cselect_b32 s8, s28, s34
	s_delay_alu instid0(SALU_CYCLE_1)
	s_lshl_b64 s[8:9], s[8:9], 3
	s_branch .LBB81_138
.LBB81_137:                             ;   in Loop: Header=BB81_138 Depth=1
	s_or_b32 exec_lo, exec_lo, s20
	v_add_nc_u32_e32 v2, s19, v2
	s_add_u32 s4, s4, 4
	s_addc_u32 s5, s5, 0
	s_cmp_lg_u32 s6, s14
	s_mov_b32 s6, s23
	s_waitcnt_vscnt null, 0x0
	s_barrier
	buffer_gl0_inv
	s_cbranch_scc0 .LBB81_146
.LBB81_138:                             ; =>This Loop Header: Depth=1
                                        ;     Child Loop BB81_139 Depth 2
                                        ;     Child Loop BB81_145 Depth 2
	s_lshl_b64 s[12:13], s[6:7], 2
	s_mov_b64 s[20:21], s[4:5]
	s_add_u32 s16, s1, s12
	s_addc_u32 s17, s3, s13
	s_add_i32 s23, s6, 1
	global_load_b32 v3, v0, s[16:17]
	s_mov_b32 s12, s6
	s_mov_b32 s13, s23
.LBB81_139:                             ;   Parent Loop BB81_138 Depth=1
                                        ; =>  This Inner Loop Header: Depth=2
	global_load_b32 v4, v0, s[20:21]
	s_waitcnt vmcnt(0)
	v_cmp_lt_f32_e64 s0, v4, v3
	s_delay_alu instid0(VALU_DEP_1)
	v_cndmask_b32_e64 v3, v3, v4, s0
	s_and_b32 s0, s0, exec_lo
	s_cselect_b32 s12, s13, s12
	s_add_i32 s13, s13, 1
	s_add_u32 s20, s20, 4
	s_addc_u32 s21, s21, 0
	s_cmp_lt_i32 s13, s15
	s_cbranch_scc1 .LBB81_139
; %bb.140:                              ;   in Loop: Header=BB81_138 Depth=1
	s_cmp_lg_u32 s12, s6
	s_cselect_b32 s0, -1, 0
	s_barrier
	s_and_b32 s0, s2, s0
	buffer_gl0_inv
	s_and_saveexec_b32 s20, s0
	s_cbranch_execz .LBB81_137
; %bb.141:                              ;   in Loop: Header=BB81_138 Depth=1
	s_and_saveexec_b32 s0, vcc_lo
	s_cbranch_execz .LBB81_143
; %bb.142:                              ;   in Loop: Header=BB81_138 Depth=1
	global_load_b32 v4, v0, s[16:17]
	s_ashr_i32 s13, s12, 31
	s_delay_alu instid0(SALU_CYCLE_1) | instskip(NEXT) | instid1(SALU_CYCLE_1)
	s_lshl_b64 s[24:25], s[12:13], 2
	s_add_u32 s24, s1, s24
	s_addc_u32 s25, s3, s25
	s_waitcnt vmcnt(0)
	s_clause 0x1
	global_store_b32 v0, v4, s[24:25]
	global_store_b32 v0, v3, s[16:17]
.LBB81_143:                             ;   in Loop: Header=BB81_138 Depth=1
	s_or_b32 exec_lo, exec_lo, s0
	s_delay_alu instid0(SALU_CYCLE_1)
	s_and_b32 exec_lo, exec_lo, s22
	s_cbranch_execz .LBB81_137
; %bb.144:                              ;   in Loop: Header=BB81_138 Depth=1
	v_mad_u64_u32 v[5:6], null, s12, s19, v[1:2]
	v_ashrrev_i32_e32 v3, 31, v2
	v_mov_b32_e32 v7, v1
	s_mov_b32 s16, 0
	s_mov_b64 s[12:13], s[10:11]
	s_delay_alu instid0(VALU_DEP_2) | instskip(NEXT) | instid1(VALU_DEP_4)
	v_lshlrev_b64 v[3:4], 3, v[2:3]
	v_ashrrev_i32_e32 v6, 31, v5
	s_delay_alu instid0(VALU_DEP_1)
	v_lshlrev_b64 v[5:6], 3, v[5:6]
	.p2align	6
.LBB81_145:                             ;   Parent Loop BB81_138 Depth=1
                                        ; =>  This Inner Loop Header: Depth=2
	s_delay_alu instid0(VALU_DEP_3) | instskip(NEXT) | instid1(VALU_DEP_1)
	v_add_co_u32 v8, s0, s12, v3
	v_add_co_ci_u32_e64 v9, s0, s13, v4, s0
	s_delay_alu instid0(VALU_DEP_3) | instskip(NEXT) | instid1(VALU_DEP_1)
	v_add_co_u32 v10, s0, s12, v5
	v_add_co_ci_u32_e64 v11, s0, s13, v6, s0
	v_add_nc_u32_e32 v7, s18, v7
	s_clause 0x1
	global_load_b64 v[12:13], v[8:9], off
	global_load_b64 v[14:15], v[10:11], off
	s_add_u32 s12, s12, s8
	s_addc_u32 s13, s13, s9
	v_cmp_le_i32_e64 s0, s15, v7
	s_waitcnt vmcnt(1)
	global_store_b64 v[10:11], v[12:13], off
	s_waitcnt vmcnt(0)
	global_store_b64 v[8:9], v[14:15], off
	s_or_b32 s16, s0, s16
	s_delay_alu instid0(SALU_CYCLE_1)
	s_and_not1_b32 exec_lo, exec_lo, s16
	s_cbranch_execnz .LBB81_145
	s_branch .LBB81_137
.LBB81_146:
	s_endpgm
	.section	.rodata,"a",@progbits
	.p2align	6, 0x0
	.amdhsa_kernel _ZN9rocsolver6v33100L18syevj_small_kernelI19rocblas_complex_numIfEfPS3_EEv14rocblas_esort_14rocblas_evect_13rocblas_fill_iT1_iilT0_S9_PS9_iPiSA_lSB_PT_
		.amdhsa_group_segment_fixed_size 0
		.amdhsa_private_segment_fixed_size 0
		.amdhsa_kernarg_size 104
		.amdhsa_user_sgpr_count 14
		.amdhsa_user_sgpr_dispatch_ptr 0
		.amdhsa_user_sgpr_queue_ptr 0
		.amdhsa_user_sgpr_kernarg_segment_ptr 1
		.amdhsa_user_sgpr_dispatch_id 0
		.amdhsa_user_sgpr_private_segment_size 0
		.amdhsa_wavefront_size32 1
		.amdhsa_uses_dynamic_stack 0
		.amdhsa_enable_private_segment 0
		.amdhsa_system_sgpr_workgroup_id_x 1
		.amdhsa_system_sgpr_workgroup_id_y 0
		.amdhsa_system_sgpr_workgroup_id_z 1
		.amdhsa_system_sgpr_workgroup_info 0
		.amdhsa_system_vgpr_workitem_id 0
		.amdhsa_next_free_vgpr 39
		.amdhsa_next_free_sgpr 65
		.amdhsa_reserve_vcc 1
		.amdhsa_float_round_mode_32 0
		.amdhsa_float_round_mode_16_64 0
		.amdhsa_float_denorm_mode_32 3
		.amdhsa_float_denorm_mode_16_64 3
		.amdhsa_dx10_clamp 1
		.amdhsa_ieee_mode 1
		.amdhsa_fp16_overflow 0
		.amdhsa_workgroup_processor_mode 1
		.amdhsa_memory_ordered 1
		.amdhsa_forward_progress 0
		.amdhsa_shared_vgpr_count 0
		.amdhsa_exception_fp_ieee_invalid_op 0
		.amdhsa_exception_fp_denorm_src 0
		.amdhsa_exception_fp_ieee_div_zero 0
		.amdhsa_exception_fp_ieee_overflow 0
		.amdhsa_exception_fp_ieee_underflow 0
		.amdhsa_exception_fp_ieee_inexact 0
		.amdhsa_exception_int_div_zero 0
	.end_amdhsa_kernel
	.section	.text._ZN9rocsolver6v33100L18syevj_small_kernelI19rocblas_complex_numIfEfPS3_EEv14rocblas_esort_14rocblas_evect_13rocblas_fill_iT1_iilT0_S9_PS9_iPiSA_lSB_PT_,"axG",@progbits,_ZN9rocsolver6v33100L18syevj_small_kernelI19rocblas_complex_numIfEfPS3_EEv14rocblas_esort_14rocblas_evect_13rocblas_fill_iT1_iilT0_S9_PS9_iPiSA_lSB_PT_,comdat
.Lfunc_end81:
	.size	_ZN9rocsolver6v33100L18syevj_small_kernelI19rocblas_complex_numIfEfPS3_EEv14rocblas_esort_14rocblas_evect_13rocblas_fill_iT1_iilT0_S9_PS9_iPiSA_lSB_PT_, .Lfunc_end81-_ZN9rocsolver6v33100L18syevj_small_kernelI19rocblas_complex_numIfEfPS3_EEv14rocblas_esort_14rocblas_evect_13rocblas_fill_iT1_iilT0_S9_PS9_iPiSA_lSB_PT_
                                        ; -- End function
	.section	.AMDGPU.csdata,"",@progbits
; Kernel info:
; codeLenInByte = 8644
; NumSgprs: 67
; NumVgprs: 39
; ScratchSize: 0
; MemoryBound: 0
; FloatMode: 240
; IeeeMode: 1
; LDSByteSize: 0 bytes/workgroup (compile time only)
; SGPRBlocks: 8
; VGPRBlocks: 4
; NumSGPRsForWavesPerEU: 67
; NumVGPRsForWavesPerEU: 39
; Occupancy: 16
; WaveLimiterHint : 0
; COMPUTE_PGM_RSRC2:SCRATCH_EN: 0
; COMPUTE_PGM_RSRC2:USER_SGPR: 14
; COMPUTE_PGM_RSRC2:TRAP_HANDLER: 0
; COMPUTE_PGM_RSRC2:TGID_X_EN: 1
; COMPUTE_PGM_RSRC2:TGID_Y_EN: 0
; COMPUTE_PGM_RSRC2:TGID_Z_EN: 1
; COMPUTE_PGM_RSRC2:TIDIG_COMP_CNT: 0
	.section	.text._ZN9rocsolver6v33100L10syevj_initI19rocblas_complex_numIfEfPS3_EEv14rocblas_evect_13rocblas_fill_iiT1_iilT0_PS8_PT_S9_PiSC_SC_,"axG",@progbits,_ZN9rocsolver6v33100L10syevj_initI19rocblas_complex_numIfEfPS3_EEv14rocblas_evect_13rocblas_fill_iiT1_iilT0_PS8_PT_S9_PiSC_SC_,comdat
	.globl	_ZN9rocsolver6v33100L10syevj_initI19rocblas_complex_numIfEfPS3_EEv14rocblas_evect_13rocblas_fill_iiT1_iilT0_PS8_PT_S9_PiSC_SC_ ; -- Begin function _ZN9rocsolver6v33100L10syevj_initI19rocblas_complex_numIfEfPS3_EEv14rocblas_evect_13rocblas_fill_iiT1_iilT0_PS8_PT_S9_PiSC_SC_
	.p2align	8
	.type	_ZN9rocsolver6v33100L10syevj_initI19rocblas_complex_numIfEfPS3_EEv14rocblas_evect_13rocblas_fill_iiT1_iilT0_PS8_PT_S9_PiSC_SC_,@function
_ZN9rocsolver6v33100L10syevj_initI19rocblas_complex_numIfEfPS3_EEv14rocblas_evect_13rocblas_fill_iiT1_iilT0_PS8_PT_S9_PiSC_SC_: ; @_ZN9rocsolver6v33100L10syevj_initI19rocblas_complex_numIfEfPS3_EEv14rocblas_evect_13rocblas_fill_iiT1_iilT0_PS8_PT_S9_PiSC_SC_
; %bb.0:
	s_mov_b32 s24, s15
	s_clause 0x4
	s_load_b32 s26, s[0:1], 0x6c
	s_load_b256 s[4:11], s[0:1], 0x0
	s_load_b64 s[2:3], s[0:1], 0x20
	s_load_b128 s[20:23], s[0:1], 0x50
	s_load_b256 s[12:19], s[0:1], 0x30
	s_ashr_i32 s25, s24, 31
	s_waitcnt lgkmcnt(0)
	s_and_b32 s33, s26, 0xffff
	s_ashr_i32 s27, s10, 31
	s_mul_i32 s3, s24, s3
	s_mul_hi_u32 s26, s24, s2
	s_mul_i32 s28, s25, s2
	s_add_i32 s3, s26, s3
	s_mul_i32 s2, s24, s2
	s_add_i32 s3, s3, s28
	s_mov_b32 s26, s10
	s_lshl_b64 s[28:29], s[2:3], 3
	s_mul_i32 s2, s24, s7
	s_add_u32 s3, s8, s28
	s_addc_u32 s34, s9, s29
	s_lshl_b64 s[30:31], s[26:27], 3
	s_mul_i32 s2, s2, s7
	s_add_u32 s10, s3, s30
	s_addc_u32 s34, s34, s31
	s_ashr_i32 s3, s2, 31
	s_delay_alu instid0(SALU_CYCLE_1)
	s_lshl_b64 s[26:27], s[2:3], 3
	v_cmp_gt_i32_e64 s2, s7, v0
	s_add_u32 s35, s14, s26
	s_addc_u32 s36, s15, s27
	s_cmpk_eq_i32 s5, 0x79
	s_cbranch_scc1 .LBB82_12
; %bb.1:
	v_dual_mov_b32 v20, 0 :: v_dual_mov_b32 v21, 0
	s_mov_b32 s5, 0
	s_and_saveexec_b32 s37, s2
	s_cbranch_execz .LBB82_14
; %bb.2:
	s_add_i32 s38, s7, 1
	s_cmpk_lg_i32 s4, 0xd5
	v_dual_mov_b32 v7, 1.0 :: v_dual_lshlrev_b32 v2, 3, v0
	s_cselect_b32 s39, -1, 0
	s_add_u32 s3, s14, s26
	s_addc_u32 s42, s15, s27
	s_add_u32 s41, s3, 4
	s_addc_u32 s42, s42, 0
	;; [unrolled: 2-line block ×4, first 2 shown]
	v_add_co_u32 v3, s3, s3, v2
	s_delay_alu instid0(VALU_DEP_1)
	v_add_co_ci_u32_e64 v4, null, s8, 0, s3
	v_dual_mov_b32 v8, 0 :: v_dual_mov_b32 v9, v0
	v_mul_lo_u32 v22, v0, s11
	v_mul_lo_u32 v1, v0, s7
	v_add_co_u32 v3, vcc_lo, v3, 4
	v_add_co_u32 v5, s3, s41, v2
	v_add_co_ci_u32_e32 v4, vcc_lo, 0, v4, vcc_lo
	v_add_co_ci_u32_e64 v6, null, s42, 0, s3
	v_mov_b32_e32 v20, v8
	v_mov_b32_e32 v21, v8
	s_ashr_i32 s29, s11, 31
	s_mov_b32 s28, s11
	s_ashr_i32 s31, s7, 31
	s_mov_b32 s30, s7
	s_mul_i32 s40, s11, s33
	s_mul_i32 s43, s7, s33
	s_mov_b32 s8, 0
	s_lshl_b32 s44, s33, 3
	s_lshl_b64 s[28:29], s[28:29], 3
	s_lshl_b64 s[30:31], s[30:31], 3
	s_mov_b32 s45, 0
	s_branch .LBB82_5
.LBB82_3:                               ;   in Loop: Header=BB82_5 Depth=1
	s_set_inst_prefetch_distance 0x2
	s_or_b32 exec_lo, exec_lo, s47
.LBB82_4:                               ;   in Loop: Header=BB82_5 Depth=1
	s_delay_alu instid0(SALU_CYCLE_1) | instskip(SKIP_3) | instid1(VALU_DEP_3)
	s_or_b32 exec_lo, exec_lo, s46
	v_dual_mul_f32 v2, v11, v11 :: v_dual_add_nc_u32 v9, s33, v9
	v_add_nc_u32_e32 v1, s43, v1
	v_add_co_u32 v3, vcc_lo, v3, s44
	v_fmac_f32_e32 v2, v10, v10
	v_add_co_ci_u32_e32 v4, vcc_lo, 0, v4, vcc_lo
	v_cmp_le_i32_e32 vcc_lo, s7, v9
	v_add_co_u32 v5, s3, v5, s44
	v_add_nc_u32_e32 v22, s40, v22
	v_add_f32_e32 v21, v21, v2
	v_add_co_ci_u32_e64 v6, s3, 0, v6, s3
	s_or_b32 s45, vcc_lo, s45
	s_delay_alu instid0(SALU_CYCLE_1)
	s_and_not1_b32 exec_lo, exec_lo, s45
	s_cbranch_execz .LBB82_13
.LBB82_5:                               ; =>This Loop Header: Depth=1
                                        ;     Child Loop BB82_10 Depth 2
	v_mad_u64_u32 v[10:11], null, v9, s11, v[9:10]
	v_mul_lo_u32 v14, v9, s38
	s_delay_alu instid0(VALU_DEP_2) | instskip(NEXT) | instid1(VALU_DEP_2)
	v_ashrrev_i32_e32 v11, 31, v10
	v_ashrrev_i32_e32 v15, 31, v14
	s_delay_alu instid0(VALU_DEP_2) | instskip(NEXT) | instid1(VALU_DEP_2)
	v_lshlrev_b64 v[10:11], 3, v[10:11]
	v_lshlrev_b64 v[14:15], 3, v[14:15]
	s_delay_alu instid0(VALU_DEP_2) | instskip(NEXT) | instid1(VALU_DEP_3)
	v_add_co_u32 v12, vcc_lo, s10, v10
	v_add_co_ci_u32_e32 v13, vcc_lo, s34, v11, vcc_lo
	s_delay_alu instid0(VALU_DEP_3) | instskip(NEXT) | instid1(VALU_DEP_4)
	v_add_co_u32 v14, vcc_lo, s35, v14
	v_add_co_ci_u32_e32 v15, vcc_lo, s36, v15, vcc_lo
	global_load_b64 v[10:11], v[12:13], off
	s_and_not1_b32 vcc_lo, exec_lo, s39
	s_waitcnt vmcnt(0)
	global_store_b64 v[14:15], v[10:11], off
	s_cbranch_vccnz .LBB82_7
; %bb.6:                                ;   in Loop: Header=BB82_5 Depth=1
	global_store_b64 v[12:13], v[7:8], off
.LBB82_7:                               ;   in Loop: Header=BB82_5 Depth=1
	s_mov_b32 s46, exec_lo
	v_cmpx_ne_u32_e32 0, v9
	s_cbranch_execz .LBB82_4
; %bb.8:                                ;   in Loop: Header=BB82_5 Depth=1
	v_ashrrev_i32_e32 v2, 31, v1
	v_dual_mov_b32 v13, v6 :: v_dual_mov_b32 v12, v5
	v_dual_mov_b32 v17, v4 :: v_dual_mov_b32 v16, v3
	s_delay_alu instid0(VALU_DEP_3) | instskip(SKIP_2) | instid1(VALU_DEP_1)
	v_lshlrev_b64 v[14:15], 3, v[1:2]
	s_mov_b32 s47, 0
	s_mov_b32 s48, 0
	v_add_co_u32 v14, vcc_lo, s41, v14
	s_delay_alu instid0(VALU_DEP_2)
	v_add_co_ci_u32_e32 v15, vcc_lo, s42, v15, vcc_lo
	s_set_inst_prefetch_distance 0x1
	s_branch .LBB82_10
	.p2align	6
.LBB82_9:                               ;   in Loop: Header=BB82_10 Depth=2
	v_mul_f32_e32 v2, v19, v19
	v_add_co_u32 v14, vcc_lo, v14, 8
	v_add_co_ci_u32_e32 v15, vcc_lo, 0, v15, vcc_lo
	s_delay_alu instid0(VALU_DEP_3)
	v_fmac_f32_e32 v2, v18, v18
	v_add_co_u32 v16, vcc_lo, v16, s28
	s_add_i32 s48, s48, 1
	v_add_co_ci_u32_e32 v17, vcc_lo, s29, v17, vcc_lo
	v_cmp_ge_u32_e32 vcc_lo, s48, v9
	v_add_co_u32 v12, s3, v12, s30
	v_fmac_f32_e32 v20, 2.0, v2
	v_add_co_ci_u32_e64 v13, s3, s31, v13, s3
	s_or_b32 s47, vcc_lo, s47
	s_delay_alu instid0(SALU_CYCLE_1)
	s_and_not1_b32 exec_lo, exec_lo, s47
	s_cbranch_execz .LBB82_3
.LBB82_10:                              ;   Parent Loop BB82_5 Depth=1
                                        ; =>  This Inner Loop Header: Depth=2
	global_load_b64 v[18:19], v[16:17], off offset:-4
	s_and_not1_b32 vcc_lo, exec_lo, s39
	s_waitcnt vmcnt(0)
	v_xor_b32_e32 v24, 0x80000000, v19
	v_mov_b32_e32 v23, v18
	global_store_b64 v[12:13], v[18:19], off offset:-4
	global_store_b64 v[14:15], v[23:24], off offset:-4
	s_cbranch_vccnz .LBB82_9
; %bb.11:                               ;   in Loop: Header=BB82_10 Depth=2
	s_mov_b32 s9, s8
	s_delay_alu instid0(SALU_CYCLE_1) | instskip(SKIP_1) | instid1(VALU_DEP_2)
	v_dual_mov_b32 v26, s9 :: v_dual_add_nc_u32 v23, s48, v22
	v_mov_b32_e32 v25, s8
	v_ashrrev_i32_e32 v24, 31, v23
	s_delay_alu instid0(VALU_DEP_1) | instskip(NEXT) | instid1(VALU_DEP_1)
	v_lshlrev_b64 v[23:24], 3, v[23:24]
	v_add_co_u32 v23, vcc_lo, s10, v23
	s_delay_alu instid0(VALU_DEP_2)
	v_add_co_ci_u32_e32 v24, vcc_lo, s34, v24, vcc_lo
	global_store_b64 v[16:17], v[25:26], off offset:-4
	global_store_b64 v[23:24], v[25:26], off
	s_branch .LBB82_9
.LBB82_12:
                                        ; implicit-def: $vgpr20
                                        ; implicit-def: $vgpr21
	s_branch .LBB82_15
.LBB82_13:
	s_or_b32 exec_lo, exec_lo, s45
.LBB82_14:
	s_delay_alu instid0(SALU_CYCLE_1) | instskip(NEXT) | instid1(SALU_CYCLE_1)
	s_or_b32 exec_lo, exec_lo, s37
	s_and_not1_b32 vcc_lo, exec_lo, s5
	s_cbranch_vccnz .LBB82_28
.LBB82_15:
	v_dual_mov_b32 v20, 0 :: v_dual_mov_b32 v21, 0
	s_mov_b32 s8, 0
	s_and_saveexec_b32 s3, s2
	s_cbranch_execz .LBB82_27
; %bb.16:
	s_add_i32 s5, s7, 1
	s_cmpk_lg_i32 s4, 0xd5
	v_dual_mov_b32 v6, 0 :: v_dual_mov_b32 v5, 1.0
	s_cselect_b32 s28, -1, 0
	s_add_i32 s4, s7, -1
	v_mul_lo_u32 v19, v0, s11
	v_mad_u64_u32 v[1:2], null, s11, s4, v[0:1]
	s_add_u32 s2, s26, s14
	v_dual_mov_b32 v7, v0 :: v_dual_mov_b32 v20, v6
	v_mov_b32_e32 v21, v6
	s_addc_u32 s9, s27, s15
	s_add_u32 s14, s2, 4
	s_delay_alu instid0(VALU_DEP_3)
	v_mad_u64_u32 v[2:3], null, s7, s4, v[0:1]
	v_mad_u64_u32 v[3:4], null, s7, v0, s[4:5]
	s_addc_u32 s15, s9, 0
	s_mul_i32 s26, s7, s33
	s_mul_i32 s29, s11, s33
	s_mov_b32 s27, 0
	s_branch .LBB82_19
.LBB82_17:                              ;   in Loop: Header=BB82_19 Depth=1
	s_or_b32 exec_lo, exec_lo, s31
.LBB82_18:                              ;   in Loop: Header=BB82_19 Depth=1
	s_delay_alu instid0(SALU_CYCLE_1) | instskip(SKIP_3) | instid1(VALU_DEP_3)
	s_or_b32 exec_lo, exec_lo, s30
	v_dual_mul_f32 v4, v9, v9 :: v_dual_add_nc_u32 v7, s33, v7
	v_add_nc_u32_e32 v3, s26, v3
	v_add_nc_u32_e32 v19, s29, v19
	v_dual_fmac_f32 v4, v8, v8 :: v_dual_add_nc_u32 v1, s33, v1
	s_delay_alu instid0(VALU_DEP_4) | instskip(NEXT) | instid1(VALU_DEP_2)
	v_cmp_le_i32_e32 vcc_lo, s7, v7
	v_dual_add_f32 v21, v21, v4 :: v_dual_add_nc_u32 v2, s33, v2
	s_or_b32 s27, vcc_lo, s27
	s_delay_alu instid0(SALU_CYCLE_1)
	s_and_not1_b32 exec_lo, exec_lo, s27
	s_cbranch_execz .LBB82_26
.LBB82_19:                              ; =>This Loop Header: Depth=1
                                        ;     Child Loop BB82_24 Depth 2
	v_mad_u64_u32 v[8:9], null, v7, s11, v[7:8]
	v_mul_lo_u32 v12, v7, s5
	s_delay_alu instid0(VALU_DEP_2) | instskip(NEXT) | instid1(VALU_DEP_2)
	v_ashrrev_i32_e32 v9, 31, v8
	v_ashrrev_i32_e32 v13, 31, v12
	s_delay_alu instid0(VALU_DEP_2) | instskip(NEXT) | instid1(VALU_DEP_2)
	v_lshlrev_b64 v[8:9], 3, v[8:9]
	v_lshlrev_b64 v[12:13], 3, v[12:13]
	s_delay_alu instid0(VALU_DEP_2) | instskip(NEXT) | instid1(VALU_DEP_3)
	v_add_co_u32 v10, vcc_lo, s10, v8
	v_add_co_ci_u32_e32 v11, vcc_lo, s34, v9, vcc_lo
	s_delay_alu instid0(VALU_DEP_3) | instskip(NEXT) | instid1(VALU_DEP_4)
	v_add_co_u32 v12, vcc_lo, s35, v12
	v_add_co_ci_u32_e32 v13, vcc_lo, s36, v13, vcc_lo
	global_load_b64 v[8:9], v[10:11], off
	s_and_not1_b32 vcc_lo, exec_lo, s28
	s_waitcnt vmcnt(0)
	global_store_b64 v[12:13], v[8:9], off
	s_cbranch_vccnz .LBB82_21
; %bb.20:                               ;   in Loop: Header=BB82_19 Depth=1
	global_store_b64 v[10:11], v[5:6], off
.LBB82_21:                              ;   in Loop: Header=BB82_19 Depth=1
	s_mov_b32 s30, exec_lo
	v_cmpx_gt_i32_e64 s4, v7
	s_cbranch_execz .LBB82_18
; %bb.22:                               ;   in Loop: Header=BB82_19 Depth=1
	v_ashrrev_i32_e32 v4, 31, v3
	v_mov_b32_e32 v10, v2
	v_mov_b32_e32 v14, v1
	s_mov_b32 s31, 0
	s_mov_b32 s37, s4
	v_lshlrev_b64 v[12:13], 3, v[3:4]
	s_delay_alu instid0(VALU_DEP_1) | instskip(NEXT) | instid1(VALU_DEP_2)
	v_add_co_u32 v12, vcc_lo, s14, v12
	v_add_co_ci_u32_e32 v13, vcc_lo, s15, v13, vcc_lo
	s_branch .LBB82_24
.LBB82_23:                              ;   in Loop: Header=BB82_24 Depth=2
	v_mul_f32_e32 v4, v16, v16
	s_add_i32 s37, s37, -1
	v_add_co_u32 v12, s2, v12, -8
	v_cmp_le_i32_e32 vcc_lo, s37, v7
	s_delay_alu instid0(VALU_DEP_3) | instskip(SKIP_3) | instid1(VALU_DEP_4)
	v_fmac_f32_e32 v4, v15, v15
	v_subrev_nc_u32_e32 v14, s11, v14
	v_subrev_nc_u32_e32 v10, s7, v10
	v_add_co_ci_u32_e64 v13, s2, -1, v13, s2
	v_fmac_f32_e32 v20, 2.0, v4
	s_or_b32 s31, vcc_lo, s31
	s_delay_alu instid0(SALU_CYCLE_1)
	s_and_not1_b32 exec_lo, exec_lo, s31
	s_cbranch_execz .LBB82_17
.LBB82_24:                              ;   Parent Loop BB82_19 Depth=1
                                        ; =>  This Inner Loop Header: Depth=2
	v_ashrrev_i32_e32 v15, 31, v14
	v_ashrrev_i32_e32 v11, 31, v10
	s_delay_alu instid0(VALU_DEP_2) | instskip(NEXT) | instid1(VALU_DEP_2)
	v_lshlrev_b64 v[15:16], 3, v[14:15]
	v_lshlrev_b64 v[22:23], 3, v[10:11]
	s_delay_alu instid0(VALU_DEP_2) | instskip(NEXT) | instid1(VALU_DEP_3)
	v_add_co_u32 v17, vcc_lo, s10, v15
	v_add_co_ci_u32_e32 v18, vcc_lo, s34, v16, vcc_lo
	s_delay_alu instid0(VALU_DEP_3) | instskip(NEXT) | instid1(VALU_DEP_4)
	v_add_co_u32 v22, vcc_lo, s35, v22
	v_add_co_ci_u32_e32 v23, vcc_lo, s36, v23, vcc_lo
	global_load_b64 v[15:16], v[17:18], off
	s_and_not1_b32 vcc_lo, exec_lo, s28
	s_waitcnt vmcnt(0)
	v_xor_b32_e32 v25, 0x80000000, v16
	v_mov_b32_e32 v24, v15
	global_store_b64 v[22:23], v[15:16], off
	global_store_b64 v[12:13], v[24:25], off offset:-4
	s_cbranch_vccnz .LBB82_23
; %bb.25:                               ;   in Loop: Header=BB82_24 Depth=2
	s_mov_b32 s9, s8
	s_delay_alu instid0(SALU_CYCLE_1) | instskip(SKIP_1) | instid1(VALU_DEP_2)
	v_dual_mov_b32 v25, s9 :: v_dual_add_nc_u32 v22, s37, v19
	v_mov_b32_e32 v24, s8
	v_ashrrev_i32_e32 v23, 31, v22
	s_delay_alu instid0(VALU_DEP_1) | instskip(NEXT) | instid1(VALU_DEP_1)
	v_lshlrev_b64 v[22:23], 3, v[22:23]
	v_add_co_u32 v22, vcc_lo, s10, v22
	s_delay_alu instid0(VALU_DEP_2)
	v_add_co_ci_u32_e32 v23, vcc_lo, s34, v23, vcc_lo
	s_clause 0x1
	global_store_b64 v[17:18], v[24:25], off
	global_store_b64 v[22:23], v[24:25], off
	s_branch .LBB82_23
.LBB82_26:
	s_or_b32 exec_lo, exec_lo, s27
.LBB82_27:
	s_delay_alu instid0(SALU_CYCLE_1)
	s_or_b32 exec_lo, exec_lo, s3
.LBB82_28:
	v_lshlrev_b32_e32 v1, 2, v0
	s_lshl_b32 s2, s33, 2
	s_mov_b32 s3, exec_lo
	s_delay_alu instid0(VALU_DEP_1)
	v_add_nc_u32_e32 v2, 0, v1
	v_add3_u32 v3, 0, s2, v1
	ds_store_b32 v2, v20
	ds_store_b32 v3, v21
	s_waitcnt lgkmcnt(0)
	s_waitcnt_vscnt null, 0x0
	s_barrier
	buffer_gl0_inv
	v_cmpx_eq_u32_e32 0, v0
	s_cbranch_execz .LBB82_40
; %bb.29:
	s_min_i32 s4, s33, s7
	s_delay_alu instid0(SALU_CYCLE_1)
	s_cmp_lt_i32 s4, 2
	s_cbranch_scc1 .LBB82_37
; %bb.30:
	s_add_i32 s5, s4, -2
	s_add_i32 s4, s4, -1
	s_cmp_lt_u32 s5, 7
	s_cbranch_scc1 .LBB82_34
; %bb.31:
	s_and_b32 s5, s4, -8
	s_mov_b32 s8, 0
	s_add_i32 s7, 0, 4
	s_set_inst_prefetch_distance 0x1
	.p2align	6
.LBB82_32:                              ; =>This Inner Loop Header: Depth=1
	s_add_i32 s9, s7, s2
	v_mov_b32_e32 v12, s7
	v_mov_b32_e32 v16, s9
	s_mov_b32 s9, s8
	s_add_i32 s8, s8, 8
	s_add_i32 s7, s7, 32
	ds_load_2addr_b32 v[2:3], v12 offset1:1
	ds_load_2addr_b32 v[4:5], v16 offset1:1
	ds_load_2addr_b32 v[6:7], v12 offset0:2 offset1:3
	ds_load_2addr_b32 v[8:9], v16 offset0:2 offset1:3
	;; [unrolled: 1-line block ×6, first 2 shown]
	s_cmp_lg_u32 s5, s8
	s_waitcnt lgkmcnt(7)
	v_add_f32_e32 v2, v20, v2
	s_waitcnt lgkmcnt(6)
	v_add_f32_e32 v4, v21, v4
	s_delay_alu instid0(VALU_DEP_1) | instskip(SKIP_1) | instid1(VALU_DEP_1)
	v_dual_add_f32 v2, v2, v3 :: v_dual_add_f32 v3, v4, v5
	s_waitcnt lgkmcnt(4)
	v_add_f32_e32 v3, v3, v8
	s_delay_alu instid0(VALU_DEP_1) | instskip(SKIP_1) | instid1(VALU_DEP_1)
	v_add_f32_e32 v3, v3, v9
	s_waitcnt lgkmcnt(1)
	v_add_f32_e32 v3, v3, v14
	s_delay_alu instid0(VALU_DEP_1) | instskip(SKIP_1) | instid1(VALU_DEP_1)
	v_add_f32_e32 v3, v3, v15
	s_waitcnt lgkmcnt(0)
	v_dual_add_f32 v3, v3, v16 :: v_dual_add_f32 v2, v2, v6
	s_delay_alu instid0(VALU_DEP_1) | instskip(NEXT) | instid1(VALU_DEP_1)
	v_dual_add_f32 v21, v3, v17 :: v_dual_add_f32 v2, v2, v7
	v_add_f32_e32 v2, v2, v10
	s_delay_alu instid0(VALU_DEP_1) | instskip(NEXT) | instid1(VALU_DEP_1)
	v_add_f32_e32 v2, v2, v11
	v_add_f32_e32 v2, v2, v12
	s_delay_alu instid0(VALU_DEP_1)
	v_add_f32_e32 v20, v2, v13
	s_cbranch_scc1 .LBB82_32
; %bb.33:
	s_set_inst_prefetch_distance 0x2
	s_add_i32 s5, s9, 9
	s_and_b32 s4, s4, 7
	s_delay_alu instid0(SALU_CYCLE_1)
	s_cmp_eq_u32 s4, 0
	s_cbranch_scc0 .LBB82_35
	s_branch .LBB82_37
.LBB82_34:
	s_mov_b32 s5, 1
	s_and_b32 s4, s4, 7
	s_delay_alu instid0(SALU_CYCLE_1)
	s_cmp_eq_u32 s4, 0
	s_cbranch_scc1 .LBB82_37
.LBB82_35:
	s_lshl_b32 s5, s5, 2
	s_delay_alu instid0(SALU_CYCLE_1)
	s_add_i32 s5, s5, 0
.LBB82_36:                              ; =>This Inner Loop Header: Depth=1
	s_delay_alu instid0(SALU_CYCLE_1) | instskip(NEXT) | instid1(SALU_CYCLE_1)
	s_add_i32 s7, s5, s2
	v_dual_mov_b32 v2, s5 :: v_dual_mov_b32 v3, s7
	s_add_i32 s4, s4, -1
	s_add_i32 s5, s5, 4
	s_cmp_lg_u32 s4, 0
	ds_load_b32 v2, v2
	ds_load_b32 v3, v3
	s_waitcnt lgkmcnt(0)
	v_dual_add_f32 v20, v20, v2 :: v_dual_add_f32 v21, v21, v3
	s_cbranch_scc1 .LBB82_36
.LBB82_37:
	s_load_b32 s4, s[0:1], 0x28
	s_delay_alu instid0(VALU_DEP_1) | instskip(SKIP_2) | instid1(VALU_DEP_1)
	v_add_f32_e32 v2, v21, v20
	s_lshl_b64 s[0:1], s[24:25], 2
	s_waitcnt lgkmcnt(0)
	v_dual_mul_f32 v3, s4, v2 :: v_dual_mov_b32 v2, 0
	s_delay_alu instid0(VALU_DEP_1)
	v_mul_f32_e32 v3, s4, v3
	s_add_u32 s4, s16, s0
	s_addc_u32 s5, s17, s1
	s_add_u32 s8, s12, s0
	s_addc_u32 s9, s13, s1
	s_clause 0x1
	global_store_b32 v2, v3, s[4:5]
	global_store_b32 v2, v20, s[8:9]
	global_load_b32 v3, v2, s[4:5]
	s_waitcnt vmcnt(0)
	v_cmp_lt_f32_e32 vcc_lo, v20, v3
	s_and_b32 exec_lo, exec_lo, vcc_lo
	s_cbranch_execz .LBB82_40
; %bb.38:
	s_mov_b32 s4, exec_lo
	v_mov_b32_e32 v4, 1
	v_mbcnt_lo_u32_b32 v3, s4, 0
	s_add_u32 s0, s22, s0
	s_addc_u32 s1, s23, s1
	global_store_b32 v2, v4, s[0:1] offset:4
	v_cmp_eq_u32_e32 vcc_lo, 0, v3
	s_and_b32 s0, exec_lo, vcc_lo
	s_delay_alu instid0(SALU_CYCLE_1)
	s_mov_b32 exec_lo, s0
	s_cbranch_execz .LBB82_40
; %bb.39:
	s_bcnt1_i32_b32 s0, s4
	s_delay_alu instid0(SALU_CYCLE_1)
	v_dual_mov_b32 v2, 0 :: v_dual_mov_b32 v3, s0
	global_atomic_add_u32 v2, v3, s[22:23]
.LBB82_40:
	s_or_b32 exec_lo, exec_lo, s3
	s_cmp_eq_u32 s24, 0
	v_cmp_gt_i32_e32 vcc_lo, s6, v0
	s_cselect_b32 s0, -1, 0
	s_cmp_lg_u64 s[18:19], 0
	s_cselect_b32 s1, -1, 0
	s_cmp_lg_u64 s[20:21], 0
	s_cselect_b32 s3, -1, 0
	s_delay_alu instid0(SALU_CYCLE_1) | instskip(NEXT) | instid1(SALU_CYCLE_1)
	s_and_b32 s1, s1, s3
	s_and_b32 s0, s1, s0
	s_mov_b32 s1, 0
	s_and_b32 s0, s0, vcc_lo
	s_delay_alu instid0(SALU_CYCLE_1)
	s_and_saveexec_b32 s3, s0
	s_cbranch_execz .LBB82_43
; %bb.41:
	v_dual_mov_b32 v3, 0 :: v_dual_lshlrev_b32 v2, 1, v0
	s_lshl_b32 s3, s33, 1
	.p2align	6
.LBB82_42:                              ; =>This Inner Loop Header: Depth=1
	v_add_co_u32 v4, vcc_lo, s18, v1
	v_add_nc_u32_e32 v0, s33, v0
	s_delay_alu instid0(VALU_DEP_3)
	v_add_co_ci_u32_e32 v5, vcc_lo, s19, v3, vcc_lo
	v_add_co_u32 v6, vcc_lo, s20, v1
	v_add_co_ci_u32_e32 v7, vcc_lo, s21, v3, vcc_lo
	v_add_co_u32 v1, vcc_lo, v1, s2
	v_cmp_le_i32_e64 s0, s6, v0
	v_add_nc_u32_e32 v8, 1, v2
	v_add_co_ci_u32_e32 v3, vcc_lo, 0, v3, vcc_lo
	global_store_b32 v[4:5], v2, off
	v_add_nc_u32_e32 v2, s3, v2
	s_or_b32 s1, s0, s1
	global_store_b32 v[6:7], v8, off
	s_and_not1_b32 exec_lo, exec_lo, s1
	s_cbranch_execnz .LBB82_42
.LBB82_43:
	s_nop 0
	s_sendmsg sendmsg(MSG_DEALLOC_VGPRS)
	s_endpgm
	.section	.rodata,"a",@progbits
	.p2align	6, 0x0
	.amdhsa_kernel _ZN9rocsolver6v33100L10syevj_initI19rocblas_complex_numIfEfPS3_EEv14rocblas_evect_13rocblas_fill_iiT1_iilT0_PS8_PT_S9_PiSC_SC_
		.amdhsa_group_segment_fixed_size 0
		.amdhsa_private_segment_fixed_size 0
		.amdhsa_kernarg_size 352
		.amdhsa_user_sgpr_count 14
		.amdhsa_user_sgpr_dispatch_ptr 0
		.amdhsa_user_sgpr_queue_ptr 0
		.amdhsa_user_sgpr_kernarg_segment_ptr 1
		.amdhsa_user_sgpr_dispatch_id 0
		.amdhsa_user_sgpr_private_segment_size 0
		.amdhsa_wavefront_size32 1
		.amdhsa_uses_dynamic_stack 0
		.amdhsa_enable_private_segment 0
		.amdhsa_system_sgpr_workgroup_id_x 1
		.amdhsa_system_sgpr_workgroup_id_y 1
		.amdhsa_system_sgpr_workgroup_id_z 0
		.amdhsa_system_sgpr_workgroup_info 0
		.amdhsa_system_vgpr_workitem_id 0
		.amdhsa_next_free_vgpr 27
		.amdhsa_next_free_sgpr 49
		.amdhsa_reserve_vcc 1
		.amdhsa_float_round_mode_32 0
		.amdhsa_float_round_mode_16_64 0
		.amdhsa_float_denorm_mode_32 3
		.amdhsa_float_denorm_mode_16_64 3
		.amdhsa_dx10_clamp 1
		.amdhsa_ieee_mode 1
		.amdhsa_fp16_overflow 0
		.amdhsa_workgroup_processor_mode 1
		.amdhsa_memory_ordered 1
		.amdhsa_forward_progress 0
		.amdhsa_shared_vgpr_count 0
		.amdhsa_exception_fp_ieee_invalid_op 0
		.amdhsa_exception_fp_denorm_src 0
		.amdhsa_exception_fp_ieee_div_zero 0
		.amdhsa_exception_fp_ieee_overflow 0
		.amdhsa_exception_fp_ieee_underflow 0
		.amdhsa_exception_fp_ieee_inexact 0
		.amdhsa_exception_int_div_zero 0
	.end_amdhsa_kernel
	.section	.text._ZN9rocsolver6v33100L10syevj_initI19rocblas_complex_numIfEfPS3_EEv14rocblas_evect_13rocblas_fill_iiT1_iilT0_PS8_PT_S9_PiSC_SC_,"axG",@progbits,_ZN9rocsolver6v33100L10syevj_initI19rocblas_complex_numIfEfPS3_EEv14rocblas_evect_13rocblas_fill_iiT1_iilT0_PS8_PT_S9_PiSC_SC_,comdat
.Lfunc_end82:
	.size	_ZN9rocsolver6v33100L10syevj_initI19rocblas_complex_numIfEfPS3_EEv14rocblas_evect_13rocblas_fill_iiT1_iilT0_PS8_PT_S9_PiSC_SC_, .Lfunc_end82-_ZN9rocsolver6v33100L10syevj_initI19rocblas_complex_numIfEfPS3_EEv14rocblas_evect_13rocblas_fill_iiT1_iilT0_PS8_PT_S9_PiSC_SC_
                                        ; -- End function
	.section	.AMDGPU.csdata,"",@progbits
; Kernel info:
; codeLenInByte = 2296
; NumSgprs: 51
; NumVgprs: 27
; ScratchSize: 0
; MemoryBound: 0
; FloatMode: 240
; IeeeMode: 1
; LDSByteSize: 0 bytes/workgroup (compile time only)
; SGPRBlocks: 6
; VGPRBlocks: 3
; NumSGPRsForWavesPerEU: 51
; NumVGPRsForWavesPerEU: 27
; Occupancy: 16
; WaveLimiterHint : 0
; COMPUTE_PGM_RSRC2:SCRATCH_EN: 0
; COMPUTE_PGM_RSRC2:USER_SGPR: 14
; COMPUTE_PGM_RSRC2:TRAP_HANDLER: 0
; COMPUTE_PGM_RSRC2:TGID_X_EN: 1
; COMPUTE_PGM_RSRC2:TGID_Y_EN: 1
; COMPUTE_PGM_RSRC2:TGID_Z_EN: 0
; COMPUTE_PGM_RSRC2:TIDIG_COMP_CNT: 0
	.section	.text._ZN9rocsolver6v33100L17syevj_diag_kernelI19rocblas_complex_numIfEfPS3_EEviT1_iilT0_PT_Pi,"axG",@progbits,_ZN9rocsolver6v33100L17syevj_diag_kernelI19rocblas_complex_numIfEfPS3_EEviT1_iilT0_PT_Pi,comdat
	.globl	_ZN9rocsolver6v33100L17syevj_diag_kernelI19rocblas_complex_numIfEfPS3_EEviT1_iilT0_PT_Pi ; -- Begin function _ZN9rocsolver6v33100L17syevj_diag_kernelI19rocblas_complex_numIfEfPS3_EEviT1_iilT0_PT_Pi
	.p2align	8
	.type	_ZN9rocsolver6v33100L17syevj_diag_kernelI19rocblas_complex_numIfEfPS3_EEviT1_iilT0_PT_Pi,@function
_ZN9rocsolver6v33100L17syevj_diag_kernelI19rocblas_complex_numIfEfPS3_EEviT1_iilT0_PT_Pi: ; @_ZN9rocsolver6v33100L17syevj_diag_kernelI19rocblas_complex_numIfEfPS3_EEviT1_iilT0_PT_Pi
; %bb.0:
	s_load_b128 s[4:7], s[0:1], 0x28
	s_mov_b32 s10, s15
	s_ashr_i32 s11, s15, 31
	s_delay_alu instid0(SALU_CYCLE_1)
	s_lshl_b64 s[2:3], s[10:11], 2
	s_waitcnt lgkmcnt(0)
	s_add_u32 s2, s6, s2
	s_addc_u32 s3, s7, s3
	s_load_b32 s2, s[2:3], 0x4
	s_waitcnt lgkmcnt(0)
	s_cmp_lg_u32 s2, 0
	s_cbranch_scc1 .LBB83_56
; %bb.1:
	s_clause 0x1
	s_load_b32 s12, s[0:1], 0x0
	s_load_b32 s6, s[0:1], 0x44
	s_add_u32 s2, s0, 56
	s_addc_u32 s3, s1, 0
	v_and_b32_e32 v9, 0x3ff, v0
	v_bfe_u32 v1, v0, 10, 10
	s_delay_alu instid0(VALU_DEP_1)
	v_max_i32_e32 v0, v9, v1
	s_waitcnt lgkmcnt(0)
	s_add_i32 s7, s12, -1
	s_and_b32 s6, s6, 0xffff
	s_lshr_b32 s8, s7, 31
	s_lshl_b32 s6, s6, 1
	s_add_i32 s7, s7, s8
	s_mul_i32 s13, s6, s14
	s_and_b32 s7, s7, -2
	s_delay_alu instid0(SALU_CYCLE_1) | instskip(NEXT) | instid1(SALU_CYCLE_1)
	s_sub_i32 s7, s7, s13
	s_add_i32 s7, s7, 2
	s_delay_alu instid0(SALU_CYCLE_1) | instskip(SKIP_2) | instid1(SALU_CYCLE_1)
	s_min_i32 s17, s6, s7
	s_mov_b32 s7, exec_lo
	s_ashr_i32 s16, s17, 1
	v_cmpx_gt_i32_e64 s16, v0
	s_cbranch_execz .LBB83_56
; %bb.2:
	s_cmp_eq_u64 s[4:5], 0
	s_mov_b64 s[8:9], 0
	s_cbranch_scc1 .LBB83_4
; %bb.3:
	s_load_b32 s2, s[2:3], 0x0
	s_waitcnt lgkmcnt(0)
	s_mul_i32 s2, s2, s10
	s_delay_alu instid0(SALU_CYCLE_1) | instskip(NEXT) | instid1(SALU_CYCLE_1)
	s_add_i32 s2, s2, s14
	s_mul_i32 s2, s6, s2
	s_delay_alu instid0(SALU_CYCLE_1) | instskip(NEXT) | instid1(SALU_CYCLE_1)
	s_mul_i32 s2, s2, s6
	s_ashr_i32 s3, s2, 31
	s_delay_alu instid0(SALU_CYCLE_1) | instskip(NEXT) | instid1(SALU_CYCLE_1)
	s_lshl_b64 s[2:3], s[2:3], 3
	s_add_u32 s8, s4, s2
	s_addc_u32 s9, s5, s3
.LBB83_4:
	v_lshlrev_b32_e32 v2, 1, v1
	v_lshlrev_b32_e32 v0, 1, v9
	s_cmp_lg_u64 s[8:9], 0
	s_cselect_b32 s14, -1, 0
	s_delay_alu instid0(VALU_DEP_2)
	v_mul_u32_u24_e32 v10, s6, v2
	v_mad_u32_u24 v11, s6, v2, s6
	s_cmp_eq_u64 s[8:9], 0
	s_cbranch_scc1 .LBB83_6
; %bb.5:
	s_delay_alu instid0(VALU_DEP_2) | instskip(NEXT) | instid1(VALU_DEP_2)
	v_add_lshl_u32 v12, v10, v0, 3
	v_dual_mov_b32 v4, 0 :: v_dual_add_nc_u32 v5, v11, v0
	v_add_co_u32 v7, s3, v11, v0
	s_mov_b32 s2, 0
	v_add_co_ci_u32_e64 v8, null, 0, 0, s3
	v_add_co_u32 v12, s3, s8, v12
	s_delay_alu instid0(VALU_DEP_1) | instskip(SKIP_1) | instid1(SALU_CYCLE_1)
	v_add_co_ci_u32_e64 v13, null, s9, 0, s3
	s_mov_b32 s3, s2
	v_dual_mov_b32 v6, v4 :: v_dual_mov_b32 v15, s3
	v_cmp_eq_u32_e32 vcc_lo, v0, v2
	v_lshlrev_b64 v[7:8], 3, v[7:8]
	v_mov_b32_e32 v14, s2
	s_delay_alu instid0(VALU_DEP_4) | instskip(SKIP_1) | instid1(VALU_DEP_2)
	v_lshlrev_b64 v[5:6], 3, v[5:6]
	v_cndmask_b32_e64 v3, 0, 1.0, vcc_lo
	v_add_co_u32 v5, vcc_lo, s8, v5
	s_delay_alu instid0(VALU_DEP_3)
	v_add_co_ci_u32_e32 v6, vcc_lo, s9, v6, vcc_lo
	v_add_co_u32 v7, vcc_lo, s8, v7
	v_add_co_ci_u32_e32 v8, vcc_lo, s9, v8, vcc_lo
	s_clause 0x3
	flat_store_b64 v[12:13], v[3:4]
	flat_store_b64 v[5:6], v[14:15]
	flat_store_b64 v[12:13], v[14:15] offset:8
	flat_store_b64 v[7:8], v[3:4] offset:8
.LBB83_6:
	v_add_nc_u32_e32 v0, s13, v0
	s_lshl_b32 s4, s16, 2
	s_lshl_b32 s5, s16, 3
	s_add_i32 s3, s4, 0
	v_cmp_eq_u32_e64 s2, 0, v1
	v_or_b32_e32 v1, 1, v0
	v_lshlrev_b32_e32 v3, 2, v9
	s_add_i32 s18, s3, s5
	s_delay_alu instid0(SALU_CYCLE_1)
	s_add_i32 s15, s18, s4
	s_and_saveexec_b32 s4, s2
	s_cbranch_execz .LBB83_8
; %bb.7:
	v_add_nc_u32_e32 v4, s18, v3
	v_add_nc_u32_e32 v5, s15, v3
	ds_store_b32 v4, v0
	ds_store_b32 v5, v1
.LBB83_8:
	s_or_b32 exec_lo, exec_lo, s4
	s_cmp_lt_i32 s17, 2
	s_cbranch_scc1 .LBB83_56
; %bb.9:
	s_clause 0x2
	s_load_b32 s22, s[0:1], 0x20
	s_load_b128 s[4:7], s[0:1], 0x8
	s_load_b64 s[20:21], s[0:1], 0x18
	s_mov_b32 s0, 0x800000
	v_add_nc_u32_e32 v13, s18, v3
	v_lshl_add_u32 v15, v9, 3, s3
                                        ; implicit-def: $vgpr21
	s_delay_alu instid0(VALU_DEP_2)
	v_add_nc_u32_e32 v16, -4, v13
	s_waitcnt lgkmcnt(0)
	s_ashr_i32 s19, s6, 31
	v_div_scale_f32 v4, null, s22, s22, 0x800000
	v_div_scale_f32 v7, vcc_lo, s0, s22, s0
	s_mul_i32 s1, s10, s21
	s_delay_alu instid0(VALU_DEP_2)
	v_rcp_f32_e32 v5, v4
	s_mul_hi_u32 s3, s10, s20
	s_mul_i32 s11, s11, s20
	s_add_i32 s1, s3, s1
	s_mul_i32 s10, s10, s20
	s_add_i32 s11, s1, s11
	s_mov_b32 s18, s6
	s_lshl_b64 s[10:11], s[10:11], 3
	s_delay_alu instid0(SALU_CYCLE_1)
	s_add_u32 s1, s4, s10
	s_waitcnt_depctr 0xfff
	v_fma_f32 v6, -v4, v5, 1.0
	v_add_nc_u32_e32 v2, s13, v2
	s_addc_u32 s3, s5, s11
	s_lshl_b64 s[10:11], s[18:19], 3
	s_delay_alu instid0(VALU_DEP_2)
	v_dual_fmac_f32 v5, v6, v5 :: v_dual_add_nc_u32 v12, 0, v3
	v_add_nc_u32_e32 v14, s15, v3
	v_or_b32_e32 v3, 1, v2
	v_mul_lo_u32 v17, v2, s7
	s_add_u32 s5, s1, s10
	s_addc_u32 s6, s3, s11
	s_add_i32 s16, s16, -1
	v_cmp_gt_i32_e64 s0, s12, v3
	v_mul_f32_e32 v3, v7, v5
	s_add_i32 s1, s15, -4
	s_mov_b32 s10, 0
	v_add_nc_u32_e32 v18, s7, v17
	s_add_i32 s17, s17, -1
	v_fma_f32 v8, -v4, v3, v7
	s_delay_alu instid0(VALU_DEP_1) | instskip(NEXT) | instid1(VALU_DEP_1)
	v_dual_fmac_f32 v3, v8, v5 :: v_dual_add_nc_u32 v6, 4, v14
                                        ; implicit-def: $vgpr8
	v_fma_f32 v4, -v4, v3, v7
                                        ; implicit-def: $vgpr7
	s_delay_alu instid0(VALU_DEP_1) | instskip(SKIP_2) | instid1(VALU_DEP_2)
	v_div_fmas_f32 v3, v4, v5, v3
	v_cmp_eq_u32_e32 vcc_lo, s16, v9
	s_add_i32 s16, s7, 1
                                        ; implicit-def: $vgpr4
	v_div_fixup_f32 v19, v3, s22, 0x800000
	v_cndmask_b32_e64 v20, v6, s1, vcc_lo
	s_branch .LBB83_11
.LBB83_10:                              ;   in Loop: Header=BB83_11 Depth=1
	s_or_b32 exec_lo, exec_lo, s1
	s_add_i32 s17, s17, -1
	s_delay_alu instid0(SALU_CYCLE_1)
	s_cmp_lg_u32 s17, 0
	s_cbranch_scc0 .LBB83_56
.LBB83_11:                              ; =>This Inner Loop Header: Depth=1
	v_cmp_gt_i32_e64 s1, s12, v0
	v_cmp_gt_i32_e64 s3, s12, v1
	s_delay_alu instid0(VALU_DEP_2)
	s_and_b32 s4, s2, s1
	s_delay_alu instid0(VALU_DEP_1) | instid1(SALU_CYCLE_1)
	s_and_b32 s11, s4, s3
	s_delay_alu instid0(SALU_CYCLE_1)
	s_and_saveexec_b32 s18, s11
	s_cbranch_execz .LBB83_37
; %bb.12:                               ;   in Loop: Header=BB83_11 Depth=1
	v_mul_lo_u32 v23, v1, s7
                                        ; implicit-def: $vgpr22
	s_mov_b32 s4, exec_lo
	s_delay_alu instid0(VALU_DEP_1) | instskip(NEXT) | instid1(VALU_DEP_1)
	v_add_nc_u32_e32 v3, v0, v23
	v_ashrrev_i32_e32 v4, 31, v3
	s_delay_alu instid0(VALU_DEP_1) | instskip(NEXT) | instid1(VALU_DEP_1)
	v_lshlrev_b64 v[3:4], 3, v[3:4]
	v_add_co_u32 v3, vcc_lo, s5, v3
	s_delay_alu instid0(VALU_DEP_2)
	v_add_co_ci_u32_e32 v4, vcc_lo, s6, v4, vcc_lo
	global_load_b64 v[5:6], v[3:4], off
	s_waitcnt vmcnt(0)
	v_cmp_gt_f32_e32 vcc_lo, 0, v5
	v_cndmask_b32_e64 v3, v5, -v5, vcc_lo
	v_cmp_gt_f32_e32 vcc_lo, 0, v6
	v_cndmask_b32_e64 v4, v6, -v6, vcc_lo
	s_delay_alu instid0(VALU_DEP_1)
	v_cmpx_ngt_f32_e32 v3, v4
	s_xor_b32 s19, exec_lo, s4
	s_cbranch_execz .LBB83_16
; %bb.13:                               ;   in Loop: Header=BB83_11 Depth=1
	v_mov_b32_e32 v22, 0
	s_mov_b32 s20, exec_lo
	v_cmpx_neq_f32_e32 0, v6
	s_cbranch_execz .LBB83_15
; %bb.14:                               ;   in Loop: Header=BB83_11 Depth=1
	v_div_scale_f32 v21, null, v4, v4, v3
	v_div_scale_f32 v25, vcc_lo, v3, v4, v3
	s_delay_alu instid0(VALU_DEP_2) | instskip(SKIP_2) | instid1(VALU_DEP_1)
	v_rcp_f32_e32 v22, v21
	s_waitcnt_depctr 0xfff
	v_fma_f32 v24, -v21, v22, 1.0
	v_fmac_f32_e32 v22, v24, v22
	s_delay_alu instid0(VALU_DEP_1) | instskip(NEXT) | instid1(VALU_DEP_1)
	v_mul_f32_e32 v24, v25, v22
	v_fma_f32 v26, -v21, v24, v25
	s_delay_alu instid0(VALU_DEP_1) | instskip(NEXT) | instid1(VALU_DEP_1)
	v_fmac_f32_e32 v24, v26, v22
	v_fma_f32 v21, -v21, v24, v25
	s_delay_alu instid0(VALU_DEP_1) | instskip(NEXT) | instid1(VALU_DEP_1)
	v_div_fmas_f32 v21, v21, v22, v24
	v_div_fixup_f32 v3, v21, v4, v3
	s_delay_alu instid0(VALU_DEP_1) | instskip(NEXT) | instid1(VALU_DEP_1)
	v_fma_f32 v3, v3, v3, 1.0
	v_mul_f32_e32 v21, 0x4f800000, v3
	v_cmp_gt_f32_e32 vcc_lo, 0xf800000, v3
	s_delay_alu instid0(VALU_DEP_2) | instskip(NEXT) | instid1(VALU_DEP_1)
	v_cndmask_b32_e32 v3, v3, v21, vcc_lo
	v_sqrt_f32_e32 v21, v3
	s_waitcnt_depctr 0xfff
	v_add_nc_u32_e32 v22, -1, v21
	v_add_nc_u32_e32 v24, 1, v21
	s_delay_alu instid0(VALU_DEP_2) | instskip(NEXT) | instid1(VALU_DEP_2)
	v_fma_f32 v25, -v22, v21, v3
	v_fma_f32 v26, -v24, v21, v3
	s_delay_alu instid0(VALU_DEP_2) | instskip(NEXT) | instid1(VALU_DEP_1)
	v_cmp_ge_f32_e64 s4, 0, v25
	v_cndmask_b32_e64 v21, v21, v22, s4
	s_delay_alu instid0(VALU_DEP_3) | instskip(NEXT) | instid1(VALU_DEP_1)
	v_cmp_lt_f32_e64 s4, 0, v26
	v_cndmask_b32_e64 v21, v21, v24, s4
	s_delay_alu instid0(VALU_DEP_1) | instskip(NEXT) | instid1(VALU_DEP_1)
	v_mul_f32_e32 v22, 0x37800000, v21
	v_cndmask_b32_e32 v21, v21, v22, vcc_lo
	v_cmp_class_f32_e64 vcc_lo, v3, 0x260
	s_delay_alu instid0(VALU_DEP_2) | instskip(NEXT) | instid1(VALU_DEP_1)
	v_cndmask_b32_e32 v3, v21, v3, vcc_lo
	v_mul_f32_e32 v22, v4, v3
.LBB83_15:                              ;   in Loop: Header=BB83_11 Depth=1
	s_or_b32 exec_lo, exec_lo, s20
                                        ; implicit-def: $vgpr3
                                        ; implicit-def: $vgpr4
.LBB83_16:                              ;   in Loop: Header=BB83_11 Depth=1
	s_and_not1_saveexec_b32 s19, s19
	s_cbranch_execz .LBB83_18
; %bb.17:                               ;   in Loop: Header=BB83_11 Depth=1
	v_div_scale_f32 v21, null, v3, v3, v4
	v_div_scale_f32 v25, vcc_lo, v4, v3, v4
	s_delay_alu instid0(VALU_DEP_2) | instskip(SKIP_2) | instid1(VALU_DEP_1)
	v_rcp_f32_e32 v22, v21
	s_waitcnt_depctr 0xfff
	v_fma_f32 v24, -v21, v22, 1.0
	v_fmac_f32_e32 v22, v24, v22
	s_delay_alu instid0(VALU_DEP_1) | instskip(NEXT) | instid1(VALU_DEP_1)
	v_mul_f32_e32 v24, v25, v22
	v_fma_f32 v26, -v21, v24, v25
	s_delay_alu instid0(VALU_DEP_1) | instskip(NEXT) | instid1(VALU_DEP_1)
	v_fmac_f32_e32 v24, v26, v22
	v_fma_f32 v21, -v21, v24, v25
	s_delay_alu instid0(VALU_DEP_1) | instskip(NEXT) | instid1(VALU_DEP_1)
	v_div_fmas_f32 v21, v21, v22, v24
	v_div_fixup_f32 v4, v21, v3, v4
	s_delay_alu instid0(VALU_DEP_1) | instskip(NEXT) | instid1(VALU_DEP_1)
	v_fma_f32 v4, v4, v4, 1.0
	v_mul_f32_e32 v21, 0x4f800000, v4
	v_cmp_gt_f32_e32 vcc_lo, 0xf800000, v4
	s_delay_alu instid0(VALU_DEP_2) | instskip(NEXT) | instid1(VALU_DEP_1)
	v_cndmask_b32_e32 v4, v4, v21, vcc_lo
	v_sqrt_f32_e32 v21, v4
	s_waitcnt_depctr 0xfff
	v_add_nc_u32_e32 v22, -1, v21
	v_add_nc_u32_e32 v24, 1, v21
	s_delay_alu instid0(VALU_DEP_2) | instskip(NEXT) | instid1(VALU_DEP_2)
	v_fma_f32 v25, -v22, v21, v4
	v_fma_f32 v26, -v24, v21, v4
	s_delay_alu instid0(VALU_DEP_2) | instskip(NEXT) | instid1(VALU_DEP_1)
	v_cmp_ge_f32_e64 s4, 0, v25
	v_cndmask_b32_e64 v21, v21, v22, s4
	s_delay_alu instid0(VALU_DEP_3) | instskip(NEXT) | instid1(VALU_DEP_1)
	v_cmp_lt_f32_e64 s4, 0, v26
	v_cndmask_b32_e64 v21, v21, v24, s4
	s_delay_alu instid0(VALU_DEP_1) | instskip(NEXT) | instid1(VALU_DEP_1)
	v_mul_f32_e32 v22, 0x37800000, v21
	v_cndmask_b32_e32 v21, v21, v22, vcc_lo
	v_cmp_class_f32_e64 vcc_lo, v4, 0x260
	s_delay_alu instid0(VALU_DEP_2) | instskip(NEXT) | instid1(VALU_DEP_1)
	v_cndmask_b32_e32 v4, v21, v4, vcc_lo
	v_mul_f32_e32 v22, v3, v4
.LBB83_18:                              ;   in Loop: Header=BB83_11 Depth=1
	s_or_b32 exec_lo, exec_lo, s19
	s_delay_alu instid0(VALU_DEP_1) | instskip(SKIP_1) | instid1(VALU_DEP_2)
	v_dual_mul_f32 v3, v22, v22 :: v_dual_mov_b32 v4, 0
	v_mov_b32_e32 v21, 1.0
	v_cmp_nlt_f32_e32 vcc_lo, v3, v19
	s_delay_alu instid0(VALU_DEP_3)
	v_mov_b32_e32 v3, v4
	s_and_saveexec_b32 s19, vcc_lo
	s_cbranch_execz .LBB83_36
; %bb.19:                               ;   in Loop: Header=BB83_11 Depth=1
	v_add_nc_u32_e32 v3, v23, v1
	v_mul_lo_u32 v23, v0, s16
	s_mov_b32 s4, exec_lo
	s_delay_alu instid0(VALU_DEP_2) | instskip(NEXT) | instid1(VALU_DEP_2)
	v_ashrrev_i32_e32 v4, 31, v3
	v_ashrrev_i32_e32 v24, 31, v23
	s_delay_alu instid0(VALU_DEP_2) | instskip(NEXT) | instid1(VALU_DEP_2)
	v_lshlrev_b64 v[3:4], 3, v[3:4]
	v_lshlrev_b64 v[23:24], 3, v[23:24]
	s_delay_alu instid0(VALU_DEP_2) | instskip(NEXT) | instid1(VALU_DEP_3)
	v_add_co_u32 v3, vcc_lo, s5, v3
	v_add_co_ci_u32_e32 v4, vcc_lo, s6, v4, vcc_lo
	s_delay_alu instid0(VALU_DEP_3) | instskip(NEXT) | instid1(VALU_DEP_4)
	v_add_co_u32 v23, vcc_lo, s5, v23
	v_add_co_ci_u32_e32 v24, vcc_lo, s6, v24, vcc_lo
	s_clause 0x1
	global_load_b32 v4, v[3:4], off
	global_load_b32 v21, v[23:24], off
	v_add_f32_e32 v3, v22, v22
	s_waitcnt vmcnt(0)
	v_sub_f32_e32 v23, v4, v21
	s_delay_alu instid0(VALU_DEP_1) | instskip(NEXT) | instid1(VALU_DEP_1)
	v_max_f32_e64 v4, |v23|, |v3|
	v_cvt_f64_f32_e32 v[24:25], v4
	s_delay_alu instid0(VALU_DEP_1) | instskip(NEXT) | instid1(VALU_DEP_1)
	v_frexp_exp_i32_f64_e32 v21, v[24:25]
	v_sub_nc_u32_e32 v24, 0, v21
	s_delay_alu instid0(VALU_DEP_1) | instskip(SKIP_1) | instid1(VALU_DEP_2)
	v_ldexp_f32 v25, |v3|, v24
	v_ldexp_f32 v24, |v23|, v24
	v_mul_f32_e32 v25, v25, v25
	s_delay_alu instid0(VALU_DEP_1) | instskip(NEXT) | instid1(VALU_DEP_1)
	v_fmac_f32_e32 v25, v24, v24
                                        ; implicit-def: $vgpr24
	v_sqrt_f32_e32 v25, v25
	v_cmpx_ngt_f32_e32 0, v23
	s_xor_b32 s4, exec_lo, s4
; %bb.20:                               ;   in Loop: Header=BB83_11 Depth=1
	s_waitcnt_depctr 0xfff
	v_ldexp_f32 v21, v25, v21
	v_cmp_neq_f32_e32 vcc_lo, 0x7f800000, v4
                                        ; implicit-def: $vgpr25
                                        ; implicit-def: $vgpr4
	s_delay_alu instid0(VALU_DEP_2)
	v_cndmask_b32_e32 v24, 0x7f800000, v21, vcc_lo
                                        ; implicit-def: $vgpr21
; %bb.21:                               ;   in Loop: Header=BB83_11 Depth=1
	s_and_not1_saveexec_b32 s4, s4
; %bb.22:                               ;   in Loop: Header=BB83_11 Depth=1
	v_ldexp_f32 v21, -v25, v21
	v_cmp_neq_f32_e32 vcc_lo, 0x7f800000, v4
	s_delay_alu instid0(VALU_DEP_2)
	v_cndmask_b32_e32 v24, 0xff800000, v21, vcc_lo
; %bb.23:                               ;   in Loop: Header=BB83_11 Depth=1
	s_or_b32 exec_lo, exec_lo, s4
	v_dual_mov_b32 v4, 0 :: v_dual_mov_b32 v21, 1.0
	s_mov_b32 s20, exec_lo
	v_cmpx_neq_f32_e32 0, v3
	s_cbranch_execz .LBB83_31
; %bb.24:                               ;   in Loop: Header=BB83_11 Depth=1
	v_dual_add_f32 v23, v23, v24 :: v_dual_mov_b32 v4, 1.0
	v_mov_b32_e32 v21, 0
	s_mov_b32 s21, exec_lo
	s_delay_alu instid0(VALU_DEP_2)
	v_cmpx_neq_f32_e32 0, v23
	s_cbranch_execz .LBB83_30
; %bb.25:                               ;   in Loop: Header=BB83_11 Depth=1
	s_mov_b32 s22, exec_lo
                                        ; implicit-def: $vgpr21
                                        ; implicit-def: $vgpr4
	v_cmpx_ngt_f32_e64 |v3|, |v23|
	s_xor_b32 s22, exec_lo, s22
	s_cbranch_execz .LBB83_27
; %bb.26:                               ;   in Loop: Header=BB83_11 Depth=1
	v_div_scale_f32 v4, null, v23, v23, -v3
	v_div_scale_f32 v25, vcc_lo, -v3, v23, -v3
	s_delay_alu instid0(VALU_DEP_2) | instskip(SKIP_2) | instid1(VALU_DEP_1)
	v_rcp_f32_e32 v21, v4
	s_waitcnt_depctr 0xfff
	v_fma_f32 v24, -v4, v21, 1.0
	v_fmac_f32_e32 v21, v24, v21
	s_delay_alu instid0(VALU_DEP_1) | instskip(NEXT) | instid1(VALU_DEP_1)
	v_mul_f32_e32 v24, v25, v21
	v_fma_f32 v26, -v4, v24, v25
	s_delay_alu instid0(VALU_DEP_1) | instskip(NEXT) | instid1(VALU_DEP_1)
	v_fmac_f32_e32 v24, v26, v21
	v_fma_f32 v4, -v4, v24, v25
	s_delay_alu instid0(VALU_DEP_1) | instskip(NEXT) | instid1(VALU_DEP_1)
	v_div_fmas_f32 v4, v4, v21, v24
	v_div_fixup_f32 v3, v4, v23, -v3
	s_delay_alu instid0(VALU_DEP_1) | instskip(NEXT) | instid1(VALU_DEP_1)
	v_fma_f32 v4, v3, v3, 1.0
	v_mul_f32_e32 v21, 0x4f800000, v4
	v_cmp_gt_f32_e32 vcc_lo, 0xf800000, v4
	s_delay_alu instid0(VALU_DEP_2) | instskip(NEXT) | instid1(VALU_DEP_1)
	v_cndmask_b32_e32 v4, v4, v21, vcc_lo
	v_sqrt_f32_e32 v21, v4
	s_waitcnt_depctr 0xfff
	v_add_nc_u32_e32 v23, -1, v21
	v_add_nc_u32_e32 v24, 1, v21
	s_delay_alu instid0(VALU_DEP_2) | instskip(NEXT) | instid1(VALU_DEP_2)
	v_fma_f32 v25, -v23, v21, v4
	v_fma_f32 v26, -v24, v21, v4
	s_delay_alu instid0(VALU_DEP_2) | instskip(NEXT) | instid1(VALU_DEP_1)
	v_cmp_ge_f32_e64 s4, 0, v25
	v_cndmask_b32_e64 v21, v21, v23, s4
	s_delay_alu instid0(VALU_DEP_3) | instskip(NEXT) | instid1(VALU_DEP_1)
	v_cmp_lt_f32_e64 s4, 0, v26
	v_cndmask_b32_e64 v21, v21, v24, s4
	s_delay_alu instid0(VALU_DEP_1) | instskip(NEXT) | instid1(VALU_DEP_1)
	v_mul_f32_e32 v23, 0x37800000, v21
	v_cndmask_b32_e32 v21, v21, v23, vcc_lo
	v_cmp_class_f32_e64 vcc_lo, v4, 0x260
	s_delay_alu instid0(VALU_DEP_2) | instskip(NEXT) | instid1(VALU_DEP_1)
	v_cndmask_b32_e32 v4, v21, v4, vcc_lo
	v_div_scale_f32 v21, null, v4, v4, 1.0
	s_delay_alu instid0(VALU_DEP_1) | instskip(SKIP_2) | instid1(VALU_DEP_1)
	v_rcp_f32_e32 v23, v21
	s_waitcnt_depctr 0xfff
	v_fma_f32 v24, -v21, v23, 1.0
	v_fmac_f32_e32 v23, v24, v23
	v_div_scale_f32 v24, vcc_lo, 1.0, v4, 1.0
	s_delay_alu instid0(VALU_DEP_1) | instskip(NEXT) | instid1(VALU_DEP_1)
	v_mul_f32_e32 v25, v24, v23
	v_fma_f32 v26, -v21, v25, v24
	s_delay_alu instid0(VALU_DEP_1) | instskip(NEXT) | instid1(VALU_DEP_1)
	v_fmac_f32_e32 v25, v26, v23
	v_fma_f32 v21, -v21, v25, v24
	s_delay_alu instid0(VALU_DEP_1) | instskip(NEXT) | instid1(VALU_DEP_1)
	v_div_fmas_f32 v21, v21, v23, v25
                                        ; implicit-def: $vgpr23
	v_div_fixup_f32 v21, v21, v4, 1.0
	s_delay_alu instid0(VALU_DEP_1)
	v_mul_f32_e32 v4, v3, v21
                                        ; implicit-def: $vgpr3
.LBB83_27:                              ;   in Loop: Header=BB83_11 Depth=1
	s_and_not1_saveexec_b32 s22, s22
	s_cbranch_execz .LBB83_29
; %bb.28:                               ;   in Loop: Header=BB83_11 Depth=1
	v_div_scale_f32 v4, null, v3, v3, -v23
	v_div_scale_f32 v25, vcc_lo, -v23, v3, -v23
	s_delay_alu instid0(VALU_DEP_2) | instskip(SKIP_2) | instid1(VALU_DEP_1)
	v_rcp_f32_e32 v21, v4
	s_waitcnt_depctr 0xfff
	v_fma_f32 v24, -v4, v21, 1.0
	v_fmac_f32_e32 v21, v24, v21
	s_delay_alu instid0(VALU_DEP_1) | instskip(NEXT) | instid1(VALU_DEP_1)
	v_mul_f32_e32 v24, v25, v21
	v_fma_f32 v26, -v4, v24, v25
	s_delay_alu instid0(VALU_DEP_1) | instskip(NEXT) | instid1(VALU_DEP_1)
	v_fmac_f32_e32 v24, v26, v21
	v_fma_f32 v4, -v4, v24, v25
	s_delay_alu instid0(VALU_DEP_1) | instskip(NEXT) | instid1(VALU_DEP_1)
	v_div_fmas_f32 v4, v4, v21, v24
	v_div_fixup_f32 v3, v4, v3, -v23
	s_delay_alu instid0(VALU_DEP_1) | instskip(NEXT) | instid1(VALU_DEP_1)
	v_fma_f32 v4, v3, v3, 1.0
	v_mul_f32_e32 v21, 0x4f800000, v4
	v_cmp_gt_f32_e32 vcc_lo, 0xf800000, v4
	s_delay_alu instid0(VALU_DEP_2) | instskip(NEXT) | instid1(VALU_DEP_1)
	v_cndmask_b32_e32 v4, v4, v21, vcc_lo
	v_sqrt_f32_e32 v21, v4
	s_waitcnt_depctr 0xfff
	v_add_nc_u32_e32 v23, -1, v21
	v_add_nc_u32_e32 v24, 1, v21
	s_delay_alu instid0(VALU_DEP_2) | instskip(NEXT) | instid1(VALU_DEP_2)
	v_fma_f32 v25, -v23, v21, v4
	v_fma_f32 v26, -v24, v21, v4
	s_delay_alu instid0(VALU_DEP_2) | instskip(NEXT) | instid1(VALU_DEP_1)
	v_cmp_ge_f32_e64 s4, 0, v25
	v_cndmask_b32_e64 v21, v21, v23, s4
	s_delay_alu instid0(VALU_DEP_3) | instskip(NEXT) | instid1(VALU_DEP_1)
	v_cmp_lt_f32_e64 s4, 0, v26
	v_cndmask_b32_e64 v21, v21, v24, s4
	s_delay_alu instid0(VALU_DEP_1) | instskip(NEXT) | instid1(VALU_DEP_1)
	v_mul_f32_e32 v23, 0x37800000, v21
	v_cndmask_b32_e32 v21, v21, v23, vcc_lo
	v_cmp_class_f32_e64 vcc_lo, v4, 0x260
	s_delay_alu instid0(VALU_DEP_2) | instskip(NEXT) | instid1(VALU_DEP_1)
	v_cndmask_b32_e32 v4, v21, v4, vcc_lo
	v_div_scale_f32 v21, null, v4, v4, 1.0
	s_delay_alu instid0(VALU_DEP_1) | instskip(SKIP_2) | instid1(VALU_DEP_1)
	v_rcp_f32_e32 v23, v21
	s_waitcnt_depctr 0xfff
	v_fma_f32 v24, -v21, v23, 1.0
	v_fmac_f32_e32 v23, v24, v23
	v_div_scale_f32 v24, vcc_lo, 1.0, v4, 1.0
	s_delay_alu instid0(VALU_DEP_1) | instskip(NEXT) | instid1(VALU_DEP_1)
	v_mul_f32_e32 v25, v24, v23
	v_fma_f32 v26, -v21, v25, v24
	s_delay_alu instid0(VALU_DEP_1) | instskip(NEXT) | instid1(VALU_DEP_1)
	v_fmac_f32_e32 v25, v26, v23
	v_fma_f32 v21, -v21, v25, v24
	s_delay_alu instid0(VALU_DEP_1) | instskip(NEXT) | instid1(VALU_DEP_1)
	v_div_fmas_f32 v21, v21, v23, v25
	v_div_fixup_f32 v4, v21, v4, 1.0
	s_delay_alu instid0(VALU_DEP_1)
	v_mul_f32_e32 v21, v3, v4
.LBB83_29:                              ;   in Loop: Header=BB83_11 Depth=1
	s_or_b32 exec_lo, exec_lo, s22
.LBB83_30:                              ;   in Loop: Header=BB83_11 Depth=1
	s_delay_alu instid0(SALU_CYCLE_1)
	s_or_b32 exec_lo, exec_lo, s21
.LBB83_31:                              ;   in Loop: Header=BB83_11 Depth=1
	s_delay_alu instid0(SALU_CYCLE_1)
	s_or_b32 exec_lo, exec_lo, s20
	v_cmp_gt_f32_e32 vcc_lo, 0, v22
	v_mul_f32_e32 v23, v5, v4
	v_mul_f32_e32 v5, v6, v4
	s_mov_b32 s4, exec_lo
                                        ; implicit-def: $vgpr4
	v_cndmask_b32_e64 v3, v22, -v22, vcc_lo
	s_delay_alu instid0(VALU_DEP_1)
	v_cmpx_nlt_f32_e32 0, v3
	s_xor_b32 s4, exec_lo, s4
	s_cbranch_execz .LBB83_33
; %bb.32:                               ;   in Loop: Header=BB83_11 Depth=1
	v_div_scale_f32 v3, null, 0, 0, v22
	v_div_scale_f32 v24, vcc_lo, v22, 0, v22
	s_delay_alu instid0(VALU_DEP_2) | instskip(SKIP_2) | instid1(VALU_DEP_1)
	v_rcp_f32_e32 v4, v3
	s_waitcnt_depctr 0xfff
	v_fma_f32 v6, -v3, v4, 1.0
	v_fmac_f32_e32 v4, v6, v4
	s_delay_alu instid0(VALU_DEP_1) | instskip(NEXT) | instid1(VALU_DEP_1)
	v_mul_f32_e32 v6, v24, v4
	v_fma_f32 v25, -v3, v6, v24
	s_delay_alu instid0(VALU_DEP_1) | instskip(NEXT) | instid1(VALU_DEP_1)
	v_fmac_f32_e32 v6, v25, v4
	v_fma_f32 v3, -v3, v6, v24
	s_delay_alu instid0(VALU_DEP_1) | instskip(NEXT) | instid1(VALU_DEP_1)
	v_div_fmas_f32 v3, v3, v4, v6
	v_div_fixup_f32 v3, v3, 0, v22
	s_delay_alu instid0(VALU_DEP_1) | instskip(NEXT) | instid1(VALU_DEP_1)
	v_fma_f32 v4, v22, v3, 0
	v_div_scale_f32 v6, null, v4, v4, 1.0
	v_div_scale_f32 v25, vcc_lo, 1.0, v4, 1.0
	s_delay_alu instid0(VALU_DEP_2) | instskip(SKIP_2) | instid1(VALU_DEP_1)
	v_rcp_f32_e32 v22, v6
	s_waitcnt_depctr 0xfff
	v_fma_f32 v24, -v6, v22, 1.0
	v_fmac_f32_e32 v22, v24, v22
	s_delay_alu instid0(VALU_DEP_1) | instskip(NEXT) | instid1(VALU_DEP_1)
	v_mul_f32_e32 v24, v25, v22
	v_fma_f32 v26, -v6, v24, v25
	s_delay_alu instid0(VALU_DEP_1) | instskip(NEXT) | instid1(VALU_DEP_1)
	v_fmac_f32_e32 v24, v26, v22
	v_fma_f32 v6, -v6, v24, v25
	s_delay_alu instid0(VALU_DEP_1) | instskip(SKIP_2) | instid1(VALU_DEP_3)
	v_div_fmas_f32 v6, v6, v22, v24
	v_fma_f32 v22, v3, v23, v5
	v_fma_f32 v5, v3, v5, -v23
                                        ; implicit-def: $vgpr23
	v_div_fixup_f32 v4, v6, v4, 1.0
	s_delay_alu instid0(VALU_DEP_1) | instskip(NEXT) | instid1(VALU_DEP_3)
	v_mul_f32_e32 v3, v4, v22
	v_mul_f32_e32 v4, v4, v5
                                        ; implicit-def: $vgpr22
                                        ; implicit-def: $vgpr5
.LBB83_33:                              ;   in Loop: Header=BB83_11 Depth=1
	s_and_not1_saveexec_b32 s4, s4
	s_cbranch_execz .LBB83_35
; %bb.34:                               ;   in Loop: Header=BB83_11 Depth=1
	v_div_scale_f32 v3, null, v22, v22, 0
	v_div_scale_f32 v24, vcc_lo, 0, v22, 0
	s_delay_alu instid0(VALU_DEP_2) | instskip(SKIP_2) | instid1(VALU_DEP_1)
	v_rcp_f32_e32 v4, v3
	s_waitcnt_depctr 0xfff
	v_fma_f32 v6, -v3, v4, 1.0
	v_fmac_f32_e32 v4, v6, v4
	s_delay_alu instid0(VALU_DEP_1) | instskip(NEXT) | instid1(VALU_DEP_1)
	v_mul_f32_e32 v6, v24, v4
	v_fma_f32 v25, -v3, v6, v24
	s_delay_alu instid0(VALU_DEP_1) | instskip(NEXT) | instid1(VALU_DEP_1)
	v_fmac_f32_e32 v6, v25, v4
	v_fma_f32 v3, -v3, v6, v24
	s_delay_alu instid0(VALU_DEP_1) | instskip(NEXT) | instid1(VALU_DEP_1)
	v_div_fmas_f32 v3, v3, v4, v6
	v_div_fixup_f32 v3, v3, v22, 0
	s_delay_alu instid0(VALU_DEP_1) | instskip(NEXT) | instid1(VALU_DEP_1)
	v_fmac_f32_e32 v22, 0, v3
	v_div_scale_f32 v4, null, v22, v22, 1.0
	v_div_scale_f32 v25, vcc_lo, 1.0, v22, 1.0
	s_delay_alu instid0(VALU_DEP_2) | instskip(SKIP_2) | instid1(VALU_DEP_1)
	v_rcp_f32_e32 v6, v4
	s_waitcnt_depctr 0xfff
	v_fma_f32 v24, -v4, v6, 1.0
	v_fmac_f32_e32 v6, v24, v6
	s_delay_alu instid0(VALU_DEP_1) | instskip(NEXT) | instid1(VALU_DEP_1)
	v_mul_f32_e32 v24, v25, v6
	v_fma_f32 v26, -v4, v24, v25
	s_delay_alu instid0(VALU_DEP_1) | instskip(NEXT) | instid1(VALU_DEP_1)
	v_fmac_f32_e32 v24, v26, v6
	v_fma_f32 v4, -v4, v24, v25
	s_delay_alu instid0(VALU_DEP_1) | instskip(SKIP_2) | instid1(VALU_DEP_3)
	v_div_fmas_f32 v4, v4, v6, v24
	v_fma_f32 v6, v3, v5, v23
	v_fma_f32 v5, -v3, v23, v5
	v_div_fixup_f32 v4, v4, v22, 1.0
	s_delay_alu instid0(VALU_DEP_1) | instskip(NEXT) | instid1(VALU_DEP_3)
	v_mul_f32_e32 v3, v4, v6
	v_mul_f32_e32 v4, v4, v5
.LBB83_35:                              ;   in Loop: Header=BB83_11 Depth=1
	s_or_b32 exec_lo, exec_lo, s4
.LBB83_36:                              ;   in Loop: Header=BB83_11 Depth=1
	s_delay_alu instid0(SALU_CYCLE_1)
	s_or_b32 exec_lo, exec_lo, s19
	ds_store_b32 v12, v21
	ds_store_2addr_b32 v15, v3, v4 offset1:1
.LBB83_37:                              ;   in Loop: Header=BB83_11 Depth=1
	s_or_b32 exec_lo, exec_lo, s18
	s_and_b32 s1, s1, s3
	s_waitcnt lgkmcnt(0)
	s_waitcnt_vscnt null, 0x0
	s_barrier
	buffer_gl0_inv
	s_and_saveexec_b32 s3, s1
	s_cbranch_execz .LBB83_45
; %bb.38:                               ;   in Loop: Header=BB83_11 Depth=1
	ds_load_b32 v21, v12
	ds_load_2addr_b32 v[3:4], v15 offset1:1
	s_and_not1_b32 vcc_lo, exec_lo, s14
	s_cbranch_vccnz .LBB83_42
; %bb.39:                               ;   in Loop: Header=BB83_11 Depth=1
	v_subrev_nc_u32_e32 v6, s13, v1
	v_subrev_nc_u32_e32 v5, s13, v0
	s_delay_alu instid0(VALU_DEP_2) | instskip(NEXT) | instid1(VALU_DEP_2)
	v_add_nc_u32_e32 v7, v6, v10
	v_add_nc_u32_e32 v22, v5, v10
	s_delay_alu instid0(VALU_DEP_2) | instskip(NEXT) | instid1(VALU_DEP_2)
	v_ashrrev_i32_e32 v8, 31, v7
	v_ashrrev_i32_e32 v23, 31, v22
	s_delay_alu instid0(VALU_DEP_2) | instskip(NEXT) | instid1(VALU_DEP_2)
	v_lshlrev_b64 v[7:8], 3, v[7:8]
	v_lshlrev_b64 v[22:23], 3, v[22:23]
	s_delay_alu instid0(VALU_DEP_2) | instskip(NEXT) | instid1(VALU_DEP_3)
	v_add_co_u32 v7, vcc_lo, s8, v7
	v_add_co_ci_u32_e32 v8, vcc_lo, s9, v8, vcc_lo
	s_delay_alu instid0(VALU_DEP_3) | instskip(NEXT) | instid1(VALU_DEP_4)
	v_add_co_u32 v22, vcc_lo, s8, v22
	v_add_co_ci_u32_e32 v23, vcc_lo, s9, v23, vcc_lo
	s_clause 0x1
	flat_load_b64 v[24:25], v[7:8]
	flat_load_b64 v[26:27], v[22:23]
	s_waitcnt vmcnt(1) lgkmcnt(1)
	v_mul_f32_e32 v29, v4, v24
	v_mul_f32_e32 v28, v4, v25
	s_delay_alu instid0(VALU_DEP_2) | instskip(NEXT) | instid1(VALU_DEP_2)
	v_fma_f32 v29, v25, v3, -v29
	v_fmac_f32_e32 v28, v24, v3
	s_waitcnt vmcnt(0) lgkmcnt(0)
	v_mul_f32_e32 v31, v27, v3
	s_delay_alu instid0(VALU_DEP_3) | instskip(NEXT) | instid1(VALU_DEP_3)
	v_fmac_f32_e32 v29, v21, v27
	v_fmac_f32_e32 v28, v21, v26
	s_delay_alu instid0(VALU_DEP_3) | instskip(NEXT) | instid1(VALU_DEP_1)
	v_fma_f32 v31, v26, -v4, -v31
	v_dual_mul_f32 v30, v26, v3 :: v_dual_fmac_f32 v31, v21, v25
	s_delay_alu instid0(VALU_DEP_1) | instskip(NEXT) | instid1(VALU_DEP_1)
	v_fma_f32 v30, v4, v27, -v30
	v_fmac_f32_e32 v30, v21, v24
	s_clause 0x1
	flat_store_b64 v[22:23], v[28:29]
	flat_store_b64 v[7:8], v[30:31]
	s_and_saveexec_b32 s4, s0
	s_cbranch_execz .LBB83_41
; %bb.40:                               ;   in Loop: Header=BB83_11 Depth=1
	v_add_nc_u32_e32 v6, v6, v11
	v_add_nc_u32_e32 v22, v5, v11
	s_delay_alu instid0(VALU_DEP_2) | instskip(NEXT) | instid1(VALU_DEP_2)
	v_ashrrev_i32_e32 v7, 31, v6
	v_ashrrev_i32_e32 v23, 31, v22
	s_delay_alu instid0(VALU_DEP_2) | instskip(NEXT) | instid1(VALU_DEP_2)
	v_lshlrev_b64 v[5:6], 3, v[6:7]
	v_lshlrev_b64 v[7:8], 3, v[22:23]
	s_delay_alu instid0(VALU_DEP_2) | instskip(NEXT) | instid1(VALU_DEP_3)
	v_add_co_u32 v5, vcc_lo, s8, v5
	v_add_co_ci_u32_e32 v6, vcc_lo, s9, v6, vcc_lo
	s_delay_alu instid0(VALU_DEP_3) | instskip(NEXT) | instid1(VALU_DEP_4)
	v_add_co_u32 v7, vcc_lo, s8, v7
	v_add_co_ci_u32_e32 v8, vcc_lo, s9, v8, vcc_lo
	s_clause 0x1
	flat_load_b64 v[22:23], v[5:6]
	flat_load_b64 v[24:25], v[7:8]
	s_waitcnt vmcnt(1) lgkmcnt(1)
	v_mul_f32_e32 v27, v4, v22
	s_waitcnt vmcnt(0) lgkmcnt(0)
	v_mul_f32_e32 v28, v24, v3
	v_mul_f32_e32 v29, v25, v3
	s_delay_alu instid0(VALU_DEP_3) | instskip(SKIP_1) | instid1(VALU_DEP_4)
	v_fma_f32 v27, v23, v3, -v27
	v_mul_f32_e32 v26, v4, v23
	v_fma_f32 v28, v4, v25, -v28
	s_delay_alu instid0(VALU_DEP_4) | instskip(NEXT) | instid1(VALU_DEP_3)
	v_fma_f32 v29, v24, -v4, -v29
	v_dual_fmac_f32 v27, v21, v25 :: v_dual_fmac_f32 v26, v22, v3
	s_delay_alu instid0(VALU_DEP_3) | instskip(NEXT) | instid1(VALU_DEP_3)
	v_fmac_f32_e32 v28, v21, v22
	v_fmac_f32_e32 v29, v21, v23
	s_delay_alu instid0(VALU_DEP_3)
	v_fmac_f32_e32 v26, v21, v24
	s_clause 0x1
	flat_store_b64 v[7:8], v[26:27]
	flat_store_b64 v[5:6], v[28:29]
.LBB83_41:                              ;   in Loop: Header=BB83_11 Depth=1
	s_or_b32 exec_lo, exec_lo, s4
.LBB83_42:                              ;   in Loop: Header=BB83_11 Depth=1
	s_waitcnt lgkmcnt(0)
	v_mad_u64_u32 v[5:6], null, v1, s7, v[2:3]
	v_mad_u64_u32 v[7:8], null, v0, s7, v[2:3]
	s_delay_alu instid0(VALU_DEP_2) | instskip(NEXT) | instid1(VALU_DEP_2)
	v_ashrrev_i32_e32 v6, 31, v5
	v_ashrrev_i32_e32 v8, 31, v7
	s_delay_alu instid0(VALU_DEP_2) | instskip(NEXT) | instid1(VALU_DEP_2)
	v_lshlrev_b64 v[5:6], 3, v[5:6]
	v_lshlrev_b64 v[7:8], 3, v[7:8]
	s_delay_alu instid0(VALU_DEP_2) | instskip(NEXT) | instid1(VALU_DEP_3)
	v_add_co_u32 v5, vcc_lo, s5, v5
	v_add_co_ci_u32_e32 v6, vcc_lo, s6, v6, vcc_lo
	s_delay_alu instid0(VALU_DEP_3) | instskip(NEXT) | instid1(VALU_DEP_4)
	v_add_co_u32 v7, vcc_lo, s5, v7
	v_add_co_ci_u32_e32 v8, vcc_lo, s6, v8, vcc_lo
	s_clause 0x1
	global_load_b64 v[22:23], v[5:6], off
	global_load_b64 v[24:25], v[7:8], off
	s_waitcnt vmcnt(1)
	v_mul_f32_e32 v27, v4, v22
	s_waitcnt vmcnt(0)
	v_mul_f32_e32 v28, v24, v3
	v_mul_f32_e32 v29, v25, v3
	s_delay_alu instid0(VALU_DEP_3) | instskip(SKIP_1) | instid1(VALU_DEP_4)
	v_fma_f32 v27, v23, v3, -v27
	v_mul_f32_e32 v26, v4, v23
	v_fma_f32 v28, v4, v25, -v28
	s_delay_alu instid0(VALU_DEP_4) | instskip(NEXT) | instid1(VALU_DEP_3)
	v_fma_f32 v29, v24, -v4, -v29
	v_dual_fmac_f32 v27, v21, v25 :: v_dual_fmac_f32 v26, v22, v3
	s_delay_alu instid0(VALU_DEP_3) | instskip(NEXT) | instid1(VALU_DEP_3)
	v_fmac_f32_e32 v28, v21, v22
	v_fmac_f32_e32 v29, v21, v23
	s_delay_alu instid0(VALU_DEP_3)
	v_fmac_f32_e32 v26, v21, v24
	s_clause 0x1
	global_store_b64 v[7:8], v[26:27], off
	global_store_b64 v[5:6], v[28:29], off
	s_and_saveexec_b32 s4, s0
	s_cbranch_execz .LBB83_44
; %bb.43:                               ;   in Loop: Header=BB83_11 Depth=1
	s_clause 0x1
	global_load_b64 v[22:23], v[5:6], off offset:8
	global_load_b64 v[24:25], v[7:8], off offset:8
	s_waitcnt vmcnt(1)
	v_mul_f32_e32 v27, v4, v22
	s_waitcnt vmcnt(0)
	v_mul_f32_e32 v28, v24, v3
	v_mul_f32_e32 v29, v25, v3
	s_delay_alu instid0(VALU_DEP_3) | instskip(SKIP_1) | instid1(VALU_DEP_4)
	v_fma_f32 v27, v23, v3, -v27
	v_mul_f32_e32 v26, v4, v23
	v_fma_f32 v28, v4, v25, -v28
	s_delay_alu instid0(VALU_DEP_4) | instskip(NEXT) | instid1(VALU_DEP_3)
	v_fma_f32 v29, v24, -v4, -v29
	v_dual_fmac_f32 v27, v21, v25 :: v_dual_fmac_f32 v26, v22, v3
	s_delay_alu instid0(VALU_DEP_3) | instskip(NEXT) | instid1(VALU_DEP_3)
	v_fmac_f32_e32 v28, v21, v22
	v_fmac_f32_e32 v29, v21, v23
	s_delay_alu instid0(VALU_DEP_3)
	v_fmac_f32_e32 v26, v21, v24
	s_clause 0x1
	global_store_b64 v[7:8], v[26:27], off offset:8
	global_store_b64 v[5:6], v[28:29], off offset:8
.LBB83_44:                              ;   in Loop: Header=BB83_11 Depth=1
	s_or_b32 exec_lo, exec_lo, s4
	v_xor_b32_e32 v7, 0x80000000, v4
	v_mov_b32_e32 v8, v3
.LBB83_45:                              ;   in Loop: Header=BB83_11 Depth=1
	s_or_b32 exec_lo, exec_lo, s3
	s_waitcnt_vscnt null, 0x0
	s_barrier
	buffer_gl0_inv
	s_and_saveexec_b32 s3, s1
	s_cbranch_execz .LBB83_48
; %bb.46:                               ;   in Loop: Header=BB83_11 Depth=1
	v_add_nc_u32_e32 v5, v1, v17
	v_add_nc_u32_e32 v22, v0, v17
	s_delay_alu instid0(VALU_DEP_2) | instskip(NEXT) | instid1(VALU_DEP_2)
	v_ashrrev_i32_e32 v6, 31, v5
	v_ashrrev_i32_e32 v23, 31, v22
	s_delay_alu instid0(VALU_DEP_2) | instskip(NEXT) | instid1(VALU_DEP_2)
	v_lshlrev_b64 v[5:6], 3, v[5:6]
	v_lshlrev_b64 v[22:23], 3, v[22:23]
	s_delay_alu instid0(VALU_DEP_2) | instskip(NEXT) | instid1(VALU_DEP_3)
	v_add_co_u32 v5, vcc_lo, s5, v5
	v_add_co_ci_u32_e32 v6, vcc_lo, s6, v6, vcc_lo
	s_delay_alu instid0(VALU_DEP_3) | instskip(NEXT) | instid1(VALU_DEP_4)
	v_add_co_u32 v22, vcc_lo, s5, v22
	v_add_co_ci_u32_e32 v23, vcc_lo, s6, v23, vcc_lo
	s_clause 0x1
	global_load_b64 v[24:25], v[5:6], off
	global_load_b64 v[26:27], v[22:23], off
	s_waitcnt vmcnt(1)
	v_mul_f32_e32 v28, v4, v25
	s_waitcnt vmcnt(0)
	v_mul_f32_e32 v30, v8, v26
	s_delay_alu instid0(VALU_DEP_2) | instskip(SKIP_1) | instid1(VALU_DEP_3)
	v_fma_f32 v28, v3, v24, -v28
	v_mul_f32_e32 v29, v3, v25
	v_fma_f32 v30, v7, v27, -v30
	s_delay_alu instid0(VALU_DEP_3) | instskip(NEXT) | instid1(VALU_DEP_3)
	v_dual_mul_f32 v31, v8, v27 :: v_dual_fmac_f32 v28, v21, v26
	v_fmac_f32_e32 v29, v4, v24
	s_delay_alu instid0(VALU_DEP_3) | instskip(NEXT) | instid1(VALU_DEP_3)
	v_fmac_f32_e32 v30, v21, v24
	v_fma_f32 v31, v26, -v7, -v31
	s_delay_alu instid0(VALU_DEP_3) | instskip(NEXT) | instid1(VALU_DEP_2)
	v_fmac_f32_e32 v29, v21, v27
	v_fmac_f32_e32 v31, v21, v25
	s_clause 0x1
	global_store_b64 v[22:23], v[28:29], off
	global_store_b64 v[5:6], v[30:31], off
	s_and_b32 exec_lo, exec_lo, s0
	s_cbranch_execz .LBB83_48
; %bb.47:                               ;   in Loop: Header=BB83_11 Depth=1
	v_add_nc_u32_e32 v5, v1, v18
	v_add_nc_u32_e32 v22, v0, v18
	s_delay_alu instid0(VALU_DEP_2) | instskip(NEXT) | instid1(VALU_DEP_2)
	v_ashrrev_i32_e32 v6, 31, v5
	v_ashrrev_i32_e32 v23, 31, v22
	s_delay_alu instid0(VALU_DEP_2) | instskip(NEXT) | instid1(VALU_DEP_2)
	v_lshlrev_b64 v[5:6], 3, v[5:6]
	v_lshlrev_b64 v[22:23], 3, v[22:23]
	s_delay_alu instid0(VALU_DEP_2) | instskip(NEXT) | instid1(VALU_DEP_3)
	v_add_co_u32 v5, vcc_lo, s5, v5
	v_add_co_ci_u32_e32 v6, vcc_lo, s6, v6, vcc_lo
	s_delay_alu instid0(VALU_DEP_3) | instskip(NEXT) | instid1(VALU_DEP_4)
	v_add_co_u32 v22, vcc_lo, s5, v22
	v_add_co_ci_u32_e32 v23, vcc_lo, s6, v23, vcc_lo
	s_clause 0x1
	global_load_b64 v[24:25], v[5:6], off
	global_load_b64 v[26:27], v[22:23], off
	s_waitcnt vmcnt(1)
	v_mul_f32_e32 v29, v3, v25
	v_mul_f32_e32 v28, v4, v25
	s_delay_alu instid0(VALU_DEP_2) | instskip(SKIP_2) | instid1(VALU_DEP_3)
	v_fmac_f32_e32 v29, v4, v24
	s_waitcnt vmcnt(0)
	v_mul_f32_e32 v30, v8, v26
	v_fma_f32 v28, v3, v24, -v28
	v_mul_f32_e32 v31, v8, v27
	v_fmac_f32_e32 v29, v21, v27
	s_delay_alu instid0(VALU_DEP_4) | instskip(NEXT) | instid1(VALU_DEP_4)
	v_fma_f32 v30, v7, v27, -v30
	v_fmac_f32_e32 v28, v21, v26
	s_delay_alu instid0(VALU_DEP_4) | instskip(NEXT) | instid1(VALU_DEP_3)
	v_fma_f32 v31, v26, -v7, -v31
	v_fmac_f32_e32 v30, v21, v24
	s_delay_alu instid0(VALU_DEP_2)
	v_fmac_f32_e32 v31, v21, v25
	s_clause 0x1
	global_store_b64 v[22:23], v[28:29], off
	global_store_b64 v[5:6], v[30:31], off
.LBB83_48:                              ;   in Loop: Header=BB83_11 Depth=1
	s_or_b32 exec_lo, exec_lo, s3
	s_waitcnt_vscnt null, 0x0
	s_barrier
	buffer_gl0_inv
	s_and_saveexec_b32 s1, s11
	s_cbranch_execz .LBB83_50
; %bb.49:                               ;   in Loop: Header=BB83_11 Depth=1
	v_mad_u64_u32 v[5:6], null, v1, s7, v[0:1]
	v_mad_u64_u32 v[22:23], null, v0, s7, v[1:2]
	s_mov_b32 s11, s10
	s_delay_alu instid0(SALU_CYCLE_1) | instskip(NEXT) | instid1(VALU_DEP_3)
	v_dual_mov_b32 v25, s11 :: v_dual_mov_b32 v24, s10
	v_ashrrev_i32_e32 v6, 31, v5
	s_delay_alu instid0(VALU_DEP_3) | instskip(NEXT) | instid1(VALU_DEP_2)
	v_ashrrev_i32_e32 v23, 31, v22
	v_lshlrev_b64 v[5:6], 3, v[5:6]
	s_delay_alu instid0(VALU_DEP_2) | instskip(NEXT) | instid1(VALU_DEP_2)
	v_lshlrev_b64 v[22:23], 3, v[22:23]
	v_add_co_u32 v5, vcc_lo, s5, v5
	s_delay_alu instid0(VALU_DEP_3) | instskip(NEXT) | instid1(VALU_DEP_3)
	v_add_co_ci_u32_e32 v6, vcc_lo, s6, v6, vcc_lo
	v_add_co_u32 v22, vcc_lo, s5, v22
	s_delay_alu instid0(VALU_DEP_4)
	v_add_co_ci_u32_e32 v23, vcc_lo, s6, v23, vcc_lo
	s_clause 0x1
	global_store_b64 v[5:6], v[24:25], off
	global_store_b64 v[22:23], v[24:25], off
.LBB83_50:                              ;   in Loop: Header=BB83_11 Depth=1
	s_or_b32 exec_lo, exec_lo, s1
	s_delay_alu instid0(SALU_CYCLE_1)
	s_mov_b32 s1, exec_lo
	v_cmpx_lt_i32_e32 0, v9
	s_cbranch_execz .LBB83_54
; %bb.51:                               ;   in Loop: Header=BB83_11 Depth=1
	v_mov_b32_e32 v0, s15
	s_mov_b32 s3, exec_lo
	v_cmpx_ne_u32_e32 1, v9
; %bb.52:                               ;   in Loop: Header=BB83_11 Depth=1
	v_mov_b32_e32 v0, v16
; %bb.53:                               ;   in Loop: Header=BB83_11 Depth=1
	s_or_b32 exec_lo, exec_lo, s3
	ds_load_b32 v0, v0
.LBB83_54:                              ;   in Loop: Header=BB83_11 Depth=1
	s_or_b32 exec_lo, exec_lo, s1
	ds_load_b32 v1, v20
	s_waitcnt lgkmcnt(0)
	s_waitcnt_vscnt null, 0x0
	s_barrier
	buffer_gl0_inv
	s_and_saveexec_b32 s1, s2
	s_cbranch_execz .LBB83_10
; %bb.55:                               ;   in Loop: Header=BB83_11 Depth=1
	ds_store_b32 v13, v0
	ds_store_b32 v14, v1
	s_branch .LBB83_10
.LBB83_56:
	s_endpgm
	.section	.rodata,"a",@progbits
	.p2align	6, 0x0
	.amdhsa_kernel _ZN9rocsolver6v33100L17syevj_diag_kernelI19rocblas_complex_numIfEfPS3_EEviT1_iilT0_PT_Pi
		.amdhsa_group_segment_fixed_size 0
		.amdhsa_private_segment_fixed_size 0
		.amdhsa_kernarg_size 312
		.amdhsa_user_sgpr_count 14
		.amdhsa_user_sgpr_dispatch_ptr 0
		.amdhsa_user_sgpr_queue_ptr 0
		.amdhsa_user_sgpr_kernarg_segment_ptr 1
		.amdhsa_user_sgpr_dispatch_id 0
		.amdhsa_user_sgpr_private_segment_size 0
		.amdhsa_wavefront_size32 1
		.amdhsa_uses_dynamic_stack 0
		.amdhsa_enable_private_segment 0
		.amdhsa_system_sgpr_workgroup_id_x 1
		.amdhsa_system_sgpr_workgroup_id_y 0
		.amdhsa_system_sgpr_workgroup_id_z 1
		.amdhsa_system_sgpr_workgroup_info 0
		.amdhsa_system_vgpr_workitem_id 1
		.amdhsa_next_free_vgpr 32
		.amdhsa_next_free_sgpr 23
		.amdhsa_reserve_vcc 1
		.amdhsa_float_round_mode_32 0
		.amdhsa_float_round_mode_16_64 0
		.amdhsa_float_denorm_mode_32 3
		.amdhsa_float_denorm_mode_16_64 3
		.amdhsa_dx10_clamp 1
		.amdhsa_ieee_mode 1
		.amdhsa_fp16_overflow 0
		.amdhsa_workgroup_processor_mode 1
		.amdhsa_memory_ordered 1
		.amdhsa_forward_progress 0
		.amdhsa_shared_vgpr_count 0
		.amdhsa_exception_fp_ieee_invalid_op 0
		.amdhsa_exception_fp_denorm_src 0
		.amdhsa_exception_fp_ieee_div_zero 0
		.amdhsa_exception_fp_ieee_overflow 0
		.amdhsa_exception_fp_ieee_underflow 0
		.amdhsa_exception_fp_ieee_inexact 0
		.amdhsa_exception_int_div_zero 0
	.end_amdhsa_kernel
	.section	.text._ZN9rocsolver6v33100L17syevj_diag_kernelI19rocblas_complex_numIfEfPS3_EEviT1_iilT0_PT_Pi,"axG",@progbits,_ZN9rocsolver6v33100L17syevj_diag_kernelI19rocblas_complex_numIfEfPS3_EEviT1_iilT0_PT_Pi,comdat
.Lfunc_end83:
	.size	_ZN9rocsolver6v33100L17syevj_diag_kernelI19rocblas_complex_numIfEfPS3_EEviT1_iilT0_PT_Pi, .Lfunc_end83-_ZN9rocsolver6v33100L17syevj_diag_kernelI19rocblas_complex_numIfEfPS3_EEviT1_iilT0_PT_Pi
                                        ; -- End function
	.section	.AMDGPU.csdata,"",@progbits
; Kernel info:
; codeLenInByte = 4636
; NumSgprs: 25
; NumVgprs: 32
; ScratchSize: 0
; MemoryBound: 0
; FloatMode: 240
; IeeeMode: 1
; LDSByteSize: 0 bytes/workgroup (compile time only)
; SGPRBlocks: 3
; VGPRBlocks: 3
; NumSGPRsForWavesPerEU: 25
; NumVGPRsForWavesPerEU: 32
; Occupancy: 16
; WaveLimiterHint : 0
; COMPUTE_PGM_RSRC2:SCRATCH_EN: 0
; COMPUTE_PGM_RSRC2:USER_SGPR: 14
; COMPUTE_PGM_RSRC2:TRAP_HANDLER: 0
; COMPUTE_PGM_RSRC2:TGID_X_EN: 1
; COMPUTE_PGM_RSRC2:TGID_Y_EN: 0
; COMPUTE_PGM_RSRC2:TGID_Z_EN: 1
; COMPUTE_PGM_RSRC2:TIDIG_COMP_CNT: 1
	.section	.text._ZN9rocsolver6v33100L21syevj_diag_rotate_orgILb0E19rocblas_complex_numIfEfPS3_EEvbiT2_iilPT0_Pi,"axG",@progbits,_ZN9rocsolver6v33100L21syevj_diag_rotate_orgILb0E19rocblas_complex_numIfEfPS3_EEvbiT2_iilPT0_Pi,comdat
	.globl	_ZN9rocsolver6v33100L21syevj_diag_rotate_orgILb0E19rocblas_complex_numIfEfPS3_EEvbiT2_iilPT0_Pi ; -- Begin function _ZN9rocsolver6v33100L21syevj_diag_rotate_orgILb0E19rocblas_complex_numIfEfPS3_EEvbiT2_iilPT0_Pi
	.p2align	8
	.type	_ZN9rocsolver6v33100L21syevj_diag_rotate_orgILb0E19rocblas_complex_numIfEfPS3_EEvbiT2_iilPT0_Pi,@function
_ZN9rocsolver6v33100L21syevj_diag_rotate_orgILb0E19rocblas_complex_numIfEfPS3_EEvbiT2_iilPT0_Pi: ; @_ZN9rocsolver6v33100L21syevj_diag_rotate_orgILb0E19rocblas_complex_numIfEfPS3_EEvbiT2_iilPT0_Pi
; %bb.0:
	s_clause 0x1
	s_load_b64 s[16:17], s[0:1], 0x0
	s_load_b64 s[2:3], s[0:1], 0x28
	s_mov_b32 s8, s15
	s_waitcnt lgkmcnt(0)
	s_bitcmp1_b32 s16, 0
	s_cselect_b32 s6, -1, 0
	s_ashr_i32 s9, s15, 31
	s_delay_alu instid0(SALU_CYCLE_1) | instskip(NEXT) | instid1(SALU_CYCLE_1)
	s_lshl_b64 s[4:5], s[8:9], 2
	s_add_u32 s2, s2, s4
	s_addc_u32 s3, s3, s5
	s_load_b32 s2, s[2:3], 0x4
	s_waitcnt lgkmcnt(0)
	s_cmp_lg_u32 s2, 0
	s_cselect_b32 s2, -1, 0
	s_cmp_eq_u32 s13, s14
	s_cselect_b32 s3, -1, 0
	s_delay_alu instid0(SALU_CYCLE_1) | instskip(NEXT) | instid1(SALU_CYCLE_1)
	s_and_b32 s3, s3, s6
	s_or_b32 s2, s3, s2
	s_delay_alu instid0(SALU_CYCLE_1)
	s_and_b32 vcc_lo, exec_lo, s2
	s_cbranch_vccnz .LBB84_6
; %bb.1:
	s_load_b32 s2, s[0:1], 0x3c
	v_and_b32_e32 v4, 0x3ff, v0
	v_bfe_u32 v3, v0, 10, 10
	s_add_u32 s10, s0, 48
	s_addc_u32 s11, s1, 0
	s_waitcnt lgkmcnt(0)
	s_and_b32 s15, s2, 0xffff
	s_mov_b32 s2, exec_lo
	v_mad_u64_u32 v[0:1], null, s14, s15, v[3:4]
	s_mul_i32 s12, s13, s15
	s_delay_alu instid0(SALU_CYCLE_1) | instskip(NEXT) | instid1(VALU_DEP_1)
	v_add_nc_u32_e32 v8, s12, v4
	v_max_i32_e32 v1, v8, v0
	s_delay_alu instid0(VALU_DEP_1)
	v_cmpx_gt_i32_e64 s17, v1
	s_cbranch_execz .LBB84_6
; %bb.2:
	s_load_b256 s[0:7], s[0:1], 0x8
	s_sub_i32 s12, s17, s12
	v_dual_mov_b32 v2, 0 :: v_dual_mov_b32 v1, 0
	s_min_i32 s12, s12, s15
	s_waitcnt lgkmcnt(0)
	s_mul_i32 s5, s8, s5
	s_mul_hi_u32 s16, s8, s4
	s_mul_i32 s9, s9, s4
	s_add_i32 s5, s16, s5
	s_mul_i32 s4, s8, s4
	s_add_i32 s5, s5, s9
	s_ashr_i32 s17, s2, 31
	s_lshl_b64 s[4:5], s[4:5], 3
	s_mov_b32 s16, s2
	s_add_u32 s2, s0, s4
	s_addc_u32 s4, s1, s5
	s_lshl_b64 s[0:1], s[16:17], 3
	s_delay_alu instid0(SALU_CYCLE_1)
	s_add_u32 s0, s2, s0
	s_addc_u32 s1, s4, s1
	s_cmp_lt_i32 s12, 1
	s_cbranch_scc1 .LBB84_5
; %bb.3:
	s_load_b32 s2, s[10:11], 0x0
	v_dual_mov_b32 v2, 0 :: v_dual_lshlrev_b32 v1, 3, v4
	s_waitcnt lgkmcnt(0)
	s_mul_i32 s2, s2, s8
	s_delay_alu instid0(SALU_CYCLE_1)
	s_add_i32 s2, s2, s13
	s_mul_i32 s13, s13, s3
	s_mul_i32 s2, s2, s15
	s_add_i32 s14, s14, s13
	s_mul_i32 s4, s2, s15
	v_mad_u64_u32 v[4:5], null, s14, s15, v[3:4]
	s_ashr_i32 s5, s4, 31
	s_delay_alu instid0(SALU_CYCLE_1) | instskip(NEXT) | instid1(SALU_CYCLE_1)
	s_lshl_b64 s[4:5], s[4:5], 3
	s_add_u32 s2, s6, s4
	s_addc_u32 s4, s7, s5
	v_add_co_u32 v6, s2, s2, v1
	s_delay_alu instid0(VALU_DEP_1)
	v_add_co_ci_u32_e64 v7, null, s4, 0, s2
	v_mov_b32_e32 v1, 0
	s_lshl_b32 s2, s15, 3
	.p2align	6
.LBB84_4:                               ; =>This Inner Loop Header: Depth=1
	v_ashrrev_i32_e32 v5, 31, v4
	s_add_i32 s12, s12, -1
	s_delay_alu instid0(SALU_CYCLE_1) | instskip(NEXT) | instid1(VALU_DEP_1)
	s_cmp_lg_u32 s12, 0
	v_lshlrev_b64 v[9:10], 3, v[4:5]
	v_add_nc_u32_e32 v4, s3, v4
	s_delay_alu instid0(VALU_DEP_2) | instskip(NEXT) | instid1(VALU_DEP_3)
	v_add_co_u32 v9, vcc_lo, s0, v9
	v_add_co_ci_u32_e32 v10, vcc_lo, s1, v10, vcc_lo
	global_load_b64 v[11:12], v[6:7], off
	global_load_b64 v[9:10], v[9:10], off
	v_add_co_u32 v6, vcc_lo, v6, s2
	v_add_co_ci_u32_e32 v7, vcc_lo, 0, v7, vcc_lo
	s_waitcnt vmcnt(0)
	v_mul_f32_e32 v3, v10, v12
	v_mul_f32_e32 v5, v9, v12
	s_delay_alu instid0(VALU_DEP_2) | instskip(NEXT) | instid1(VALU_DEP_2)
	v_fma_f32 v3, v9, v11, -v3
	v_fmac_f32_e32 v5, v10, v11
	s_delay_alu instid0(VALU_DEP_1)
	v_dual_add_f32 v1, v1, v3 :: v_dual_add_f32 v2, v2, v5
	s_cbranch_scc1 .LBB84_4
.LBB84_5:
	s_delay_alu instid0(VALU_DEP_1) | instskip(SKIP_3) | instid1(VALU_DEP_1)
	v_mad_u64_u32 v[3:4], null, v8, s3, v[0:1]
	s_barrier
	buffer_gl0_inv
	v_ashrrev_i32_e32 v4, 31, v3
	v_lshlrev_b64 v[3:4], 3, v[3:4]
	s_delay_alu instid0(VALU_DEP_1) | instskip(NEXT) | instid1(VALU_DEP_2)
	v_add_co_u32 v3, vcc_lo, s0, v3
	v_add_co_ci_u32_e32 v4, vcc_lo, s1, v4, vcc_lo
	global_store_b64 v[3:4], v[1:2], off
.LBB84_6:
	s_nop 0
	s_sendmsg sendmsg(MSG_DEALLOC_VGPRS)
	s_endpgm
	.section	.rodata,"a",@progbits
	.p2align	6, 0x0
	.amdhsa_kernel _ZN9rocsolver6v33100L21syevj_diag_rotate_orgILb0E19rocblas_complex_numIfEfPS3_EEvbiT2_iilPT0_Pi
		.amdhsa_group_segment_fixed_size 0
		.amdhsa_private_segment_fixed_size 0
		.amdhsa_kernarg_size 304
		.amdhsa_user_sgpr_count 13
		.amdhsa_user_sgpr_dispatch_ptr 0
		.amdhsa_user_sgpr_queue_ptr 0
		.amdhsa_user_sgpr_kernarg_segment_ptr 1
		.amdhsa_user_sgpr_dispatch_id 0
		.amdhsa_user_sgpr_private_segment_size 0
		.amdhsa_wavefront_size32 1
		.amdhsa_uses_dynamic_stack 0
		.amdhsa_enable_private_segment 0
		.amdhsa_system_sgpr_workgroup_id_x 1
		.amdhsa_system_sgpr_workgroup_id_y 1
		.amdhsa_system_sgpr_workgroup_id_z 1
		.amdhsa_system_sgpr_workgroup_info 0
		.amdhsa_system_vgpr_workitem_id 1
		.amdhsa_next_free_vgpr 13
		.amdhsa_next_free_sgpr 18
		.amdhsa_reserve_vcc 1
		.amdhsa_float_round_mode_32 0
		.amdhsa_float_round_mode_16_64 0
		.amdhsa_float_denorm_mode_32 3
		.amdhsa_float_denorm_mode_16_64 3
		.amdhsa_dx10_clamp 1
		.amdhsa_ieee_mode 1
		.amdhsa_fp16_overflow 0
		.amdhsa_workgroup_processor_mode 1
		.amdhsa_memory_ordered 1
		.amdhsa_forward_progress 0
		.amdhsa_shared_vgpr_count 0
		.amdhsa_exception_fp_ieee_invalid_op 0
		.amdhsa_exception_fp_denorm_src 0
		.amdhsa_exception_fp_ieee_div_zero 0
		.amdhsa_exception_fp_ieee_overflow 0
		.amdhsa_exception_fp_ieee_underflow 0
		.amdhsa_exception_fp_ieee_inexact 0
		.amdhsa_exception_int_div_zero 0
	.end_amdhsa_kernel
	.section	.text._ZN9rocsolver6v33100L21syevj_diag_rotate_orgILb0E19rocblas_complex_numIfEfPS3_EEvbiT2_iilPT0_Pi,"axG",@progbits,_ZN9rocsolver6v33100L21syevj_diag_rotate_orgILb0E19rocblas_complex_numIfEfPS3_EEvbiT2_iilPT0_Pi,comdat
.Lfunc_end84:
	.size	_ZN9rocsolver6v33100L21syevj_diag_rotate_orgILb0E19rocblas_complex_numIfEfPS3_EEvbiT2_iilPT0_Pi, .Lfunc_end84-_ZN9rocsolver6v33100L21syevj_diag_rotate_orgILb0E19rocblas_complex_numIfEfPS3_EEvbiT2_iilPT0_Pi
                                        ; -- End function
	.section	.AMDGPU.csdata,"",@progbits
; Kernel info:
; codeLenInByte = 584
; NumSgprs: 20
; NumVgprs: 13
; ScratchSize: 0
; MemoryBound: 0
; FloatMode: 240
; IeeeMode: 1
; LDSByteSize: 0 bytes/workgroup (compile time only)
; SGPRBlocks: 2
; VGPRBlocks: 1
; NumSGPRsForWavesPerEU: 20
; NumVGPRsForWavesPerEU: 13
; Occupancy: 16
; WaveLimiterHint : 0
; COMPUTE_PGM_RSRC2:SCRATCH_EN: 0
; COMPUTE_PGM_RSRC2:USER_SGPR: 13
; COMPUTE_PGM_RSRC2:TRAP_HANDLER: 0
; COMPUTE_PGM_RSRC2:TGID_X_EN: 1
; COMPUTE_PGM_RSRC2:TGID_Y_EN: 1
; COMPUTE_PGM_RSRC2:TGID_Z_EN: 1
; COMPUTE_PGM_RSRC2:TIDIG_COMP_CNT: 1
	.section	.text._ZN9rocsolver6v33100L21syevj_diag_rotate_orgILb1E19rocblas_complex_numIfEfPS3_EEvbiT2_iilPT0_Pi,"axG",@progbits,_ZN9rocsolver6v33100L21syevj_diag_rotate_orgILb1E19rocblas_complex_numIfEfPS3_EEvbiT2_iilPT0_Pi,comdat
	.globl	_ZN9rocsolver6v33100L21syevj_diag_rotate_orgILb1E19rocblas_complex_numIfEfPS3_EEvbiT2_iilPT0_Pi ; -- Begin function _ZN9rocsolver6v33100L21syevj_diag_rotate_orgILb1E19rocblas_complex_numIfEfPS3_EEvbiT2_iilPT0_Pi
	.p2align	8
	.type	_ZN9rocsolver6v33100L21syevj_diag_rotate_orgILb1E19rocblas_complex_numIfEfPS3_EEvbiT2_iilPT0_Pi,@function
_ZN9rocsolver6v33100L21syevj_diag_rotate_orgILb1E19rocblas_complex_numIfEfPS3_EEvbiT2_iilPT0_Pi: ; @_ZN9rocsolver6v33100L21syevj_diag_rotate_orgILb1E19rocblas_complex_numIfEfPS3_EEvbiT2_iilPT0_Pi
; %bb.0:
	s_clause 0x1
	s_load_b64 s[16:17], s[0:1], 0x0
	s_load_b64 s[2:3], s[0:1], 0x28
	s_mov_b32 s8, s15
	s_waitcnt lgkmcnt(0)
	s_bitcmp1_b32 s16, 0
	s_cselect_b32 s6, -1, 0
	s_ashr_i32 s9, s15, 31
	s_delay_alu instid0(SALU_CYCLE_1) | instskip(NEXT) | instid1(SALU_CYCLE_1)
	s_lshl_b64 s[4:5], s[8:9], 2
	s_add_u32 s2, s2, s4
	s_addc_u32 s3, s3, s5
	s_load_b32 s2, s[2:3], 0x4
	s_waitcnt lgkmcnt(0)
	s_cmp_lg_u32 s2, 0
	s_cselect_b32 s2, -1, 0
	s_cmp_eq_u32 s13, s14
	s_cselect_b32 s3, -1, 0
	s_delay_alu instid0(SALU_CYCLE_1) | instskip(NEXT) | instid1(SALU_CYCLE_1)
	s_and_b32 s3, s3, s6
	s_or_b32 s2, s3, s2
	s_delay_alu instid0(SALU_CYCLE_1)
	s_and_b32 vcc_lo, exec_lo, s2
	s_cbranch_vccnz .LBB85_6
; %bb.1:
	s_load_b32 s2, s[0:1], 0x3c
	v_bfe_u32 v3, v0, 10, 10
	s_add_u32 s10, s0, 48
	v_and_b32_e32 v2, 0x3ff, v0
	s_addc_u32 s11, s1, 0
	s_waitcnt lgkmcnt(0)
	s_and_b32 s15, s2, 0xffff
	s_mov_b32 s2, exec_lo
	v_mad_u64_u32 v[0:1], null, s14, s15, v[3:4]
	s_mul_i32 s14, s13, s15
	s_delay_alu instid0(SALU_CYCLE_1) | instskip(NEXT) | instid1(VALU_DEP_1)
	v_add_nc_u32_e32 v6, s14, v2
	v_max_i32_e32 v1, v6, v0
	s_delay_alu instid0(VALU_DEP_1)
	v_cmpx_gt_i32_e64 s17, v1
	s_cbranch_execz .LBB85_6
; %bb.2:
	s_load_b256 s[0:7], s[0:1], 0x8
	s_sub_i32 s12, s17, s14
	v_mov_b32_e32 v1, 0
	s_min_i32 s12, s12, s15
	s_waitcnt lgkmcnt(0)
	s_mul_i32 s5, s8, s5
	s_mul_hi_u32 s16, s8, s4
	s_mul_i32 s9, s9, s4
	s_add_i32 s5, s16, s5
	s_mul_i32 s4, s8, s4
	s_add_i32 s5, s5, s9
	s_ashr_i32 s17, s2, 31
	s_lshl_b64 s[4:5], s[4:5], 3
	s_mov_b32 s16, s2
	v_mul_lo_u32 v7, v0, s3
	v_mov_b32_e32 v0, 0
	s_add_u32 s2, s0, s4
	s_addc_u32 s3, s1, s5
	s_lshl_b64 s[0:1], s[16:17], 3
	s_delay_alu instid0(SALU_CYCLE_1)
	s_add_u32 s0, s2, s0
	s_addc_u32 s1, s3, s1
	s_cmp_lt_i32 s12, 1
	s_cbranch_scc1 .LBB85_5
; %bb.3:
	s_load_b32 s2, s[10:11], 0x0
	v_dual_mov_b32 v1, 0 :: v_dual_lshlrev_b32 v0, 3, v2
	v_add_nc_u32_e32 v2, s14, v7
	s_waitcnt lgkmcnt(0)
	s_mul_i32 s2, s2, s8
	s_delay_alu instid0(SALU_CYCLE_1) | instskip(NEXT) | instid1(SALU_CYCLE_1)
	s_add_i32 s2, s2, s13
	s_mul_i32 s2, s2, s15
	s_delay_alu instid0(SALU_CYCLE_1) | instskip(NEXT) | instid1(SALU_CYCLE_1)
	s_mul_i32 s2, s2, s15
	s_ashr_i32 s3, s2, 31
	s_delay_alu instid0(SALU_CYCLE_1) | instskip(NEXT) | instid1(SALU_CYCLE_1)
	s_lshl_b64 s[2:3], s[2:3], 3
	s_add_u32 s2, s6, s2
	s_addc_u32 s3, s7, s3
	v_add_co_u32 v0, s2, s2, v0
	s_delay_alu instid0(VALU_DEP_1) | instskip(SKIP_1) | instid1(VALU_DEP_2)
	v_add_co_ci_u32_e64 v3, null, s3, 0, s2
	s_lshl_b32 s2, s15, 3
	v_add_co_u32 v4, vcc_lo, v0, 4
	s_delay_alu instid0(VALU_DEP_2)
	v_add_co_ci_u32_e32 v5, vcc_lo, 0, v3, vcc_lo
	v_mov_b32_e32 v0, 0
	.p2align	6
.LBB85_4:                               ; =>This Inner Loop Header: Depth=1
	v_ashrrev_i32_e32 v3, 31, v2
	s_add_i32 s12, s12, -1
	s_delay_alu instid0(SALU_CYCLE_1) | instskip(NEXT) | instid1(VALU_DEP_1)
	s_cmp_lg_u32 s12, 0
	v_lshlrev_b64 v[8:9], 3, v[2:3]
	v_add_nc_u32_e32 v2, 1, v2
	s_delay_alu instid0(VALU_DEP_2) | instskip(NEXT) | instid1(VALU_DEP_3)
	v_add_co_u32 v8, vcc_lo, s0, v8
	v_add_co_ci_u32_e32 v9, vcc_lo, s1, v9, vcc_lo
	global_load_b64 v[10:11], v[4:5], off offset:-4
	global_load_b64 v[8:9], v[8:9], off
	v_add_co_u32 v4, vcc_lo, v4, s2
	v_add_co_ci_u32_e32 v5, vcc_lo, 0, v5, vcc_lo
	s_waitcnt vmcnt(0)
	v_mul_f32_e32 v3, v11, v9
	s_delay_alu instid0(VALU_DEP_1) | instskip(NEXT) | instid1(VALU_DEP_1)
	v_fmac_f32_e32 v3, v10, v8
	v_dual_mul_f32 v11, v11, v8 :: v_dual_add_f32 v0, v0, v3
	s_delay_alu instid0(VALU_DEP_1) | instskip(NEXT) | instid1(VALU_DEP_1)
	v_fma_f32 v8, v10, v9, -v11
	v_add_f32_e32 v1, v1, v8
	s_cbranch_scc1 .LBB85_4
.LBB85_5:
	v_add_nc_u32_e32 v2, v7, v6
	s_barrier
	buffer_gl0_inv
	v_ashrrev_i32_e32 v3, 31, v2
	s_delay_alu instid0(VALU_DEP_1) | instskip(NEXT) | instid1(VALU_DEP_1)
	v_lshlrev_b64 v[2:3], 3, v[2:3]
	v_add_co_u32 v2, vcc_lo, s0, v2
	s_delay_alu instid0(VALU_DEP_2)
	v_add_co_ci_u32_e32 v3, vcc_lo, s1, v3, vcc_lo
	global_store_b64 v[2:3], v[0:1], off
.LBB85_6:
	s_nop 0
	s_sendmsg sendmsg(MSG_DEALLOC_VGPRS)
	s_endpgm
	.section	.rodata,"a",@progbits
	.p2align	6, 0x0
	.amdhsa_kernel _ZN9rocsolver6v33100L21syevj_diag_rotate_orgILb1E19rocblas_complex_numIfEfPS3_EEvbiT2_iilPT0_Pi
		.amdhsa_group_segment_fixed_size 0
		.amdhsa_private_segment_fixed_size 0
		.amdhsa_kernarg_size 304
		.amdhsa_user_sgpr_count 13
		.amdhsa_user_sgpr_dispatch_ptr 0
		.amdhsa_user_sgpr_queue_ptr 0
		.amdhsa_user_sgpr_kernarg_segment_ptr 1
		.amdhsa_user_sgpr_dispatch_id 0
		.amdhsa_user_sgpr_private_segment_size 0
		.amdhsa_wavefront_size32 1
		.amdhsa_uses_dynamic_stack 0
		.amdhsa_enable_private_segment 0
		.amdhsa_system_sgpr_workgroup_id_x 1
		.amdhsa_system_sgpr_workgroup_id_y 1
		.amdhsa_system_sgpr_workgroup_id_z 1
		.amdhsa_system_sgpr_workgroup_info 0
		.amdhsa_system_vgpr_workitem_id 1
		.amdhsa_next_free_vgpr 12
		.amdhsa_next_free_sgpr 18
		.amdhsa_reserve_vcc 1
		.amdhsa_float_round_mode_32 0
		.amdhsa_float_round_mode_16_64 0
		.amdhsa_float_denorm_mode_32 3
		.amdhsa_float_denorm_mode_16_64 3
		.amdhsa_dx10_clamp 1
		.amdhsa_ieee_mode 1
		.amdhsa_fp16_overflow 0
		.amdhsa_workgroup_processor_mode 1
		.amdhsa_memory_ordered 1
		.amdhsa_forward_progress 0
		.amdhsa_shared_vgpr_count 0
		.amdhsa_exception_fp_ieee_invalid_op 0
		.amdhsa_exception_fp_denorm_src 0
		.amdhsa_exception_fp_ieee_div_zero 0
		.amdhsa_exception_fp_ieee_overflow 0
		.amdhsa_exception_fp_ieee_underflow 0
		.amdhsa_exception_fp_ieee_inexact 0
		.amdhsa_exception_int_div_zero 0
	.end_amdhsa_kernel
	.section	.text._ZN9rocsolver6v33100L21syevj_diag_rotate_orgILb1E19rocblas_complex_numIfEfPS3_EEvbiT2_iilPT0_Pi,"axG",@progbits,_ZN9rocsolver6v33100L21syevj_diag_rotate_orgILb1E19rocblas_complex_numIfEfPS3_EEvbiT2_iilPT0_Pi,comdat
.Lfunc_end85:
	.size	_ZN9rocsolver6v33100L21syevj_diag_rotate_orgILb1E19rocblas_complex_numIfEfPS3_EEvbiT2_iilPT0_Pi, .Lfunc_end85-_ZN9rocsolver6v33100L21syevj_diag_rotate_orgILb1E19rocblas_complex_numIfEfPS3_EEvbiT2_iilPT0_Pi
                                        ; -- End function
	.section	.AMDGPU.csdata,"",@progbits
; Kernel info:
; codeLenInByte = 596
; NumSgprs: 20
; NumVgprs: 12
; ScratchSize: 0
; MemoryBound: 0
; FloatMode: 240
; IeeeMode: 1
; LDSByteSize: 0 bytes/workgroup (compile time only)
; SGPRBlocks: 2
; VGPRBlocks: 1
; NumSGPRsForWavesPerEU: 20
; NumVGPRsForWavesPerEU: 12
; Occupancy: 16
; WaveLimiterHint : 0
; COMPUTE_PGM_RSRC2:SCRATCH_EN: 0
; COMPUTE_PGM_RSRC2:USER_SGPR: 13
; COMPUTE_PGM_RSRC2:TRAP_HANDLER: 0
; COMPUTE_PGM_RSRC2:TGID_X_EN: 1
; COMPUTE_PGM_RSRC2:TGID_Y_EN: 1
; COMPUTE_PGM_RSRC2:TGID_Z_EN: 1
; COMPUTE_PGM_RSRC2:TIDIG_COMP_CNT: 1
	.section	.text._ZN9rocsolver6v33100L17syevj_diag_rotateILb0E19rocblas_complex_numIfEfPS3_EEvbiiT2_iilPT0_Pii,"axG",@progbits,_ZN9rocsolver6v33100L17syevj_diag_rotateILb0E19rocblas_complex_numIfEfPS3_EEvbiiT2_iilPT0_Pii,comdat
	.globl	_ZN9rocsolver6v33100L17syevj_diag_rotateILb0E19rocblas_complex_numIfEfPS3_EEvbiiT2_iilPT0_Pii ; -- Begin function _ZN9rocsolver6v33100L17syevj_diag_rotateILb0E19rocblas_complex_numIfEfPS3_EEvbiiT2_iilPT0_Pii
	.p2align	8
	.type	_ZN9rocsolver6v33100L17syevj_diag_rotateILb0E19rocblas_complex_numIfEfPS3_EEvbiiT2_iilPT0_Pii,@function
_ZN9rocsolver6v33100L17syevj_diag_rotateILb0E19rocblas_complex_numIfEfPS3_EEvbiiT2_iilPT0_Pii: ; @_ZN9rocsolver6v33100L17syevj_diag_rotateILb0E19rocblas_complex_numIfEfPS3_EEvbiiT2_iilPT0_Pii
; %bb.0:
	s_load_b128 s[36:39], s[0:1], 0x0
	v_mov_b32_e32 v41, v0
	s_mov_b32 s26, s15
	s_mov_b64 s[22:23], s[0:1]
	s_mov_b32 s21, s14
	s_mov_b32 s24, s13
	s_mov_b32 s0, -1
	s_mov_b32 s32, 0
	s_waitcnt lgkmcnt(0)
	s_abs_i32 s27, s37
	s_mul_i32 s25, s37, s37
	v_cvt_f32_u32_e32 v0, s27
	s_cmpk_lt_u32 s25, 0x2001
	s_delay_alu instid0(VALU_DEP_1) | instskip(SKIP_2) | instid1(VALU_DEP_1)
	v_rcp_iflag_f32_e32 v0, v0
	s_waitcnt_depctr 0xfff
	v_mul_f32_e32 v0, 0x4f7ffffe, v0
	v_cvt_u32_f32_e32 v0, v0
	s_delay_alu instid0(VALU_DEP_1)
	v_readfirstlane_b32 s28, v0
	s_cbranch_scc1 .LBB86_2
; %bb.1:
	s_add_u32 s8, s22, 64
	s_addc_u32 s9, s23, 0
	s_getpc_b64 s[0:1]
	s_add_u32 s0, s0, __PRETTY_FUNCTION__._ZN9rocsolver6v33100L17syevj_diag_rotateILb0E19rocblas_complex_numIfEfPS3_EEvbiiT2_iilPT0_Pii@rel32@lo+4
	s_addc_u32 s1, s1, __PRETTY_FUNCTION__._ZN9rocsolver6v33100L17syevj_diag_rotateILb0E19rocblas_complex_numIfEfPS3_EEvbiiT2_iilPT0_Pii@rel32@hi+12
	s_delay_alu instid0(SALU_CYCLE_1) | instskip(SKIP_3) | instid1(SALU_CYCLE_1)
	v_dual_mov_b32 v0, s0 :: v_dual_mov_b32 v1, s1
	s_getpc_b64 s[2:3]
	s_add_u32 s2, s2, __assert_fail@rel32@lo+4
	s_addc_u32 s3, s3, __assert_fail@rel32@hi+12
	s_swappc_b64 s[30:31], s[2:3]
	; divergent unreachable
	s_mov_b32 s0, 0
.LBB86_2:
	s_delay_alu instid0(SALU_CYCLE_1)
	s_and_not1_b32 vcc_lo, exec_lo, s0
	s_cbranch_vccnz .LBB86_35
; %bb.3:
	s_load_b32 s18, s[22:23], 0x38
	s_waitcnt lgkmcnt(0)
	s_cmp_ge_u32 s26, s18
	s_cbranch_scc1 .LBB86_35
; %bb.4:
	s_load_b128 s[12:15], s[22:23], 0x40
	s_sub_i32 s0, 0, s27
	s_add_i32 s1, s38, -1
	s_mul_i32 s0, s0, s28
	s_abs_i32 s17, s1
	s_mul_hi_u32 s0, s28, s0
	s_ashr_i32 s16, s37, 31
	s_add_i32 s28, s28, s0
	s_ashr_i32 s1, s1, 31
	s_cmpk_lt_u32 s25, 0x1001
	s_mul_hi_u32 s0, s17, s28
	s_clause 0x1
	s_load_b256 s[4:11], s[22:23], 0x10
	s_load_b64 s[2:3], s[22:23], 0x30
	s_cselect_b32 s19, -1, 0
	s_bitcmp1_b32 s36, 0
	s_mul_i32 s22, s0, s27
	s_cselect_b32 s20, -1, 0
	s_xor_b32 s1, s1, s16
	s_sub_i32 s16, s17, s22
	s_add_i32 s17, s0, 1
	s_sub_i32 s23, s16, s27
	s_waitcnt lgkmcnt(0)
	s_lshr_b32 s22, s15, 16
	s_and_b32 s15, s15, 0xffff
	s_cmp_ge_u32 s16, s27
	v_and_b32_e32 v0, 0x3ff, v41
	s_cselect_b32 s0, s17, s0
	s_cselect_b32 s16, s23, s16
	s_add_i32 s17, s0, 1
	s_cmp_ge_u32 s16, s27
	v_bfe_u32 v5, v41, 10, 10
	s_cselect_b32 s0, s17, s0
	s_lshl_b32 s16, s25, 3
	s_xor_b32 s0, s0, s1
	s_add_i32 s29, s16, 0
	s_sub_i32 s23, s0, s1
	s_mov_b64 s[0:1], src_shared_base
	s_add_i32 s28, s23, 1
	s_ashr_i32 s41, s6, 31
	v_mad_u64_u32 v[1:2], null, v5, s37, v[0:1]
	s_cmp_lt_u32 s24, s28
	s_mul_i32 s0, s23, s37
	s_mov_b32 s40, s6
	v_mad_u32_u24 v6, v5, s15, v0
	s_cselect_b32 s6, -1, 0
	s_sub_i32 s31, s38, s0
	s_cmp_lt_u32 s21, s28
	v_lshl_add_u32 v8, v1, 3, 0
	s_cselect_b32 s34, -1, 0
	s_ashr_i32 s35, s7, 31
	s_add_u32 s36, s2, 4
	v_cmp_gt_u32_e64 s0, s25, v6
	s_addc_u32 s38, s3, 0
	s_lshl_b64 s[2:3], s[40:41], 3
	v_lshl_add_u32 v7, v6, 3, s29
	v_lshl_add_u32 v9, v0, 3, 0
	v_mov_b32_e32 v2, 0
	s_mov_b32 s30, s1
	s_mul_i32 s33, s22, s15
	s_mul_i32 s1, s37, s22
	s_add_u32 s4, s4, s2
	s_mov_b32 s17, 0
	s_addc_u32 s5, s5, s3
	s_lshl_b32 s39, s33, 3
	s_mul_i32 s40, s21, s37
	s_mul_i32 s41, s13, s37
	s_lshl_b32 s42, s1, 3
	s_lshl_b32 s43, s15, 3
	;; [unrolled: 1-line block ×3, first 2 shown]
	s_branch .LBB86_6
.LBB86_5:                               ;   in Loop: Header=BB86_6 Depth=1
	s_add_i32 s26, s26, s14
	s_delay_alu instid0(SALU_CYCLE_1)
	s_cmp_lt_u32 s26, s18
	s_cbranch_scc0 .LBB86_35
.LBB86_6:                               ; =>This Loop Header: Depth=1
                                        ;     Child Loop BB86_10 Depth 2
                                        ;       Child Loop BB86_13 Depth 3
                                        ;       Child Loop BB86_19 Depth 3
                                        ;         Child Loop BB86_23 Depth 4
                                        ;           Child Loop BB86_25 Depth 5
                                        ;         Child Loop BB86_29 Depth 4
                                        ;           Child Loop BB86_32 Depth 5
                                        ;             Child Loop BB86_34 Depth 6
	s_mov_b32 s27, s17
	s_delay_alu instid0(SALU_CYCLE_1) | instskip(NEXT) | instid1(SALU_CYCLE_1)
	s_lshl_b64 s[2:3], s[26:27], 2
	s_add_u32 s2, s36, s2
	s_addc_u32 s3, s38, s3
	global_load_b32 v1, v2, s[2:3]
	s_waitcnt vmcnt(0)
	v_cmp_ne_u32_e32 vcc_lo, 0, v1
	s_cbranch_vccnz .LBB86_5
; %bb.7:                                ;   in Loop: Header=BB86_6 Depth=1
	s_and_not1_b32 vcc_lo, exec_lo, s6
	s_cbranch_vccnz .LBB86_5
; %bb.8:                                ;   in Loop: Header=BB86_6 Depth=1
	s_mul_i32 s1, s26, s9
	s_mul_hi_u32 s3, s26, s8
	s_mul_i32 s2, s26, s8
	s_add_i32 s3, s3, s1
	s_mul_i32 s27, s26, s28
	s_lshl_b64 s[2:3], s[2:3], 3
	s_mov_b32 s47, s24
	s_add_u32 s45, s4, s2
	s_addc_u32 s46, s5, s3
	s_branch .LBB86_10
.LBB86_9:                               ;   in Loop: Header=BB86_10 Depth=2
	s_add_i32 s47, s47, s12
	s_delay_alu instid0(SALU_CYCLE_1)
	s_cmp_ge_u32 s47, s28
	s_cbranch_scc1 .LBB86_5
.LBB86_10:                              ;   Parent Loop BB86_6 Depth=1
                                        ; =>  This Loop Header: Depth=2
                                        ;       Child Loop BB86_13 Depth 3
                                        ;       Child Loop BB86_19 Depth 3
                                        ;         Child Loop BB86_23 Depth 4
                                        ;           Child Loop BB86_25 Depth 5
                                        ;         Child Loop BB86_29 Depth 4
                                        ;           Child Loop BB86_32 Depth 5
                                        ;             Child Loop BB86_34 Depth 6
	s_add_i32 s1, s47, s27
	s_delay_alu instid0(SALU_CYCLE_1) | instskip(NEXT) | instid1(SALU_CYCLE_1)
	s_mul_i32 s16, s1, s25
	s_lshl_b64 s[2:3], s[16:17], 3
	s_delay_alu instid0(SALU_CYCLE_1)
	s_add_u32 s1, s10, s2
	s_addc_u32 s2, s11, s3
	s_and_not1_b32 vcc_lo, exec_lo, s19
	s_cbranch_vccnz .LBB86_15
; %bb.11:                               ;   in Loop: Header=BB86_10 Depth=2
	s_waitcnt_vscnt null, 0x0
	s_barrier
	buffer_gl0_inv
	s_and_saveexec_b32 s3, s0
	s_cbranch_execz .LBB86_14
; %bb.12:                               ;   in Loop: Header=BB86_10 Depth=2
	v_mov_b32_e32 v3, v7
	v_mov_b32_e32 v1, v6
	s_mov_b32 s16, 0
.LBB86_13:                              ;   Parent Loop BB86_6 Depth=1
                                        ;     Parent Loop BB86_10 Depth=2
                                        ; =>    This Inner Loop Header: Depth=3
	s_delay_alu instid0(VALU_DEP_1) | instskip(SKIP_1) | instid1(VALU_DEP_2)
	v_lshlrev_b64 v[10:11], 3, v[1:2]
	v_add_nc_u32_e32 v1, s33, v1
	v_add_co_u32 v10, vcc_lo, s1, v10
	s_delay_alu instid0(VALU_DEP_3) | instskip(NEXT) | instid1(VALU_DEP_3)
	v_add_co_ci_u32_e32 v11, vcc_lo, s2, v11, vcc_lo
	v_cmp_le_u32_e32 vcc_lo, s25, v1
	global_load_b64 v[10:11], v[10:11], off
	s_or_b32 s16, vcc_lo, s16
	s_waitcnt vmcnt(0)
	ds_store_b64 v3, v[10:11]
	v_add_nc_u32_e32 v3, s39, v3
	s_and_not1_b32 exec_lo, exec_lo, s16
	s_cbranch_execnz .LBB86_13
.LBB86_14:                              ;   in Loop: Header=BB86_10 Depth=2
	s_or_b32 exec_lo, exec_lo, s3
	s_waitcnt lgkmcnt(0)
	s_barrier
	buffer_gl0_inv
.LBB86_15:                              ;   in Loop: Header=BB86_10 Depth=2
	s_and_not1_b32 vcc_lo, exec_lo, s34
	s_cbranch_vccnz .LBB86_9
; %bb.16:                               ;   in Loop: Header=BB86_10 Depth=2
	s_and_b32 s3, s19, exec_lo
	s_cselect_b32 s16, s30, s2
	s_cselect_b32 s48, s29, s1
	s_cmp_eq_u32 s23, s47
	s_mul_i32 s51, s47, s37
	s_cselect_b32 s49, s31, s37
	s_mov_b32 s52, s40
	v_cmp_gt_u32_e64 s1, s49, v5
	s_cmp_gt_i32 s49, 0
	s_mov_b32 s53, s21
	s_cselect_b32 s50, -1, 0
	s_branch .LBB86_19
.LBB86_17:                              ;   in Loop: Header=BB86_19 Depth=3
	s_or_b32 exec_lo, exec_lo, s55
	s_waitcnt_vscnt null, 0x0
	s_barrier
	buffer_gl0_inv
.LBB86_18:                              ;   in Loop: Header=BB86_19 Depth=3
	s_add_i32 s53, s53, s13
	s_add_i32 s52, s52, s41
	s_cmp_ge_u32 s53, s28
	s_cbranch_scc1 .LBB86_9
.LBB86_19:                              ;   Parent Loop BB86_6 Depth=1
                                        ;     Parent Loop BB86_10 Depth=2
                                        ; =>    This Loop Header: Depth=3
                                        ;         Child Loop BB86_23 Depth 4
                                        ;           Child Loop BB86_25 Depth 5
                                        ;         Child Loop BB86_29 Depth 4
                                        ;           Child Loop BB86_32 Depth 5
                                        ;             Child Loop BB86_34 Depth 6
	s_cmp_eq_u32 s47, s53
	s_cselect_b32 s2, -1, 0
	s_delay_alu instid0(SALU_CYCLE_1) | instskip(NEXT) | instid1(SALU_CYCLE_1)
	s_and_b32 s2, s2, s20
	s_and_b32 vcc_lo, exec_lo, s2
	s_cbranch_vccnz .LBB86_18
; %bb.20:                               ;   in Loop: Header=BB86_19 Depth=3
	s_cmp_eq_u32 s23, s53
	s_waitcnt_vscnt null, 0x0
	s_cselect_b32 s54, s31, s37
	s_barrier
	buffer_gl0_inv
	s_and_saveexec_b32 s3, s1
	s_cbranch_execz .LBB86_26
; %bb.21:                               ;   in Loop: Header=BB86_19 Depth=3
	v_cmp_gt_u32_e32 vcc_lo, s54, v0
	v_dual_mov_b32 v3, v8 :: v_dual_mov_b32 v4, v5
	s_mov_b32 s55, 0
	s_set_inst_prefetch_distance 0x1
	s_branch .LBB86_23
	.p2align	6
.LBB86_22:                              ;   in Loop: Header=BB86_23 Depth=4
	s_or_b32 exec_lo, exec_lo, s56
	v_add_nc_u32_e32 v4, s22, v4
	v_add_nc_u32_e32 v3, s42, v3
	s_delay_alu instid0(VALU_DEP_2) | instskip(NEXT) | instid1(VALU_DEP_1)
	v_cmp_le_u32_e64 s2, s49, v4
	s_or_b32 s55, s2, s55
	s_delay_alu instid0(SALU_CYCLE_1)
	s_and_not1_b32 exec_lo, exec_lo, s55
	s_cbranch_execz .LBB86_26
.LBB86_23:                              ;   Parent Loop BB86_6 Depth=1
                                        ;     Parent Loop BB86_10 Depth=2
                                        ;       Parent Loop BB86_19 Depth=3
                                        ; =>      This Loop Header: Depth=4
                                        ;           Child Loop BB86_25 Depth 5
	s_and_saveexec_b32 s56, vcc_lo
	s_cbranch_execz .LBB86_22
; %bb.24:                               ;   in Loop: Header=BB86_23 Depth=4
	v_add_nc_u32_e32 v13, s51, v4
	s_mov_b32 s57, 0
	s_delay_alu instid0(VALU_DEP_1) | instskip(NEXT) | instid1(VALU_DEP_1)
	v_mad_u64_u32 v[10:11], null, v13, s7, 0
	v_mov_b32_e32 v1, v11
	s_delay_alu instid0(VALU_DEP_1) | instskip(SKIP_1) | instid1(VALU_DEP_2)
	v_mad_u64_u32 v[11:12], null, v13, s35, v[1:2]
	v_mov_b32_e32 v13, v0
	v_lshlrev_b64 v[11:12], 3, v[10:11]
	v_mov_b32_e32 v10, v3
	s_delay_alu instid0(VALU_DEP_2) | instskip(NEXT) | instid1(VALU_DEP_1)
	v_add_co_u32 v11, s2, s45, v11
	v_add_co_ci_u32_e64 v12, s2, s46, v12, s2
	.p2align	6
.LBB86_25:                              ;   Parent Loop BB86_6 Depth=1
                                        ;     Parent Loop BB86_10 Depth=2
                                        ;       Parent Loop BB86_19 Depth=3
                                        ;         Parent Loop BB86_23 Depth=4
                                        ; =>        This Inner Loop Header: Depth=5
	v_add_nc_u32_e32 v1, s52, v13
	v_add_nc_u32_e32 v13, s15, v13
	s_delay_alu instid0(VALU_DEP_2) | instskip(NEXT) | instid1(VALU_DEP_1)
	v_lshlrev_b64 v[14:15], 3, v[1:2]
	v_add_co_u32 v14, s2, v11, v14
	s_delay_alu instid0(VALU_DEP_1) | instskip(NEXT) | instid1(VALU_DEP_4)
	v_add_co_ci_u32_e64 v15, s2, v12, v15, s2
	v_cmp_le_u32_e64 s2, s54, v13
	global_load_b64 v[14:15], v[14:15], off
	s_or_b32 s57, s2, s57
	s_waitcnt vmcnt(0)
	ds_store_2addr_b32 v10, v14, v15 offset1:1
	v_add_nc_u32_e32 v10, s43, v10
	s_and_not1_b32 exec_lo, exec_lo, s57
	s_cbranch_execnz .LBB86_25
	s_branch .LBB86_22
.LBB86_26:                              ;   in Loop: Header=BB86_19 Depth=3
	s_set_inst_prefetch_distance 0x2
	s_or_b32 exec_lo, exec_lo, s3
	s_waitcnt lgkmcnt(0)
	s_barrier
	buffer_gl0_inv
	s_and_saveexec_b32 s55, s1
	s_cbranch_execz .LBB86_17
; %bb.27:                               ;   in Loop: Header=BB86_19 Depth=3
	v_cmp_gt_u32_e64 s2, s54, v0
	v_mov_b32_e32 v10, v5
	s_mul_i32 s56, s53, s37
	s_mov_b32 s57, 0
	s_branch .LBB86_29
.LBB86_28:                              ;   in Loop: Header=BB86_29 Depth=4
	s_set_inst_prefetch_distance 0x2
	s_or_b32 exec_lo, exec_lo, s58
	v_add_nc_u32_e32 v10, s22, v10
	s_delay_alu instid0(VALU_DEP_1) | instskip(SKIP_1) | instid1(SALU_CYCLE_1)
	v_cmp_le_u32_e32 vcc_lo, s49, v10
	s_or_b32 s57, vcc_lo, s57
	s_and_not1_b32 exec_lo, exec_lo, s57
	s_cbranch_execz .LBB86_17
.LBB86_29:                              ;   Parent Loop BB86_6 Depth=1
                                        ;     Parent Loop BB86_10 Depth=2
                                        ;       Parent Loop BB86_19 Depth=3
                                        ; =>      This Loop Header: Depth=4
                                        ;           Child Loop BB86_32 Depth 5
                                        ;             Child Loop BB86_34 Depth 6
	s_and_saveexec_b32 s58, s2
	s_cbranch_execz .LBB86_28
; %bb.30:                               ;   in Loop: Header=BB86_29 Depth=4
	v_add_nc_u32_e32 v13, s51, v10
	s_mov_b32 s59, 0
	v_mov_b32_e32 v14, v0
	s_delay_alu instid0(VALU_DEP_2) | instskip(NEXT) | instid1(VALU_DEP_1)
	v_mad_u64_u32 v[3:4], null, v13, s7, 0
	v_mov_b32_e32 v1, v4
	s_delay_alu instid0(VALU_DEP_1) | instskip(NEXT) | instid1(VALU_DEP_1)
	v_mad_u64_u32 v[11:12], null, v13, s35, v[1:2]
	v_dual_mov_b32 v4, v11 :: v_dual_mov_b32 v11, v9
	s_delay_alu instid0(VALU_DEP_1) | instskip(NEXT) | instid1(VALU_DEP_1)
	v_lshlrev_b64 v[3:4], 3, v[3:4]
	v_add_co_u32 v12, vcc_lo, s45, v3
	s_delay_alu instid0(VALU_DEP_2)
	v_add_co_ci_u32_e32 v13, vcc_lo, s46, v4, vcc_lo
	s_set_inst_prefetch_distance 0x1
	s_branch .LBB86_32
	.p2align	6
.LBB86_31:                              ;   in Loop: Header=BB86_32 Depth=5
	v_add_nc_u32_e32 v1, s56, v14
	v_add_nc_u32_e32 v14, s15, v14
	;; [unrolled: 1-line block ×3, first 2 shown]
	s_delay_alu instid0(VALU_DEP_3) | instskip(NEXT) | instid1(VALU_DEP_3)
	v_lshlrev_b64 v[15:16], 3, v[1:2]
	v_cmp_le_u32_e32 vcc_lo, s54, v14
	s_or_b32 s59, vcc_lo, s59
	s_delay_alu instid0(VALU_DEP_2) | instskip(NEXT) | instid1(VALU_DEP_1)
	v_add_co_u32 v15, s3, v12, v15
	v_add_co_ci_u32_e64 v16, s3, v13, v16, s3
	global_store_b64 v[15:16], v[3:4], off
	s_and_not1_b32 exec_lo, exec_lo, s59
	s_cbranch_execz .LBB86_28
.LBB86_32:                              ;   Parent Loop BB86_6 Depth=1
                                        ;     Parent Loop BB86_10 Depth=2
                                        ;       Parent Loop BB86_19 Depth=3
                                        ;         Parent Loop BB86_29 Depth=4
                                        ; =>        This Loop Header: Depth=5
                                        ;             Child Loop BB86_34 Depth 6
	v_dual_mov_b32 v4, 0 :: v_dual_mov_b32 v3, 0
	s_and_not1_b32 vcc_lo, exec_lo, s50
	s_cbranch_vccnz .LBB86_31
; %bb.33:                               ;   in Loop: Header=BB86_32 Depth=5
	v_dual_mov_b32 v4, 0 :: v_dual_mov_b32 v15, v11
	v_mov_b32_e32 v1, v10
	s_mov_b32 s3, s49
	s_delay_alu instid0(VALU_DEP_2)
	v_mov_b32_e32 v3, v4
	.p2align	6
.LBB86_34:                              ;   Parent Loop BB86_6 Depth=1
                                        ;     Parent Loop BB86_10 Depth=2
                                        ;       Parent Loop BB86_19 Depth=3
                                        ;         Parent Loop BB86_29 Depth=4
                                        ;           Parent Loop BB86_32 Depth=5
                                        ; =>          This Inner Loop Header: Depth=6
	s_delay_alu instid0(VALU_DEP_2)
	v_lshlrev_b64 v[16:17], 3, v[1:2]
	ds_load_2addr_b32 v[18:19], v15 offset1:1
	v_add_nc_u32_e32 v15, s44, v15
	s_add_i32 s3, s3, -1
	v_add_nc_u32_e32 v1, s37, v1
	s_cmp_eq_u32 s3, 0
	v_add_co_u32 v16, vcc_lo, s48, v16
	v_add_co_ci_u32_e32 v17, vcc_lo, s16, v17, vcc_lo
	flat_load_b64 v[16:17], v[16:17]
	s_waitcnt vmcnt(0) lgkmcnt(0)
	v_mul_f32_e32 v20, v17, v19
	v_mul_f32_e32 v19, v16, v19
	s_delay_alu instid0(VALU_DEP_2) | instskip(NEXT) | instid1(VALU_DEP_2)
	v_fma_f32 v16, v16, v18, -v20
	v_fmac_f32_e32 v19, v17, v18
	s_delay_alu instid0(VALU_DEP_1)
	v_dual_add_f32 v3, v3, v16 :: v_dual_add_f32 v4, v4, v19
	s_cbranch_scc0 .LBB86_34
	s_branch .LBB86_31
.LBB86_35:
	s_endpgm
	.section	.rodata,"a",@progbits
	.p2align	6, 0x0
	.amdhsa_kernel _ZN9rocsolver6v33100L17syevj_diag_rotateILb0E19rocblas_complex_numIfEfPS3_EEvbiiT2_iilPT0_Pii
		.amdhsa_group_segment_fixed_size 0
		.amdhsa_private_segment_fixed_size 64
		.amdhsa_kernarg_size 320
		.amdhsa_user_sgpr_count 13
		.amdhsa_user_sgpr_dispatch_ptr 0
		.amdhsa_user_sgpr_queue_ptr 0
		.amdhsa_user_sgpr_kernarg_segment_ptr 1
		.amdhsa_user_sgpr_dispatch_id 0
		.amdhsa_user_sgpr_private_segment_size 0
		.amdhsa_wavefront_size32 1
		.amdhsa_uses_dynamic_stack 0
		.amdhsa_enable_private_segment 1
		.amdhsa_system_sgpr_workgroup_id_x 1
		.amdhsa_system_sgpr_workgroup_id_y 1
		.amdhsa_system_sgpr_workgroup_id_z 1
		.amdhsa_system_sgpr_workgroup_info 0
		.amdhsa_system_vgpr_workitem_id 1
		.amdhsa_next_free_vgpr 42
		.amdhsa_next_free_sgpr 60
		.amdhsa_reserve_vcc 1
		.amdhsa_float_round_mode_32 0
		.amdhsa_float_round_mode_16_64 0
		.amdhsa_float_denorm_mode_32 3
		.amdhsa_float_denorm_mode_16_64 3
		.amdhsa_dx10_clamp 1
		.amdhsa_ieee_mode 1
		.amdhsa_fp16_overflow 0
		.amdhsa_workgroup_processor_mode 1
		.amdhsa_memory_ordered 1
		.amdhsa_forward_progress 0
		.amdhsa_shared_vgpr_count 0
		.amdhsa_exception_fp_ieee_invalid_op 0
		.amdhsa_exception_fp_denorm_src 0
		.amdhsa_exception_fp_ieee_div_zero 0
		.amdhsa_exception_fp_ieee_overflow 0
		.amdhsa_exception_fp_ieee_underflow 0
		.amdhsa_exception_fp_ieee_inexact 0
		.amdhsa_exception_int_div_zero 0
	.end_amdhsa_kernel
	.section	.text._ZN9rocsolver6v33100L17syevj_diag_rotateILb0E19rocblas_complex_numIfEfPS3_EEvbiiT2_iilPT0_Pii,"axG",@progbits,_ZN9rocsolver6v33100L17syevj_diag_rotateILb0E19rocblas_complex_numIfEfPS3_EEvbiiT2_iilPT0_Pii,comdat
.Lfunc_end86:
	.size	_ZN9rocsolver6v33100L17syevj_diag_rotateILb0E19rocblas_complex_numIfEfPS3_EEvbiiT2_iilPT0_Pii, .Lfunc_end86-_ZN9rocsolver6v33100L17syevj_diag_rotateILb0E19rocblas_complex_numIfEfPS3_EEvbiiT2_iilPT0_Pii
                                        ; -- End function
	.section	.AMDGPU.csdata,"",@progbits
; Kernel info:
; codeLenInByte = 1588
; NumSgprs: 62
; NumVgprs: 42
; ScratchSize: 64
; MemoryBound: 0
; FloatMode: 240
; IeeeMode: 1
; LDSByteSize: 0 bytes/workgroup (compile time only)
; SGPRBlocks: 7
; VGPRBlocks: 5
; NumSGPRsForWavesPerEU: 62
; NumVGPRsForWavesPerEU: 42
; Occupancy: 16
; WaveLimiterHint : 1
; COMPUTE_PGM_RSRC2:SCRATCH_EN: 1
; COMPUTE_PGM_RSRC2:USER_SGPR: 13
; COMPUTE_PGM_RSRC2:TRAP_HANDLER: 0
; COMPUTE_PGM_RSRC2:TGID_X_EN: 1
; COMPUTE_PGM_RSRC2:TGID_Y_EN: 1
; COMPUTE_PGM_RSRC2:TGID_Z_EN: 1
; COMPUTE_PGM_RSRC2:TIDIG_COMP_CNT: 1
	.section	.text._ZN9rocsolver6v33100L17syevj_diag_rotateILb1E19rocblas_complex_numIfEfPS3_EEvbiiT2_iilPT0_Pii,"axG",@progbits,_ZN9rocsolver6v33100L17syevj_diag_rotateILb1E19rocblas_complex_numIfEfPS3_EEvbiiT2_iilPT0_Pii,comdat
	.globl	_ZN9rocsolver6v33100L17syevj_diag_rotateILb1E19rocblas_complex_numIfEfPS3_EEvbiiT2_iilPT0_Pii ; -- Begin function _ZN9rocsolver6v33100L17syevj_diag_rotateILb1E19rocblas_complex_numIfEfPS3_EEvbiiT2_iilPT0_Pii
	.p2align	8
	.type	_ZN9rocsolver6v33100L17syevj_diag_rotateILb1E19rocblas_complex_numIfEfPS3_EEvbiiT2_iilPT0_Pii,@function
_ZN9rocsolver6v33100L17syevj_diag_rotateILb1E19rocblas_complex_numIfEfPS3_EEvbiiT2_iilPT0_Pii: ; @_ZN9rocsolver6v33100L17syevj_diag_rotateILb1E19rocblas_complex_numIfEfPS3_EEvbiiT2_iilPT0_Pii
; %bb.0:
	s_load_b128 s[36:39], s[0:1], 0x0
	v_mov_b32_e32 v41, v0
	s_mov_b32 s26, s15
	s_mov_b64 s[22:23], s[0:1]
	s_mov_b32 s21, s14
	s_mov_b32 s24, s13
	s_mov_b32 s0, -1
	s_mov_b32 s32, 0
	s_waitcnt lgkmcnt(0)
	s_abs_i32 s27, s37
	s_mul_i32 s25, s37, s37
	v_cvt_f32_u32_e32 v0, s27
	s_cmpk_lt_u32 s25, 0x2001
	s_delay_alu instid0(VALU_DEP_1) | instskip(SKIP_2) | instid1(VALU_DEP_1)
	v_rcp_iflag_f32_e32 v0, v0
	s_waitcnt_depctr 0xfff
	v_mul_f32_e32 v0, 0x4f7ffffe, v0
	v_cvt_u32_f32_e32 v0, v0
	s_delay_alu instid0(VALU_DEP_1)
	v_readfirstlane_b32 s28, v0
	s_cbranch_scc1 .LBB87_2
; %bb.1:
	s_add_u32 s8, s22, 64
	s_addc_u32 s9, s23, 0
	s_getpc_b64 s[0:1]
	s_add_u32 s0, s0, __PRETTY_FUNCTION__._ZN9rocsolver6v33100L17syevj_diag_rotateILb1E19rocblas_complex_numIfEfPS3_EEvbiiT2_iilPT0_Pii@rel32@lo+4
	s_addc_u32 s1, s1, __PRETTY_FUNCTION__._ZN9rocsolver6v33100L17syevj_diag_rotateILb1E19rocblas_complex_numIfEfPS3_EEvbiiT2_iilPT0_Pii@rel32@hi+12
	s_delay_alu instid0(SALU_CYCLE_1) | instskip(SKIP_3) | instid1(SALU_CYCLE_1)
	v_dual_mov_b32 v0, s0 :: v_dual_mov_b32 v1, s1
	s_getpc_b64 s[2:3]
	s_add_u32 s2, s2, __assert_fail@rel32@lo+4
	s_addc_u32 s3, s3, __assert_fail@rel32@hi+12
	s_swappc_b64 s[30:31], s[2:3]
	; divergent unreachable
	s_mov_b32 s0, 0
.LBB87_2:
	s_delay_alu instid0(SALU_CYCLE_1)
	s_and_not1_b32 vcc_lo, exec_lo, s0
	s_cbranch_vccnz .LBB87_35
; %bb.3:
	s_load_b32 s16, s[22:23], 0x38
	s_waitcnt lgkmcnt(0)
	s_cmp_ge_u32 s26, s16
	s_cbranch_scc1 .LBB87_35
; %bb.4:
	s_load_b128 s[12:15], s[22:23], 0x40
	s_sub_i32 s0, 0, s27
	s_add_i32 s1, s38, -1
	s_mul_i32 s0, s0, s28
	s_abs_i32 s3, s1
	s_mul_hi_u32 s0, s28, s0
	s_ashr_i32 s2, s37, 31
	s_add_i32 s28, s28, s0
	s_ashr_i32 s1, s1, 31
	s_cmpk_lt_u32 s25, 0x1001
	s_mul_hi_u32 s0, s3, s28
	s_clause 0x1
	s_load_b256 s[4:11], s[22:23], 0x10
	s_load_b64 s[34:35], s[22:23], 0x30
	s_cselect_b32 s17, -1, 0
	s_bitcmp1_b32 s36, 0
	s_mul_i32 s19, s0, s27
	s_cselect_b32 s18, -1, 0
	s_xor_b32 s1, s1, s2
	s_sub_i32 s2, s3, s19
	s_add_i32 s3, s0, 1
	s_sub_i32 s20, s2, s27
	s_waitcnt lgkmcnt(0)
	s_lshr_b32 s19, s15, 16
	s_and_b32 s15, s15, 0xffff
	v_bfe_u32 v5, v41, 10, 10
	s_cmp_ge_u32 s2, s27
	v_and_b32_e32 v4, 0x3ff, v41
	s_cselect_b32 s0, s3, s0
	s_cselect_b32 s2, s20, s2
	s_add_i32 s3, s0, 1
	v_mul_lo_u32 v0, v5, s37
	s_cmp_ge_u32 s2, s27
	s_mov_b32 s40, s6
	s_cselect_b32 s0, s3, s0
	s_lshl_b32 s2, s25, 3
	s_xor_b32 s0, s0, s1
	s_add_i32 s23, s2, 0
	s_sub_i32 s20, s0, s1
	v_add_nc_u32_e32 v1, v4, v0
	s_add_i32 s22, s20, 1
	s_mov_b64 s[0:1], src_shared_base
	s_ashr_i32 s41, s6, 31
	s_cmp_lt_u32 s24, s22
	s_mul_i32 s0, s20, s37
	s_cselect_b32 s6, -1, 0
	s_sub_i32 s29, s38, s0
	v_lshl_add_u32 v8, v1, 3, 0
	v_mov_b32_e32 v1, 0
	v_mad_u32_u24 v6, v5, s15, v4
	s_cmp_lt_u32 s21, s22
	v_lshl_add_u32 v9, v0, 3, 0
	s_cselect_b32 s31, -1, 0
	s_ashr_i32 s33, s7, 31
	s_add_u32 s34, s34, 4
	v_cmp_gt_u32_e64 s0, s25, v6
	s_addc_u32 s35, s35, 0
	s_lshl_b64 s[38:39], s[40:41], 3
	v_lshl_add_u32 v7, v6, 3, s23
	s_mov_b32 s28, s1
	s_mul_i32 s30, s19, s15
	s_mul_i32 s1, s37, s19
	s_add_u32 s4, s4, s38
	s_mov_b32 s3, 0
	s_addc_u32 s5, s5, s39
	s_lshl_b32 s36, s30, 3
	s_mul_i32 s38, s24, s37
	s_mul_i32 s39, s12, s37
	s_lshl_b32 s40, s1, 3
	s_lshl_b32 s41, s15, 3
	s_branch .LBB87_6
.LBB87_5:                               ;   in Loop: Header=BB87_6 Depth=1
	s_add_i32 s26, s26, s14
	s_delay_alu instid0(SALU_CYCLE_1)
	s_cmp_lt_u32 s26, s16
	s_cbranch_scc0 .LBB87_35
.LBB87_6:                               ; =>This Loop Header: Depth=1
                                        ;     Child Loop BB87_10 Depth 2
                                        ;       Child Loop BB87_13 Depth 3
                                        ;       Child Loop BB87_19 Depth 3
                                        ;         Child Loop BB87_23 Depth 4
                                        ;           Child Loop BB87_25 Depth 5
                                        ;         Child Loop BB87_29 Depth 4
                                        ;           Child Loop BB87_32 Depth 5
                                        ;             Child Loop BB87_34 Depth 6
	s_mov_b32 s27, s3
	s_delay_alu instid0(SALU_CYCLE_1) | instskip(NEXT) | instid1(SALU_CYCLE_1)
	s_lshl_b64 s[42:43], s[26:27], 2
	s_add_u32 s42, s34, s42
	s_addc_u32 s43, s35, s43
	global_load_b32 v0, v1, s[42:43]
	s_waitcnt vmcnt(0)
	v_cmp_ne_u32_e32 vcc_lo, 0, v0
	s_cbranch_vccnz .LBB87_5
; %bb.7:                                ;   in Loop: Header=BB87_6 Depth=1
	s_and_not1_b32 vcc_lo, exec_lo, s6
	s_cbranch_vccnz .LBB87_5
; %bb.8:                                ;   in Loop: Header=BB87_6 Depth=1
	s_mul_i32 s1, s26, s9
	s_mul_hi_u32 s2, s26, s8
	s_mul_i32 s42, s26, s8
	s_add_i32 s43, s2, s1
	s_mul_i32 s27, s26, s22
	s_lshl_b64 s[42:43], s[42:43], 3
	s_mov_b32 s44, s38
	s_add_u32 s42, s4, s42
	s_addc_u32 s43, s5, s43
	s_mov_b32 s45, s24
	s_branch .LBB87_10
.LBB87_9:                               ;   in Loop: Header=BB87_10 Depth=2
	s_add_i32 s45, s45, s12
	s_add_i32 s44, s44, s39
	s_cmp_ge_u32 s45, s22
	s_cbranch_scc1 .LBB87_5
.LBB87_10:                              ;   Parent Loop BB87_6 Depth=1
                                        ; =>  This Loop Header: Depth=2
                                        ;       Child Loop BB87_13 Depth 3
                                        ;       Child Loop BB87_19 Depth 3
                                        ;         Child Loop BB87_23 Depth 4
                                        ;           Child Loop BB87_25 Depth 5
                                        ;         Child Loop BB87_29 Depth 4
                                        ;           Child Loop BB87_32 Depth 5
                                        ;             Child Loop BB87_34 Depth 6
	s_add_i32 s1, s45, s27
	s_delay_alu instid0(SALU_CYCLE_1) | instskip(NEXT) | instid1(SALU_CYCLE_1)
	s_mul_i32 s2, s1, s25
	s_lshl_b64 s[46:47], s[2:3], 3
	s_delay_alu instid0(SALU_CYCLE_1)
	s_add_u32 s1, s10, s46
	s_addc_u32 s2, s11, s47
	s_and_not1_b32 vcc_lo, exec_lo, s17
	s_cbranch_vccnz .LBB87_15
; %bb.11:                               ;   in Loop: Header=BB87_10 Depth=2
	s_waitcnt_vscnt null, 0x0
	s_barrier
	buffer_gl0_inv
	s_and_saveexec_b32 s46, s0
	s_cbranch_execz .LBB87_14
; %bb.12:                               ;   in Loop: Header=BB87_10 Depth=2
	v_mov_b32_e32 v2, v7
	v_mov_b32_e32 v0, v6
	s_mov_b32 s47, 0
.LBB87_13:                              ;   Parent Loop BB87_6 Depth=1
                                        ;     Parent Loop BB87_10 Depth=2
                                        ; =>    This Inner Loop Header: Depth=3
	s_delay_alu instid0(VALU_DEP_1) | instskip(SKIP_1) | instid1(VALU_DEP_2)
	v_lshlrev_b64 v[10:11], 3, v[0:1]
	v_add_nc_u32_e32 v0, s30, v0
	v_add_co_u32 v10, vcc_lo, s1, v10
	s_delay_alu instid0(VALU_DEP_3) | instskip(NEXT) | instid1(VALU_DEP_3)
	v_add_co_ci_u32_e32 v11, vcc_lo, s2, v11, vcc_lo
	v_cmp_le_u32_e32 vcc_lo, s25, v0
	global_load_b64 v[10:11], v[10:11], off
	s_or_b32 s47, vcc_lo, s47
	s_waitcnt vmcnt(0)
	ds_store_b64 v2, v[10:11]
	v_add_nc_u32_e32 v2, s36, v2
	s_and_not1_b32 exec_lo, exec_lo, s47
	s_cbranch_execnz .LBB87_13
.LBB87_14:                              ;   in Loop: Header=BB87_10 Depth=2
	s_or_b32 exec_lo, exec_lo, s46
	s_waitcnt lgkmcnt(0)
	s_barrier
	buffer_gl0_inv
.LBB87_15:                              ;   in Loop: Header=BB87_10 Depth=2
	s_and_not1_b32 vcc_lo, exec_lo, s31
	s_cbranch_vccnz .LBB87_9
; %bb.16:                               ;   in Loop: Header=BB87_10 Depth=2
	s_and_b32 s46, s17, exec_lo
	s_cselect_b32 s46, s28, s2
	s_cselect_b32 s47, s23, s1
	s_cmp_eq_u32 s20, s45
	s_mul_i32 s50, s45, s37
	s_cselect_b32 s48, s29, s37
	s_mov_b32 s51, s21
	v_cmp_gt_u32_e64 s1, s48, v4
	s_cmp_gt_i32 s48, 0
	s_cselect_b32 s49, -1, 0
	s_branch .LBB87_19
.LBB87_17:                              ;   in Loop: Header=BB87_19 Depth=3
	s_or_b32 exec_lo, exec_lo, s54
	s_waitcnt_vscnt null, 0x0
	s_barrier
	buffer_gl0_inv
.LBB87_18:                              ;   in Loop: Header=BB87_19 Depth=3
	s_add_i32 s51, s51, s13
	s_delay_alu instid0(SALU_CYCLE_1)
	s_cmp_ge_u32 s51, s22
	s_cbranch_scc1 .LBB87_9
.LBB87_19:                              ;   Parent Loop BB87_6 Depth=1
                                        ;     Parent Loop BB87_10 Depth=2
                                        ; =>    This Loop Header: Depth=3
                                        ;         Child Loop BB87_23 Depth 4
                                        ;           Child Loop BB87_25 Depth 5
                                        ;         Child Loop BB87_29 Depth 4
                                        ;           Child Loop BB87_32 Depth 5
                                        ;             Child Loop BB87_34 Depth 6
	s_cmp_eq_u32 s45, s51
	s_cselect_b32 s2, -1, 0
	s_delay_alu instid0(SALU_CYCLE_1) | instskip(NEXT) | instid1(SALU_CYCLE_1)
	s_and_b32 s2, s2, s18
	s_and_b32 vcc_lo, exec_lo, s2
	s_cbranch_vccnz .LBB87_18
; %bb.20:                               ;   in Loop: Header=BB87_19 Depth=3
	s_cmp_eq_u32 s20, s51
	s_mul_i32 s53, s51, s37
	s_cselect_b32 s52, s29, s37
	s_waitcnt_vscnt null, 0x0
	v_cmp_gt_u32_e32 vcc_lo, s52, v5
	s_barrier
	buffer_gl0_inv
	s_and_saveexec_b32 s54, vcc_lo
	s_cbranch_execz .LBB87_26
; %bb.21:                               ;   in Loop: Header=BB87_19 Depth=3
	v_dual_mov_b32 v2, v8 :: v_dual_mov_b32 v3, v5
	s_mov_b32 s55, 0
	s_set_inst_prefetch_distance 0x1
	s_branch .LBB87_23
	.p2align	6
.LBB87_22:                              ;   in Loop: Header=BB87_23 Depth=4
	s_or_b32 exec_lo, exec_lo, s56
	v_add_nc_u32_e32 v3, s19, v3
	v_add_nc_u32_e32 v2, s40, v2
	s_delay_alu instid0(VALU_DEP_2) | instskip(NEXT) | instid1(VALU_DEP_1)
	v_cmp_le_u32_e64 s2, s52, v3
	s_or_b32 s55, s2, s55
	s_delay_alu instid0(SALU_CYCLE_1)
	s_and_not1_b32 exec_lo, exec_lo, s55
	s_cbranch_execz .LBB87_26
.LBB87_23:                              ;   Parent Loop BB87_6 Depth=1
                                        ;     Parent Loop BB87_10 Depth=2
                                        ;       Parent Loop BB87_19 Depth=3
                                        ; =>      This Loop Header: Depth=4
                                        ;           Child Loop BB87_25 Depth 5
	s_and_saveexec_b32 s56, s1
	s_cbranch_execz .LBB87_22
; %bb.24:                               ;   in Loop: Header=BB87_23 Depth=4
	v_add_nc_u32_e32 v13, s53, v3
	s_mov_b32 s57, 0
	s_delay_alu instid0(VALU_DEP_1) | instskip(NEXT) | instid1(VALU_DEP_1)
	v_mad_u64_u32 v[10:11], null, v13, s7, 0
	v_mov_b32_e32 v0, v11
	s_delay_alu instid0(VALU_DEP_1) | instskip(SKIP_1) | instid1(VALU_DEP_2)
	v_mad_u64_u32 v[11:12], null, v13, s33, v[0:1]
	v_mov_b32_e32 v13, v4
	v_lshlrev_b64 v[11:12], 3, v[10:11]
	v_mov_b32_e32 v10, v2
	s_delay_alu instid0(VALU_DEP_2) | instskip(NEXT) | instid1(VALU_DEP_1)
	v_add_co_u32 v11, s2, s42, v11
	v_add_co_ci_u32_e64 v12, s2, s43, v12, s2
	.p2align	6
.LBB87_25:                              ;   Parent Loop BB87_6 Depth=1
                                        ;     Parent Loop BB87_10 Depth=2
                                        ;       Parent Loop BB87_19 Depth=3
                                        ;         Parent Loop BB87_23 Depth=4
                                        ; =>        This Inner Loop Header: Depth=5
	v_add_nc_u32_e32 v0, s44, v13
	v_add_nc_u32_e32 v13, s15, v13
	s_delay_alu instid0(VALU_DEP_2) | instskip(NEXT) | instid1(VALU_DEP_1)
	v_lshlrev_b64 v[14:15], 3, v[0:1]
	v_add_co_u32 v14, s2, v11, v14
	s_delay_alu instid0(VALU_DEP_1) | instskip(NEXT) | instid1(VALU_DEP_4)
	v_add_co_ci_u32_e64 v15, s2, v12, v15, s2
	v_cmp_le_u32_e64 s2, s48, v13
	global_load_b64 v[14:15], v[14:15], off
	s_or_b32 s57, s2, s57
	s_waitcnt vmcnt(0)
	ds_store_2addr_b32 v10, v14, v15 offset1:1
	v_add_nc_u32_e32 v10, s41, v10
	s_and_not1_b32 exec_lo, exec_lo, s57
	s_cbranch_execnz .LBB87_25
	s_branch .LBB87_22
.LBB87_26:                              ;   in Loop: Header=BB87_19 Depth=3
	s_set_inst_prefetch_distance 0x2
	s_or_b32 exec_lo, exec_lo, s54
	s_waitcnt lgkmcnt(0)
	s_barrier
	buffer_gl0_inv
	s_and_saveexec_b32 s54, vcc_lo
	s_cbranch_execz .LBB87_17
; %bb.27:                               ;   in Loop: Header=BB87_19 Depth=3
	v_mov_b32_e32 v10, v9
	v_mov_b32_e32 v11, v5
	s_mov_b32 s55, 0
	s_branch .LBB87_29
.LBB87_28:                              ;   in Loop: Header=BB87_29 Depth=4
	s_set_inst_prefetch_distance 0x2
	s_or_b32 exec_lo, exec_lo, s56
	v_add_nc_u32_e32 v11, s19, v11
	v_add_nc_u32_e32 v10, s40, v10
	s_delay_alu instid0(VALU_DEP_2) | instskip(SKIP_1) | instid1(SALU_CYCLE_1)
	v_cmp_le_u32_e32 vcc_lo, s52, v11
	s_or_b32 s55, vcc_lo, s55
	s_and_not1_b32 exec_lo, exec_lo, s55
	s_cbranch_execz .LBB87_17
.LBB87_29:                              ;   Parent Loop BB87_6 Depth=1
                                        ;     Parent Loop BB87_10 Depth=2
                                        ;       Parent Loop BB87_19 Depth=3
                                        ; =>      This Loop Header: Depth=4
                                        ;           Child Loop BB87_32 Depth 5
                                        ;             Child Loop BB87_34 Depth 6
	s_and_saveexec_b32 s56, s1
	s_cbranch_execz .LBB87_28
; %bb.30:                               ;   in Loop: Header=BB87_29 Depth=4
	v_add_nc_u32_e32 v14, s53, v11
	s_mov_b32 s57, 0
	s_delay_alu instid0(VALU_DEP_1) | instskip(NEXT) | instid1(VALU_DEP_1)
	v_mad_u64_u32 v[2:3], null, v14, s7, 0
	v_mov_b32_e32 v0, v3
	s_delay_alu instid0(VALU_DEP_1) | instskip(SKIP_1) | instid1(VALU_DEP_2)
	v_mad_u64_u32 v[12:13], null, v14, s33, v[0:1]
	v_mov_b32_e32 v14, v4
	v_mov_b32_e32 v3, v12
	s_delay_alu instid0(VALU_DEP_1) | instskip(NEXT) | instid1(VALU_DEP_1)
	v_lshlrev_b64 v[2:3], 3, v[2:3]
	v_add_co_u32 v12, vcc_lo, s42, v2
	s_delay_alu instid0(VALU_DEP_2)
	v_add_co_ci_u32_e32 v13, vcc_lo, s43, v3, vcc_lo
	s_set_inst_prefetch_distance 0x1
	s_branch .LBB87_32
	.p2align	6
.LBB87_31:                              ;   in Loop: Header=BB87_32 Depth=5
	v_add_nc_u32_e32 v0, s50, v14
	v_add_nc_u32_e32 v14, s15, v14
	s_delay_alu instid0(VALU_DEP_2) | instskip(NEXT) | instid1(VALU_DEP_2)
	v_lshlrev_b64 v[15:16], 3, v[0:1]
	v_cmp_le_u32_e32 vcc_lo, s48, v14
	s_or_b32 s57, vcc_lo, s57
	s_delay_alu instid0(VALU_DEP_2) | instskip(NEXT) | instid1(VALU_DEP_1)
	v_add_co_u32 v15, s2, v12, v15
	v_add_co_ci_u32_e64 v16, s2, v13, v16, s2
	global_store_b64 v[15:16], v[2:3], off
	s_and_not1_b32 exec_lo, exec_lo, s57
	s_cbranch_execz .LBB87_28
.LBB87_32:                              ;   Parent Loop BB87_6 Depth=1
                                        ;     Parent Loop BB87_10 Depth=2
                                        ;       Parent Loop BB87_19 Depth=3
                                        ;         Parent Loop BB87_29 Depth=4
                                        ; =>        This Loop Header: Depth=5
                                        ;             Child Loop BB87_34 Depth 6
	v_dual_mov_b32 v3, 0 :: v_dual_mov_b32 v2, 0
	s_and_not1_b32 vcc_lo, exec_lo, s49
	s_cbranch_vccnz .LBB87_31
; %bb.33:                               ;   in Loop: Header=BB87_32 Depth=5
	v_dual_mov_b32 v3, 0 :: v_dual_mov_b32 v0, v14
	v_mov_b32_e32 v15, v10
	s_mov_b32 s2, s48
	s_delay_alu instid0(VALU_DEP_2)
	v_mov_b32_e32 v2, v3
	.p2align	6
.LBB87_34:                              ;   Parent Loop BB87_6 Depth=1
                                        ;     Parent Loop BB87_10 Depth=2
                                        ;       Parent Loop BB87_19 Depth=3
                                        ;         Parent Loop BB87_29 Depth=4
                                        ;           Parent Loop BB87_32 Depth=5
                                        ; =>          This Inner Loop Header: Depth=6
	s_delay_alu instid0(VALU_DEP_3)
	v_lshlrev_b64 v[16:17], 3, v[0:1]
	ds_load_2addr_b32 v[18:19], v15 offset1:1
	s_add_i32 s2, s2, -1
	v_add_nc_u32_e32 v0, s37, v0
	s_cmp_eq_u32 s2, 0
	v_add_nc_u32_e32 v15, 8, v15
	v_add_co_u32 v16, vcc_lo, s47, v16
	v_add_co_ci_u32_e32 v17, vcc_lo, s46, v17, vcc_lo
	flat_load_b64 v[16:17], v[16:17]
	s_waitcnt vmcnt(0) lgkmcnt(0)
	v_mul_f32_e32 v20, v17, v19
	v_mul_f32_e32 v17, v17, v18
	s_delay_alu instid0(VALU_DEP_2) | instskip(NEXT) | instid1(VALU_DEP_2)
	v_fmac_f32_e32 v20, v16, v18
	v_fma_f32 v16, v16, v19, -v17
	s_delay_alu instid0(VALU_DEP_2) | instskip(NEXT) | instid1(VALU_DEP_2)
	v_add_f32_e32 v2, v2, v20
	v_add_f32_e32 v3, v3, v16
	s_cbranch_scc0 .LBB87_34
	s_branch .LBB87_31
.LBB87_35:
	s_endpgm
	.section	.rodata,"a",@progbits
	.p2align	6, 0x0
	.amdhsa_kernel _ZN9rocsolver6v33100L17syevj_diag_rotateILb1E19rocblas_complex_numIfEfPS3_EEvbiiT2_iilPT0_Pii
		.amdhsa_group_segment_fixed_size 0
		.amdhsa_private_segment_fixed_size 64
		.amdhsa_kernarg_size 320
		.amdhsa_user_sgpr_count 13
		.amdhsa_user_sgpr_dispatch_ptr 0
		.amdhsa_user_sgpr_queue_ptr 0
		.amdhsa_user_sgpr_kernarg_segment_ptr 1
		.amdhsa_user_sgpr_dispatch_id 0
		.amdhsa_user_sgpr_private_segment_size 0
		.amdhsa_wavefront_size32 1
		.amdhsa_uses_dynamic_stack 0
		.amdhsa_enable_private_segment 1
		.amdhsa_system_sgpr_workgroup_id_x 1
		.amdhsa_system_sgpr_workgroup_id_y 1
		.amdhsa_system_sgpr_workgroup_id_z 1
		.amdhsa_system_sgpr_workgroup_info 0
		.amdhsa_system_vgpr_workitem_id 1
		.amdhsa_next_free_vgpr 42
		.amdhsa_next_free_sgpr 58
		.amdhsa_reserve_vcc 1
		.amdhsa_float_round_mode_32 0
		.amdhsa_float_round_mode_16_64 0
		.amdhsa_float_denorm_mode_32 3
		.amdhsa_float_denorm_mode_16_64 3
		.amdhsa_dx10_clamp 1
		.amdhsa_ieee_mode 1
		.amdhsa_fp16_overflow 0
		.amdhsa_workgroup_processor_mode 1
		.amdhsa_memory_ordered 1
		.amdhsa_forward_progress 0
		.amdhsa_shared_vgpr_count 0
		.amdhsa_exception_fp_ieee_invalid_op 0
		.amdhsa_exception_fp_denorm_src 0
		.amdhsa_exception_fp_ieee_div_zero 0
		.amdhsa_exception_fp_ieee_overflow 0
		.amdhsa_exception_fp_ieee_underflow 0
		.amdhsa_exception_fp_ieee_inexact 0
		.amdhsa_exception_int_div_zero 0
	.end_amdhsa_kernel
	.section	.text._ZN9rocsolver6v33100L17syevj_diag_rotateILb1E19rocblas_complex_numIfEfPS3_EEvbiiT2_iilPT0_Pii,"axG",@progbits,_ZN9rocsolver6v33100L17syevj_diag_rotateILb1E19rocblas_complex_numIfEfPS3_EEvbiiT2_iilPT0_Pii,comdat
.Lfunc_end87:
	.size	_ZN9rocsolver6v33100L17syevj_diag_rotateILb1E19rocblas_complex_numIfEfPS3_EEvbiiT2_iilPT0_Pii, .Lfunc_end87-_ZN9rocsolver6v33100L17syevj_diag_rotateILb1E19rocblas_complex_numIfEfPS3_EEvbiiT2_iilPT0_Pii
                                        ; -- End function
	.section	.AMDGPU.csdata,"",@progbits
; Kernel info:
; codeLenInByte = 1580
; NumSgprs: 60
; NumVgprs: 42
; ScratchSize: 64
; MemoryBound: 0
; FloatMode: 240
; IeeeMode: 1
; LDSByteSize: 0 bytes/workgroup (compile time only)
; SGPRBlocks: 7
; VGPRBlocks: 5
; NumSGPRsForWavesPerEU: 60
; NumVGPRsForWavesPerEU: 42
; Occupancy: 16
; WaveLimiterHint : 1
; COMPUTE_PGM_RSRC2:SCRATCH_EN: 1
; COMPUTE_PGM_RSRC2:USER_SGPR: 13
; COMPUTE_PGM_RSRC2:TRAP_HANDLER: 0
; COMPUTE_PGM_RSRC2:TGID_X_EN: 1
; COMPUTE_PGM_RSRC2:TGID_Y_EN: 1
; COMPUTE_PGM_RSRC2:TGID_Z_EN: 1
; COMPUTE_PGM_RSRC2:TIDIG_COMP_CNT: 1
	.section	.text._ZN9rocsolver6v33100L21syevj_offd_kernel_orgI19rocblas_complex_numIfEfPS3_EEviiT1_iilT0_PT_PiS9_S9_,"axG",@progbits,_ZN9rocsolver6v33100L21syevj_offd_kernel_orgI19rocblas_complex_numIfEfPS3_EEviiT1_iilT0_PT_PiS9_S9_,comdat
	.globl	_ZN9rocsolver6v33100L21syevj_offd_kernel_orgI19rocblas_complex_numIfEfPS3_EEviiT1_iilT0_PT_PiS9_S9_ ; -- Begin function _ZN9rocsolver6v33100L21syevj_offd_kernel_orgI19rocblas_complex_numIfEfPS3_EEviiT1_iilT0_PT_PiS9_S9_
	.p2align	8
	.type	_ZN9rocsolver6v33100L21syevj_offd_kernel_orgI19rocblas_complex_numIfEfPS3_EEviiT1_iilT0_PT_PiS9_S9_,@function
_ZN9rocsolver6v33100L21syevj_offd_kernel_orgI19rocblas_complex_numIfEfPS3_EEviiT1_iilT0_PT_PiS9_S9_: ; @_ZN9rocsolver6v33100L21syevj_offd_kernel_orgI19rocblas_complex_numIfEfPS3_EEviiT1_iilT0_PT_PiS9_S9_
; %bb.0:
	s_load_b256 s[4:11], s[0:1], 0x28
	s_mov_b32 s16, s15
	s_ashr_i32 s17, s15, 31
	s_mov_b32 s15, 0
	s_lshl_b64 s[2:3], s[16:17], 2
	s_waitcnt lgkmcnt(0)
	s_add_u32 s2, s10, s2
	s_addc_u32 s3, s11, s3
	s_load_b32 s2, s[2:3], 0x4
	s_waitcnt lgkmcnt(0)
	s_cmp_lg_u32 s2, 0
	s_cbranch_scc1 .LBB88_49
; %bb.1:
	s_lshl_b64 s[2:3], s[14:15], 2
	s_delay_alu instid0(SALU_CYCLE_1)
	s_add_u32 s6, s6, s2
	s_addc_u32 s7, s7, s3
	s_add_u32 s2, s8, s2
	s_addc_u32 s3, s9, s3
	s_load_b32 s6, s[6:7], 0x0
	s_load_b32 s7, s[2:3], 0x0
	s_load_b64 s[8:9], s[0:1], 0x0
	s_waitcnt lgkmcnt(0)
	s_max_i32 s19, s6, s7
	s_delay_alu instid0(SALU_CYCLE_1)
	s_cmp_ge_i32 s19, s8
	s_cbranch_scc1 .LBB88_49
; %bb.2:
	s_load_b32 s8, s[0:1], 0x54
	s_add_u32 s2, s0, 0x48
	v_bfe_u32 v6, v0, 10, 10
	s_addc_u32 s3, s1, 0
	s_min_i32 s13, s6, s7
	s_mov_b32 s6, exec_lo
	s_waitcnt lgkmcnt(0)
	s_and_b32 s8, s8, 0xffff
	s_delay_alu instid0(SALU_CYCLE_1) | instskip(NEXT) | instid1(SALU_CYCLE_1)
	s_mul_i32 s13, s13, s8
	v_add_nc_u32_e32 v24, s13, v6
	s_delay_alu instid0(VALU_DEP_1)
	v_cmpx_gt_i32_e64 s9, v24
	s_cbranch_execz .LBB88_49
; %bb.3:
	s_cmp_eq_u64 s[4:5], 0
	s_mov_b64 s[10:11], 0
	s_cbranch_scc1 .LBB88_5
; %bb.4:
	s_load_b32 s2, s[2:3], 0x0
	s_waitcnt lgkmcnt(0)
	s_mul_i32 s2, s2, s16
	s_delay_alu instid0(SALU_CYCLE_1) | instskip(NEXT) | instid1(SALU_CYCLE_1)
	s_add_i32 s2, s2, s14
	s_mul_i32 s2, s2, s8
	s_delay_alu instid0(SALU_CYCLE_1) | instskip(NEXT) | instid1(SALU_CYCLE_1)
	s_mul_i32 s2, s2, s8
	s_lshl_b32 s2, s2, 2
	s_delay_alu instid0(SALU_CYCLE_1) | instskip(NEXT) | instid1(SALU_CYCLE_1)
	s_ashr_i32 s3, s2, 31
	s_lshl_b64 s[2:3], s[2:3], 3
	s_delay_alu instid0(SALU_CYCLE_1)
	s_add_u32 s10, s4, s2
	s_addc_u32 s11, s5, s3
.LBB88_5:
	s_lshl_b32 s2, s8, 1
	v_and_b32_e32 v0, 0x3ff, v0
	v_add_nc_u32_e32 v7, s8, v6
	v_mul_u32_u24_e32 v25, s2, v6
	s_cmp_lg_u64 s[10:11], 0
	s_cselect_b32 s18, -1, 0
	s_delay_alu instid0(VALU_DEP_2) | instskip(NEXT) | instid1(VALU_DEP_2)
	v_mad_u32_u24 v1, v7, s2, v0
	v_add_lshl_u32 v4, v25, v0, 3
	s_cmp_eq_u64 s[10:11], 0
	s_cbranch_scc1 .LBB88_7
; %bb.6:
	s_mov_b32 s4, 0
	v_cmp_eq_u32_e32 vcc_lo, v0, v6
	s_mov_b32 s5, s4
	v_mov_b32_e32 v9, 0
	v_dual_mov_b32 v15, s5 :: v_dual_mov_b32 v14, s4
	v_add_nc_u32_e32 v5, s8, v0
	v_cndmask_b32_e64 v8, 0, 1.0, vcc_lo
	s_delay_alu instid0(VALU_DEP_4) | instskip(SKIP_3) | instid1(VALU_DEP_4)
	v_mov_b32_e32 v2, v9
	v_mov_b32_e32 v13, v9
	v_add_co_u32 v10, s3, s10, v4
	v_mad_u32_u24 v12, v7, s2, v5
	v_lshlrev_b64 v[2:3], 3, v[1:2]
	v_add_lshl_u32 v16, v25, v5, 3
	v_add_co_ci_u32_e64 v11, null, s11, 0, s3
	s_delay_alu instid0(VALU_DEP_4) | instskip(NEXT) | instid1(VALU_DEP_4)
	v_lshlrev_b64 v[12:13], 3, v[12:13]
	v_add_co_u32 v2, vcc_lo, s10, v2
	v_add_co_ci_u32_e32 v3, vcc_lo, s11, v3, vcc_lo
	v_add_co_u32 v16, s3, s10, v16
	s_delay_alu instid0(VALU_DEP_4)
	v_add_co_u32 v12, vcc_lo, s10, v12
	v_add_co_ci_u32_e64 v17, null, s11, 0, s3
	v_add_co_ci_u32_e32 v13, vcc_lo, s11, v13, vcc_lo
	s_clause 0x3
	flat_store_b64 v[10:11], v[8:9]
	flat_store_b64 v[2:3], v[14:15]
	flat_store_b64 v[16:17], v[14:15]
	flat_store_b64 v[12:13], v[8:9]
.LBB88_7:
	s_cmp_eq_u32 s8, 0
	s_mov_b32 s12, 0
	s_cbranch_scc1 .LBB88_49
; %bb.8:
	s_clause 0x2
	s_load_b32 s3, s[0:1], 0x20
	s_load_b128 s[4:7], s[0:1], 0x8
	s_load_b64 s[14:15], s[0:1], 0x18
	v_dual_mov_b32 v2, 0 :: v_dual_add_nc_u32 v3, s13, v0
	v_cvt_f32_u32_e32 v9, s8
	s_mul_i32 s19, s19, s8
	v_cmp_eq_u32_e64 s0, 0, v6
	v_mul_u32_u24_e32 v27, s2, v7
	v_add_nc_u32_e32 v28, s19, v6
	v_rcp_iflag_f32_e32 v9, v9
	v_lshlrev_b64 v[6:7], 3, v[1:2]
	v_lshlrev_b32_e32 v8, 3, v0
	s_lshl_b32 s21, s8, 2
	s_mov_b32 s20, 0x800000
	v_add_co_u32 v4, s1, s10, v4
	s_delay_alu instid0(VALU_DEP_3)
	v_add_co_u32 v6, vcc_lo, s10, v6
	v_add_co_ci_u32_e32 v7, vcc_lo, s11, v7, vcc_lo
	s_waitcnt_depctr 0xfff
	v_mul_f32_e32 v15, 0x4f7ffffe, v9
	s_waitcnt lgkmcnt(0)
	v_div_scale_f32 v14, null, s3, s3, 0x800000
	v_add3_u32 v29, 0, s21, v8
	v_div_scale_f32 v16, vcc_lo, s20, s3, s20
	s_delay_alu instid0(VALU_DEP_3)
	v_rcp_f32_e32 v1, v14
	v_mul_lo_u32 v30, v3, s7
	s_mul_i32 s13, s16, s15
	s_mul_hi_u32 s15, s16, s14
	s_mul_i32 s17, s17, s14
	s_add_i32 s13, s15, s13
	s_mul_i32 s14, s16, s14
	s_add_i32 s15, s13, s17
	s_ashr_i32 s21, s6, 31
	s_lshl_b64 s[14:15], s[14:15], 3
	s_waitcnt_depctr 0xfff
	v_fma_f32 v8, -v14, v1, 1.0
	s_mov_b32 s20, s6
	s_add_u32 s4, s4, s14
	s_addc_u32 s6, s5, s15
	s_lshl_b64 s[14:15], s[20:21], 3
	v_fmac_f32_e32 v1, v8, v1
	v_mul_lo_u32 v31, v24, s7
	v_cvt_u32_f32_e32 v20, v15
	v_add_nc_u32_e32 v8, v30, v3
	s_add_u32 s5, s4, s14
	v_mul_f32_e32 v17, v16, v1
	s_addc_u32 s6, s6, s15
	v_mul_lo_u32 v32, v28, s7
	v_ashrrev_i32_e32 v9, 31, v8
	v_add_nc_u32_e32 v12, v30, v28
	v_fma_f32 v11, -v14, v17, v16
	v_add_nc_u32_e32 v10, v30, v24
	v_add_co_ci_u32_e64 v5, null, s11, 0, s1
	v_lshlrev_b64 v[8:9], 3, v[8:9]
	s_delay_alu instid0(VALU_DEP_4) | instskip(NEXT) | instid1(VALU_DEP_4)
	v_fmac_f32_e32 v17, v11, v1
	v_ashrrev_i32_e32 v11, 31, v10
	v_ashrrev_i32_e32 v13, 31, v12
	v_cmp_gt_i32_e64 s1, s9, v3
	v_lshl_add_u32 v26, v0, 2, 0
	v_fma_f32 v14, -v14, v17, v16
	v_add_nc_u32_e32 v16, v32, v3
	v_lshlrev_b64 v[10:11], 3, v[10:11]
	v_lshlrev_b64 v[12:13], 3, v[12:13]
	v_cmp_gt_i32_e64 s2, s9, v28
	v_div_fmas_f32 v1, v14, v1, v17
	v_add_nc_u32_e32 v14, v31, v3
	v_add_co_u32 v8, vcc_lo, s5, v8
	v_ashrrev_i32_e32 v17, 31, v16
	s_delay_alu instid0(VALU_DEP_4)
	v_div_fixup_f32 v33, v1, s3, 0x800000
	s_sub_i32 s3, 0, s8
	v_ashrrev_i32_e32 v15, 31, v14
	v_mul_lo_u32 v1, s3, v20
	v_add_co_ci_u32_e32 v9, vcc_lo, s6, v9, vcc_lo
	v_add_co_u32 v10, vcc_lo, s5, v10
	s_delay_alu instid0(VALU_DEP_4)
	v_lshlrev_b64 v[14:15], 3, v[14:15]
	v_add_co_ci_u32_e32 v11, vcc_lo, s6, v11, vcc_lo
	v_mul_hi_u32 v1, v20, v1
	v_add_co_u32 v12, vcc_lo, s5, v12
	v_lshlrev_b64 v[18:19], 3, v[16:17]
	v_add_co_ci_u32_e32 v13, vcc_lo, s6, v13, vcc_lo
	v_add_co_u32 v14, vcc_lo, s5, v14
	v_add_nc_u32_e32 v34, v20, v1
	v_add_co_ci_u32_e32 v15, vcc_lo, s6, v15, vcc_lo
	v_add_co_u32 v18, vcc_lo, s5, v18
	s_delay_alu instid0(VALU_DEP_3)
	v_mad_u64_u32 v[16:17], null, v0, v34, 0
	v_add_co_ci_u32_e32 v19, vcc_lo, s6, v19, vcc_lo
	s_and_b32 s14, s0, s1
	s_mov_b32 s15, s8
                                        ; implicit-def: $vgpr38
                                        ; implicit-def: $vgpr21
                                        ; implicit-def: $vgpr1
                                        ; implicit-def: $vgpr36
	s_branch .LBB88_10
.LBB88_9:                               ;   in Loop: Header=BB88_10 Depth=1
	s_or_b32 exec_lo, exec_lo, s3
	v_add_co_u32 v16, vcc_lo, v16, v34
	v_add_nc_u32_e32 v0, 1, v0
	v_add_co_ci_u32_e32 v17, vcc_lo, 0, v17, vcc_lo
	s_add_i32 s15, s15, -1
	s_delay_alu instid0(SALU_CYCLE_1)
	s_cmp_lg_u32 s15, 0
	s_cbranch_scc0 .LBB88_49
.LBB88_10:                              ; =>This Inner Loop Header: Depth=1
	s_delay_alu instid0(VALU_DEP_1) | instskip(SKIP_1) | instid1(VALU_DEP_1)
	v_mul_lo_u32 v35, s8, v17
	v_not_b32_e32 v37, v17
	v_mad_u64_u32 v[22:23], null, s8, v37, v[0:1]
	s_delay_alu instid0(VALU_DEP_3) | instskip(NEXT) | instid1(VALU_DEP_1)
	v_sub_nc_u32_e32 v23, v0, v35
	v_cmp_le_u32_e32 vcc_lo, s8, v23
	s_delay_alu instid0(VALU_DEP_3) | instskip(NEXT) | instid1(VALU_DEP_1)
	v_cndmask_b32_e32 v22, v23, v22, vcc_lo
	v_subrev_nc_u32_e32 v23, s8, v22
	v_cmp_le_u32_e32 vcc_lo, s8, v22
	s_delay_alu instid0(VALU_DEP_2) | instskip(NEXT) | instid1(VALU_DEP_1)
	v_cndmask_b32_e32 v39, v22, v23, vcc_lo
	v_add_nc_u32_e32 v35, s19, v39
	s_delay_alu instid0(VALU_DEP_1) | instskip(SKIP_1) | instid1(VALU_DEP_1)
	v_mul_lo_u32 v37, v35, s7
	v_cmp_gt_i32_e64 s3, s9, v35
	s_and_b32 s4, s14, s3
	s_delay_alu instid0(SALU_CYCLE_1)
	s_and_saveexec_b32 s13, s4
	s_cbranch_execz .LBB88_36
; %bb.11:                               ;   in Loop: Header=BB88_10 Depth=1
	s_delay_alu instid0(VALU_DEP_2) | instskip(SKIP_1) | instid1(VALU_DEP_1)
	v_add_nc_u32_e32 v20, v37, v3
                                        ; implicit-def: $vgpr40
	s_mov_b32 s4, exec_lo
	v_ashrrev_i32_e32 v21, 31, v20
	s_delay_alu instid0(VALU_DEP_1) | instskip(NEXT) | instid1(VALU_DEP_1)
	v_lshlrev_b64 v[20:21], 3, v[20:21]
	v_add_co_u32 v20, vcc_lo, s5, v20
	s_delay_alu instid0(VALU_DEP_2)
	v_add_co_ci_u32_e32 v21, vcc_lo, s6, v21, vcc_lo
	global_load_b64 v[22:23], v[20:21], off
	s_waitcnt vmcnt(0)
	v_cmp_gt_f32_e32 vcc_lo, 0, v22
	v_cndmask_b32_e64 v20, v22, -v22, vcc_lo
	v_cmp_gt_f32_e32 vcc_lo, 0, v23
	v_cndmask_b32_e64 v21, v23, -v23, vcc_lo
	s_delay_alu instid0(VALU_DEP_1)
	v_cmpx_ngt_f32_e32 v20, v21
	s_xor_b32 s16, exec_lo, s4
	s_cbranch_execz .LBB88_15
; %bb.12:                               ;   in Loop: Header=BB88_10 Depth=1
	v_mov_b32_e32 v40, 0
	s_mov_b32 s17, exec_lo
	v_cmpx_neq_f32_e32 0, v23
	s_cbranch_execz .LBB88_14
; %bb.13:                               ;   in Loop: Header=BB88_10 Depth=1
	v_div_scale_f32 v38, null, v21, v21, v20
	v_div_scale_f32 v42, vcc_lo, v20, v21, v20
	s_delay_alu instid0(VALU_DEP_2) | instskip(SKIP_2) | instid1(VALU_DEP_1)
	v_rcp_f32_e32 v40, v38
	s_waitcnt_depctr 0xfff
	v_fma_f32 v41, -v38, v40, 1.0
	v_fmac_f32_e32 v40, v41, v40
	s_delay_alu instid0(VALU_DEP_1) | instskip(NEXT) | instid1(VALU_DEP_1)
	v_mul_f32_e32 v41, v42, v40
	v_fma_f32 v43, -v38, v41, v42
	s_delay_alu instid0(VALU_DEP_1) | instskip(NEXT) | instid1(VALU_DEP_1)
	v_fmac_f32_e32 v41, v43, v40
	v_fma_f32 v38, -v38, v41, v42
	s_delay_alu instid0(VALU_DEP_1) | instskip(NEXT) | instid1(VALU_DEP_1)
	v_div_fmas_f32 v38, v38, v40, v41
	v_div_fixup_f32 v20, v38, v21, v20
	s_delay_alu instid0(VALU_DEP_1) | instskip(NEXT) | instid1(VALU_DEP_1)
	v_fma_f32 v20, v20, v20, 1.0
	v_mul_f32_e32 v38, 0x4f800000, v20
	v_cmp_gt_f32_e32 vcc_lo, 0xf800000, v20
	s_delay_alu instid0(VALU_DEP_2) | instskip(NEXT) | instid1(VALU_DEP_1)
	v_cndmask_b32_e32 v20, v20, v38, vcc_lo
	v_sqrt_f32_e32 v38, v20
	s_waitcnt_depctr 0xfff
	v_add_nc_u32_e32 v40, -1, v38
	v_add_nc_u32_e32 v41, 1, v38
	s_delay_alu instid0(VALU_DEP_2) | instskip(NEXT) | instid1(VALU_DEP_2)
	v_fma_f32 v42, -v40, v38, v20
	v_fma_f32 v43, -v41, v38, v20
	s_delay_alu instid0(VALU_DEP_2) | instskip(NEXT) | instid1(VALU_DEP_1)
	v_cmp_ge_f32_e64 s4, 0, v42
	v_cndmask_b32_e64 v38, v38, v40, s4
	s_delay_alu instid0(VALU_DEP_3) | instskip(NEXT) | instid1(VALU_DEP_1)
	v_cmp_lt_f32_e64 s4, 0, v43
	v_cndmask_b32_e64 v38, v38, v41, s4
	s_delay_alu instid0(VALU_DEP_1) | instskip(NEXT) | instid1(VALU_DEP_1)
	v_mul_f32_e32 v40, 0x37800000, v38
	v_cndmask_b32_e32 v38, v38, v40, vcc_lo
	v_cmp_class_f32_e64 vcc_lo, v20, 0x260
	s_delay_alu instid0(VALU_DEP_2) | instskip(NEXT) | instid1(VALU_DEP_1)
	v_cndmask_b32_e32 v20, v38, v20, vcc_lo
	v_mul_f32_e32 v40, v21, v20
.LBB88_14:                              ;   in Loop: Header=BB88_10 Depth=1
	s_or_b32 exec_lo, exec_lo, s17
                                        ; implicit-def: $vgpr20
                                        ; implicit-def: $vgpr21
.LBB88_15:                              ;   in Loop: Header=BB88_10 Depth=1
	s_and_not1_saveexec_b32 s16, s16
	s_cbranch_execz .LBB88_17
; %bb.16:                               ;   in Loop: Header=BB88_10 Depth=1
	v_div_scale_f32 v38, null, v20, v20, v21
	v_div_scale_f32 v42, vcc_lo, v21, v20, v21
	s_delay_alu instid0(VALU_DEP_2) | instskip(SKIP_2) | instid1(VALU_DEP_1)
	v_rcp_f32_e32 v40, v38
	s_waitcnt_depctr 0xfff
	v_fma_f32 v41, -v38, v40, 1.0
	v_fmac_f32_e32 v40, v41, v40
	s_delay_alu instid0(VALU_DEP_1) | instskip(NEXT) | instid1(VALU_DEP_1)
	v_mul_f32_e32 v41, v42, v40
	v_fma_f32 v43, -v38, v41, v42
	s_delay_alu instid0(VALU_DEP_1) | instskip(NEXT) | instid1(VALU_DEP_1)
	v_fmac_f32_e32 v41, v43, v40
	v_fma_f32 v38, -v38, v41, v42
	s_delay_alu instid0(VALU_DEP_1) | instskip(NEXT) | instid1(VALU_DEP_1)
	v_div_fmas_f32 v38, v38, v40, v41
	v_div_fixup_f32 v21, v38, v20, v21
	s_delay_alu instid0(VALU_DEP_1) | instskip(NEXT) | instid1(VALU_DEP_1)
	v_fma_f32 v21, v21, v21, 1.0
	v_mul_f32_e32 v38, 0x4f800000, v21
	v_cmp_gt_f32_e32 vcc_lo, 0xf800000, v21
	s_delay_alu instid0(VALU_DEP_2) | instskip(NEXT) | instid1(VALU_DEP_1)
	v_cndmask_b32_e32 v21, v21, v38, vcc_lo
	v_sqrt_f32_e32 v38, v21
	s_waitcnt_depctr 0xfff
	v_add_nc_u32_e32 v40, -1, v38
	v_add_nc_u32_e32 v41, 1, v38
	s_delay_alu instid0(VALU_DEP_2) | instskip(NEXT) | instid1(VALU_DEP_2)
	v_fma_f32 v42, -v40, v38, v21
	v_fma_f32 v43, -v41, v38, v21
	s_delay_alu instid0(VALU_DEP_2) | instskip(NEXT) | instid1(VALU_DEP_1)
	v_cmp_ge_f32_e64 s4, 0, v42
	v_cndmask_b32_e64 v38, v38, v40, s4
	s_delay_alu instid0(VALU_DEP_3) | instskip(NEXT) | instid1(VALU_DEP_1)
	v_cmp_lt_f32_e64 s4, 0, v43
	v_cndmask_b32_e64 v38, v38, v41, s4
	s_delay_alu instid0(VALU_DEP_1) | instskip(NEXT) | instid1(VALU_DEP_1)
	v_mul_f32_e32 v40, 0x37800000, v38
	v_cndmask_b32_e32 v38, v38, v40, vcc_lo
	v_cmp_class_f32_e64 vcc_lo, v21, 0x260
	s_delay_alu instid0(VALU_DEP_2) | instskip(NEXT) | instid1(VALU_DEP_1)
	v_cndmask_b32_e32 v21, v38, v21, vcc_lo
	v_mul_f32_e32 v40, v20, v21
.LBB88_17:                              ;   in Loop: Header=BB88_10 Depth=1
	s_or_b32 exec_lo, exec_lo, s16
	s_delay_alu instid0(VALU_DEP_1) | instskip(SKIP_1) | instid1(VALU_DEP_2)
	v_dual_mul_f32 v20, v40, v40 :: v_dual_mov_b32 v21, 0
	v_mov_b32_e32 v38, 1.0
	v_cmp_nlt_f32_e32 vcc_lo, v20, v33
	s_delay_alu instid0(VALU_DEP_3)
	v_mov_b32_e32 v20, v21
	s_and_saveexec_b32 s16, vcc_lo
	s_cbranch_execz .LBB88_35
; %bb.18:                               ;   in Loop: Header=BB88_10 Depth=1
	v_add_nc_u32_e32 v20, v37, v35
	s_mov_b32 s4, exec_lo
	s_delay_alu instid0(VALU_DEP_1) | instskip(NEXT) | instid1(VALU_DEP_1)
	v_ashrrev_i32_e32 v21, 31, v20
	v_lshlrev_b64 v[20:21], 3, v[20:21]
	s_delay_alu instid0(VALU_DEP_1) | instskip(NEXT) | instid1(VALU_DEP_2)
	v_add_co_u32 v20, vcc_lo, s5, v20
	v_add_co_ci_u32_e32 v21, vcc_lo, s6, v21, vcc_lo
	s_clause 0x1
	global_load_b32 v21, v[20:21], off
	global_load_b32 v38, v[8:9], off
	s_waitcnt vmcnt(0)
	v_dual_add_f32 v20, v40, v40 :: v_dual_sub_f32 v41, v21, v38
	s_delay_alu instid0(VALU_DEP_1) | instskip(NEXT) | instid1(VALU_DEP_1)
	v_max_f32_e64 v21, |v41|, |v20|
	v_cvt_f64_f32_e32 v[42:43], v21
	s_delay_alu instid0(VALU_DEP_1) | instskip(NEXT) | instid1(VALU_DEP_1)
	v_frexp_exp_i32_f64_e32 v38, v[42:43]
	v_sub_nc_u32_e32 v42, 0, v38
	s_delay_alu instid0(VALU_DEP_1) | instskip(SKIP_1) | instid1(VALU_DEP_2)
	v_ldexp_f32 v43, |v20|, v42
	v_ldexp_f32 v42, |v41|, v42
	v_mul_f32_e32 v43, v43, v43
	s_delay_alu instid0(VALU_DEP_1) | instskip(NEXT) | instid1(VALU_DEP_1)
	v_fmac_f32_e32 v43, v42, v42
                                        ; implicit-def: $vgpr42
	v_sqrt_f32_e32 v43, v43
	v_cmpx_ngt_f32_e32 0, v41
	s_xor_b32 s4, exec_lo, s4
; %bb.19:                               ;   in Loop: Header=BB88_10 Depth=1
	s_waitcnt_depctr 0xfff
	v_ldexp_f32 v38, v43, v38
	v_cmp_neq_f32_e32 vcc_lo, 0x7f800000, v21
                                        ; implicit-def: $vgpr43
                                        ; implicit-def: $vgpr21
	s_delay_alu instid0(VALU_DEP_2)
	v_cndmask_b32_e32 v42, 0x7f800000, v38, vcc_lo
                                        ; implicit-def: $vgpr38
; %bb.20:                               ;   in Loop: Header=BB88_10 Depth=1
	s_and_not1_saveexec_b32 s4, s4
; %bb.21:                               ;   in Loop: Header=BB88_10 Depth=1
	v_ldexp_f32 v38, -v43, v38
	v_cmp_neq_f32_e32 vcc_lo, 0x7f800000, v21
	s_delay_alu instid0(VALU_DEP_2)
	v_cndmask_b32_e32 v42, 0xff800000, v38, vcc_lo
; %bb.22:                               ;   in Loop: Header=BB88_10 Depth=1
	s_or_b32 exec_lo, exec_lo, s4
	v_dual_mov_b32 v21, 0 :: v_dual_mov_b32 v38, 1.0
	s_mov_b32 s17, exec_lo
	v_cmpx_neq_f32_e32 0, v20
	s_cbranch_execz .LBB88_30
; %bb.23:                               ;   in Loop: Header=BB88_10 Depth=1
	v_dual_add_f32 v41, v41, v42 :: v_dual_mov_b32 v38, 0
	v_mov_b32_e32 v21, 1.0
	s_mov_b32 s20, exec_lo
	s_delay_alu instid0(VALU_DEP_2)
	v_cmpx_neq_f32_e32 0, v41
	s_cbranch_execz .LBB88_29
; %bb.24:                               ;   in Loop: Header=BB88_10 Depth=1
	s_mov_b32 s21, exec_lo
                                        ; implicit-def: $vgpr38
                                        ; implicit-def: $vgpr21
	v_cmpx_ngt_f32_e64 |v20|, |v41|
	s_xor_b32 s21, exec_lo, s21
	s_cbranch_execz .LBB88_26
; %bb.25:                               ;   in Loop: Header=BB88_10 Depth=1
	v_div_scale_f32 v21, null, v41, v41, -v20
	v_div_scale_f32 v43, vcc_lo, -v20, v41, -v20
	s_delay_alu instid0(VALU_DEP_2) | instskip(SKIP_2) | instid1(VALU_DEP_1)
	v_rcp_f32_e32 v38, v21
	s_waitcnt_depctr 0xfff
	v_fma_f32 v42, -v21, v38, 1.0
	v_fmac_f32_e32 v38, v42, v38
	s_delay_alu instid0(VALU_DEP_1) | instskip(NEXT) | instid1(VALU_DEP_1)
	v_mul_f32_e32 v42, v43, v38
	v_fma_f32 v44, -v21, v42, v43
	s_delay_alu instid0(VALU_DEP_1) | instskip(NEXT) | instid1(VALU_DEP_1)
	v_fmac_f32_e32 v42, v44, v38
	v_fma_f32 v21, -v21, v42, v43
	s_delay_alu instid0(VALU_DEP_1) | instskip(NEXT) | instid1(VALU_DEP_1)
	v_div_fmas_f32 v21, v21, v38, v42
	v_div_fixup_f32 v20, v21, v41, -v20
	s_delay_alu instid0(VALU_DEP_1) | instskip(NEXT) | instid1(VALU_DEP_1)
	v_fma_f32 v21, v20, v20, 1.0
	v_mul_f32_e32 v38, 0x4f800000, v21
	v_cmp_gt_f32_e32 vcc_lo, 0xf800000, v21
	s_delay_alu instid0(VALU_DEP_2) | instskip(NEXT) | instid1(VALU_DEP_1)
	v_cndmask_b32_e32 v21, v21, v38, vcc_lo
	v_sqrt_f32_e32 v38, v21
	s_waitcnt_depctr 0xfff
	v_add_nc_u32_e32 v41, -1, v38
	v_add_nc_u32_e32 v42, 1, v38
	s_delay_alu instid0(VALU_DEP_2) | instskip(NEXT) | instid1(VALU_DEP_2)
	v_fma_f32 v43, -v41, v38, v21
	v_fma_f32 v44, -v42, v38, v21
	s_delay_alu instid0(VALU_DEP_2) | instskip(NEXT) | instid1(VALU_DEP_1)
	v_cmp_ge_f32_e64 s4, 0, v43
	v_cndmask_b32_e64 v38, v38, v41, s4
	s_delay_alu instid0(VALU_DEP_3) | instskip(NEXT) | instid1(VALU_DEP_1)
	v_cmp_lt_f32_e64 s4, 0, v44
	v_cndmask_b32_e64 v38, v38, v42, s4
	s_delay_alu instid0(VALU_DEP_1) | instskip(NEXT) | instid1(VALU_DEP_1)
	v_mul_f32_e32 v41, 0x37800000, v38
	v_cndmask_b32_e32 v38, v38, v41, vcc_lo
	v_cmp_class_f32_e64 vcc_lo, v21, 0x260
	s_delay_alu instid0(VALU_DEP_2) | instskip(NEXT) | instid1(VALU_DEP_1)
	v_cndmask_b32_e32 v21, v38, v21, vcc_lo
	v_div_scale_f32 v38, null, v21, v21, 1.0
	s_delay_alu instid0(VALU_DEP_1) | instskip(SKIP_2) | instid1(VALU_DEP_1)
	v_rcp_f32_e32 v41, v38
	s_waitcnt_depctr 0xfff
	v_fma_f32 v42, -v38, v41, 1.0
	v_fmac_f32_e32 v41, v42, v41
	v_div_scale_f32 v42, vcc_lo, 1.0, v21, 1.0
	s_delay_alu instid0(VALU_DEP_1) | instskip(NEXT) | instid1(VALU_DEP_1)
	v_mul_f32_e32 v43, v42, v41
	v_fma_f32 v44, -v38, v43, v42
	s_delay_alu instid0(VALU_DEP_1) | instskip(NEXT) | instid1(VALU_DEP_1)
	v_fmac_f32_e32 v43, v44, v41
	v_fma_f32 v38, -v38, v43, v42
	s_delay_alu instid0(VALU_DEP_1) | instskip(NEXT) | instid1(VALU_DEP_1)
	v_div_fmas_f32 v38, v38, v41, v43
                                        ; implicit-def: $vgpr41
	v_div_fixup_f32 v38, v38, v21, 1.0
	s_delay_alu instid0(VALU_DEP_1)
	v_mul_f32_e32 v21, v20, v38
                                        ; implicit-def: $vgpr20
.LBB88_26:                              ;   in Loop: Header=BB88_10 Depth=1
	s_and_not1_saveexec_b32 s21, s21
	s_cbranch_execz .LBB88_28
; %bb.27:                               ;   in Loop: Header=BB88_10 Depth=1
	v_div_scale_f32 v21, null, v20, v20, -v41
	v_div_scale_f32 v43, vcc_lo, -v41, v20, -v41
	s_delay_alu instid0(VALU_DEP_2) | instskip(SKIP_2) | instid1(VALU_DEP_1)
	v_rcp_f32_e32 v38, v21
	s_waitcnt_depctr 0xfff
	v_fma_f32 v42, -v21, v38, 1.0
	v_fmac_f32_e32 v38, v42, v38
	s_delay_alu instid0(VALU_DEP_1) | instskip(NEXT) | instid1(VALU_DEP_1)
	v_mul_f32_e32 v42, v43, v38
	v_fma_f32 v44, -v21, v42, v43
	s_delay_alu instid0(VALU_DEP_1) | instskip(NEXT) | instid1(VALU_DEP_1)
	v_fmac_f32_e32 v42, v44, v38
	v_fma_f32 v21, -v21, v42, v43
	s_delay_alu instid0(VALU_DEP_1) | instskip(NEXT) | instid1(VALU_DEP_1)
	v_div_fmas_f32 v21, v21, v38, v42
	v_div_fixup_f32 v20, v21, v20, -v41
	s_delay_alu instid0(VALU_DEP_1) | instskip(NEXT) | instid1(VALU_DEP_1)
	v_fma_f32 v21, v20, v20, 1.0
	v_mul_f32_e32 v38, 0x4f800000, v21
	v_cmp_gt_f32_e32 vcc_lo, 0xf800000, v21
	s_delay_alu instid0(VALU_DEP_2) | instskip(NEXT) | instid1(VALU_DEP_1)
	v_cndmask_b32_e32 v21, v21, v38, vcc_lo
	v_sqrt_f32_e32 v38, v21
	s_waitcnt_depctr 0xfff
	v_add_nc_u32_e32 v41, -1, v38
	v_add_nc_u32_e32 v42, 1, v38
	s_delay_alu instid0(VALU_DEP_2) | instskip(NEXT) | instid1(VALU_DEP_2)
	v_fma_f32 v43, -v41, v38, v21
	v_fma_f32 v44, -v42, v38, v21
	s_delay_alu instid0(VALU_DEP_2) | instskip(NEXT) | instid1(VALU_DEP_1)
	v_cmp_ge_f32_e64 s4, 0, v43
	v_cndmask_b32_e64 v38, v38, v41, s4
	s_delay_alu instid0(VALU_DEP_3) | instskip(NEXT) | instid1(VALU_DEP_1)
	v_cmp_lt_f32_e64 s4, 0, v44
	v_cndmask_b32_e64 v38, v38, v42, s4
	s_delay_alu instid0(VALU_DEP_1) | instskip(NEXT) | instid1(VALU_DEP_1)
	v_mul_f32_e32 v41, 0x37800000, v38
	v_cndmask_b32_e32 v38, v38, v41, vcc_lo
	v_cmp_class_f32_e64 vcc_lo, v21, 0x260
	s_delay_alu instid0(VALU_DEP_2) | instskip(NEXT) | instid1(VALU_DEP_1)
	v_cndmask_b32_e32 v21, v38, v21, vcc_lo
	v_div_scale_f32 v38, null, v21, v21, 1.0
	s_delay_alu instid0(VALU_DEP_1) | instskip(SKIP_2) | instid1(VALU_DEP_1)
	v_rcp_f32_e32 v41, v38
	s_waitcnt_depctr 0xfff
	v_fma_f32 v42, -v38, v41, 1.0
	v_fmac_f32_e32 v41, v42, v41
	v_div_scale_f32 v42, vcc_lo, 1.0, v21, 1.0
	s_delay_alu instid0(VALU_DEP_1) | instskip(NEXT) | instid1(VALU_DEP_1)
	v_mul_f32_e32 v43, v42, v41
	v_fma_f32 v44, -v38, v43, v42
	s_delay_alu instid0(VALU_DEP_1) | instskip(NEXT) | instid1(VALU_DEP_1)
	v_fmac_f32_e32 v43, v44, v41
	v_fma_f32 v38, -v38, v43, v42
	s_delay_alu instid0(VALU_DEP_1) | instskip(NEXT) | instid1(VALU_DEP_1)
	v_div_fmas_f32 v38, v38, v41, v43
	v_div_fixup_f32 v21, v38, v21, 1.0
	s_delay_alu instid0(VALU_DEP_1)
	v_mul_f32_e32 v38, v20, v21
.LBB88_28:                              ;   in Loop: Header=BB88_10 Depth=1
	s_or_b32 exec_lo, exec_lo, s21
.LBB88_29:                              ;   in Loop: Header=BB88_10 Depth=1
	s_delay_alu instid0(SALU_CYCLE_1)
	s_or_b32 exec_lo, exec_lo, s20
.LBB88_30:                              ;   in Loop: Header=BB88_10 Depth=1
	s_delay_alu instid0(SALU_CYCLE_1)
	s_or_b32 exec_lo, exec_lo, s17
	v_cmp_gt_f32_e32 vcc_lo, 0, v40
	v_mul_f32_e32 v41, v22, v21
	v_mul_f32_e32 v22, v23, v21
	s_mov_b32 s4, exec_lo
                                        ; implicit-def: $vgpr21
	v_cndmask_b32_e64 v20, v40, -v40, vcc_lo
	s_delay_alu instid0(VALU_DEP_1)
	v_cmpx_nlt_f32_e32 0, v20
	s_xor_b32 s4, exec_lo, s4
	s_cbranch_execz .LBB88_32
; %bb.31:                               ;   in Loop: Header=BB88_10 Depth=1
	v_div_scale_f32 v20, null, 0, 0, v40
	v_div_scale_f32 v42, vcc_lo, v40, 0, v40
	s_delay_alu instid0(VALU_DEP_2) | instskip(SKIP_2) | instid1(VALU_DEP_1)
	v_rcp_f32_e32 v21, v20
	s_waitcnt_depctr 0xfff
	v_fma_f32 v23, -v20, v21, 1.0
	v_fmac_f32_e32 v21, v23, v21
	s_delay_alu instid0(VALU_DEP_1) | instskip(NEXT) | instid1(VALU_DEP_1)
	v_mul_f32_e32 v23, v42, v21
	v_fma_f32 v43, -v20, v23, v42
	s_delay_alu instid0(VALU_DEP_1) | instskip(NEXT) | instid1(VALU_DEP_1)
	v_fmac_f32_e32 v23, v43, v21
	v_fma_f32 v20, -v20, v23, v42
	s_delay_alu instid0(VALU_DEP_1) | instskip(NEXT) | instid1(VALU_DEP_1)
	v_div_fmas_f32 v20, v20, v21, v23
	v_div_fixup_f32 v20, v20, 0, v40
	s_delay_alu instid0(VALU_DEP_1) | instskip(NEXT) | instid1(VALU_DEP_1)
	v_fma_f32 v21, v40, v20, 0
	v_div_scale_f32 v23, null, v21, v21, 1.0
	v_div_scale_f32 v43, vcc_lo, 1.0, v21, 1.0
	s_delay_alu instid0(VALU_DEP_2) | instskip(SKIP_2) | instid1(VALU_DEP_1)
	v_rcp_f32_e32 v40, v23
	s_waitcnt_depctr 0xfff
	v_fma_f32 v42, -v23, v40, 1.0
	v_fmac_f32_e32 v40, v42, v40
	s_delay_alu instid0(VALU_DEP_1) | instskip(NEXT) | instid1(VALU_DEP_1)
	v_mul_f32_e32 v42, v43, v40
	v_fma_f32 v44, -v23, v42, v43
	s_delay_alu instid0(VALU_DEP_1) | instskip(NEXT) | instid1(VALU_DEP_1)
	v_fmac_f32_e32 v42, v44, v40
	v_fma_f32 v23, -v23, v42, v43
	s_delay_alu instid0(VALU_DEP_1) | instskip(SKIP_2) | instid1(VALU_DEP_3)
	v_div_fmas_f32 v23, v23, v40, v42
	v_fma_f32 v40, v20, v41, v22
	v_fma_f32 v22, v20, v22, -v41
                                        ; implicit-def: $vgpr41
	v_div_fixup_f32 v21, v23, v21, 1.0
	s_delay_alu instid0(VALU_DEP_1) | instskip(NEXT) | instid1(VALU_DEP_3)
	v_mul_f32_e32 v20, v21, v40
	v_mul_f32_e32 v21, v21, v22
                                        ; implicit-def: $vgpr40
                                        ; implicit-def: $vgpr22
.LBB88_32:                              ;   in Loop: Header=BB88_10 Depth=1
	s_and_not1_saveexec_b32 s4, s4
	s_cbranch_execz .LBB88_34
; %bb.33:                               ;   in Loop: Header=BB88_10 Depth=1
	v_div_scale_f32 v20, null, v40, v40, 0
	v_div_scale_f32 v42, vcc_lo, 0, v40, 0
	s_delay_alu instid0(VALU_DEP_2) | instskip(SKIP_2) | instid1(VALU_DEP_1)
	v_rcp_f32_e32 v21, v20
	s_waitcnt_depctr 0xfff
	v_fma_f32 v23, -v20, v21, 1.0
	v_fmac_f32_e32 v21, v23, v21
	s_delay_alu instid0(VALU_DEP_1) | instskip(NEXT) | instid1(VALU_DEP_1)
	v_mul_f32_e32 v23, v42, v21
	v_fma_f32 v43, -v20, v23, v42
	s_delay_alu instid0(VALU_DEP_1) | instskip(NEXT) | instid1(VALU_DEP_1)
	v_fmac_f32_e32 v23, v43, v21
	v_fma_f32 v20, -v20, v23, v42
	s_delay_alu instid0(VALU_DEP_1) | instskip(NEXT) | instid1(VALU_DEP_1)
	v_div_fmas_f32 v20, v20, v21, v23
	v_div_fixup_f32 v20, v20, v40, 0
	s_delay_alu instid0(VALU_DEP_1) | instskip(NEXT) | instid1(VALU_DEP_1)
	v_fmac_f32_e32 v40, 0, v20
	v_div_scale_f32 v21, null, v40, v40, 1.0
	v_div_scale_f32 v43, vcc_lo, 1.0, v40, 1.0
	s_delay_alu instid0(VALU_DEP_2) | instskip(SKIP_2) | instid1(VALU_DEP_1)
	v_rcp_f32_e32 v23, v21
	s_waitcnt_depctr 0xfff
	v_fma_f32 v42, -v21, v23, 1.0
	v_fmac_f32_e32 v23, v42, v23
	s_delay_alu instid0(VALU_DEP_1) | instskip(NEXT) | instid1(VALU_DEP_1)
	v_mul_f32_e32 v42, v43, v23
	v_fma_f32 v44, -v21, v42, v43
	s_delay_alu instid0(VALU_DEP_1) | instskip(NEXT) | instid1(VALU_DEP_1)
	v_fmac_f32_e32 v42, v44, v23
	v_fma_f32 v21, -v21, v42, v43
	s_delay_alu instid0(VALU_DEP_1) | instskip(SKIP_2) | instid1(VALU_DEP_3)
	v_div_fmas_f32 v21, v21, v23, v42
	v_fma_f32 v23, v20, v22, v41
	v_fma_f32 v22, -v20, v41, v22
	v_div_fixup_f32 v21, v21, v40, 1.0
	s_delay_alu instid0(VALU_DEP_1) | instskip(NEXT) | instid1(VALU_DEP_3)
	v_mul_f32_e32 v20, v21, v23
	v_mul_f32_e32 v21, v21, v22
.LBB88_34:                              ;   in Loop: Header=BB88_10 Depth=1
	s_or_b32 exec_lo, exec_lo, s4
.LBB88_35:                              ;   in Loop: Header=BB88_10 Depth=1
	s_delay_alu instid0(SALU_CYCLE_1)
	s_or_b32 exec_lo, exec_lo, s16
	ds_store_b32 v26, v38
	ds_store_2addr_b32 v29, v20, v21 offset1:1
.LBB88_36:                              ;   in Loop: Header=BB88_10 Depth=1
	s_or_b32 exec_lo, exec_lo, s13
	s_and_b32 s4, s1, s3
	s_waitcnt lgkmcnt(0)
	s_waitcnt_vscnt null, 0x0
	s_barrier
	buffer_gl0_inv
	s_and_saveexec_b32 s13, s4
	s_cbranch_execz .LBB88_44
; %bb.37:                               ;   in Loop: Header=BB88_10 Depth=1
	ds_load_b32 v38, v26
	ds_load_2addr_b32 v[20:21], v29 offset1:1
	s_and_not1_b32 vcc_lo, exec_lo, s18
	s_cbranch_vccnz .LBB88_41
; %bb.38:                               ;   in Loop: Header=BB88_10 Depth=1
	v_add_nc_u32_e32 v22, s8, v39
	s_delay_alu instid0(VALU_DEP_1) | instskip(NEXT) | instid1(VALU_DEP_1)
	v_add_nc_u32_e32 v1, v22, v25
	v_lshlrev_b64 v[39:40], 3, v[1:2]
	s_delay_alu instid0(VALU_DEP_1) | instskip(NEXT) | instid1(VALU_DEP_2)
	v_add_co_u32 v39, vcc_lo, s10, v39
	v_add_co_ci_u32_e32 v40, vcc_lo, s11, v40, vcc_lo
	s_clause 0x1
	flat_load_b64 v[41:42], v[4:5]
	flat_load_b64 v[43:44], v[39:40]
	s_waitcnt vmcnt(1) lgkmcnt(1)
	v_mul_f32_e32 v1, v41, v20
	s_waitcnt vmcnt(0) lgkmcnt(0)
	v_dual_mul_f32 v23, v21, v43 :: v_dual_mul_f32 v36, v42, v20
	s_delay_alu instid0(VALU_DEP_2) | instskip(NEXT) | instid1(VALU_DEP_2)
	v_fma_f32 v47, v21, v42, -v1
	v_fma_f32 v46, v44, v20, -v23
	v_mul_f32_e32 v45, v21, v44
	s_delay_alu instid0(VALU_DEP_4) | instskip(NEXT) | instid1(VALU_DEP_4)
	v_fma_f32 v48, v41, -v21, -v36
	v_fmac_f32_e32 v47, v38, v43
	s_delay_alu instid0(VALU_DEP_3) | instskip(NEXT) | instid1(VALU_DEP_3)
	v_dual_fmac_f32 v46, v38, v42 :: v_dual_fmac_f32 v45, v43, v20
	v_fmac_f32_e32 v48, v38, v44
	s_delay_alu instid0(VALU_DEP_2)
	v_fmac_f32_e32 v45, v38, v41
	s_clause 0x1
	flat_store_b64 v[4:5], v[45:46]
	flat_store_b64 v[39:40], v[47:48]
	s_and_saveexec_b32 s16, s2
	s_cbranch_execz .LBB88_40
; %bb.39:                               ;   in Loop: Header=BB88_10 Depth=1
	v_add_nc_u32_e32 v1, v22, v27
	s_delay_alu instid0(VALU_DEP_1) | instskip(NEXT) | instid1(VALU_DEP_1)
	v_lshlrev_b64 v[22:23], 3, v[1:2]
	v_add_co_u32 v22, vcc_lo, s10, v22
	s_delay_alu instid0(VALU_DEP_2)
	v_add_co_ci_u32_e32 v23, vcc_lo, s11, v23, vcc_lo
	s_clause 0x1
	flat_load_b64 v[39:40], v[6:7]
	flat_load_b64 v[41:42], v[22:23]
	s_waitcnt vmcnt(1) lgkmcnt(1)
	v_mul_f32_e32 v46, v40, v20
	s_waitcnt vmcnt(0) lgkmcnt(0)
	v_mul_f32_e32 v36, v21, v41
	v_mul_f32_e32 v43, v21, v42
	s_delay_alu instid0(VALU_DEP_3) | instskip(SKIP_1) | instid1(VALU_DEP_3)
	v_fma_f32 v46, v39, -v21, -v46
	v_mul_f32_e32 v1, v39, v20
	v_fmac_f32_e32 v43, v41, v20
	v_fma_f32 v44, v42, v20, -v36
	s_delay_alu instid0(VALU_DEP_4) | instskip(NEXT) | instid1(VALU_DEP_4)
	v_fmac_f32_e32 v46, v38, v42
	v_fma_f32 v45, v21, v40, -v1
	s_delay_alu instid0(VALU_DEP_4) | instskip(NEXT) | instid1(VALU_DEP_4)
	v_fmac_f32_e32 v43, v38, v39
	v_fmac_f32_e32 v44, v38, v40
	s_delay_alu instid0(VALU_DEP_3)
	v_fmac_f32_e32 v45, v38, v41
	s_clause 0x1
	flat_store_b64 v[6:7], v[43:44]
	flat_store_b64 v[22:23], v[45:46]
.LBB88_40:                              ;   in Loop: Header=BB88_10 Depth=1
	s_or_b32 exec_lo, exec_lo, s16
.LBB88_41:                              ;   in Loop: Header=BB88_10 Depth=1
	v_add_nc_u32_e32 v22, v37, v24
	s_delay_alu instid0(VALU_DEP_1) | instskip(NEXT) | instid1(VALU_DEP_1)
	v_ashrrev_i32_e32 v23, 31, v22
	v_lshlrev_b64 v[22:23], 3, v[22:23]
	s_delay_alu instid0(VALU_DEP_1) | instskip(NEXT) | instid1(VALU_DEP_2)
	v_add_co_u32 v22, vcc_lo, s5, v22
	v_add_co_ci_u32_e32 v23, vcc_lo, s6, v23, vcc_lo
	s_clause 0x1
	global_load_b64 v[39:40], v[10:11], off
	global_load_b64 v[41:42], v[22:23], off
	s_waitcnt vmcnt(0) lgkmcnt(0)
	v_dual_mul_f32 v1, v39, v20 :: v_dual_mul_f32 v36, v21, v41
	v_dual_mul_f32 v43, v21, v42 :: v_dual_mul_f32 v46, v40, v20
	s_delay_alu instid0(VALU_DEP_2) | instskip(NEXT) | instid1(VALU_DEP_3)
	v_fma_f32 v45, v21, v40, -v1
	v_fma_f32 v44, v42, v20, -v36
	s_delay_alu instid0(VALU_DEP_3) | instskip(NEXT) | instid1(VALU_DEP_4)
	v_fma_f32 v46, v39, -v21, -v46
	v_fmac_f32_e32 v43, v41, v20
	s_delay_alu instid0(VALU_DEP_4) | instskip(NEXT) | instid1(VALU_DEP_4)
	v_fmac_f32_e32 v45, v38, v41
	v_fmac_f32_e32 v44, v38, v40
	s_delay_alu instid0(VALU_DEP_4) | instskip(NEXT) | instid1(VALU_DEP_4)
	v_fmac_f32_e32 v46, v38, v42
	v_fmac_f32_e32 v43, v38, v39
	s_clause 0x1
	global_store_b64 v[10:11], v[43:44], off
	global_store_b64 v[22:23], v[45:46], off
	s_and_saveexec_b32 s16, s2
	s_cbranch_execz .LBB88_43
; %bb.42:                               ;   in Loop: Header=BB88_10 Depth=1
	v_add_nc_u32_e32 v22, v37, v28
	s_delay_alu instid0(VALU_DEP_1) | instskip(NEXT) | instid1(VALU_DEP_1)
	v_ashrrev_i32_e32 v23, 31, v22
	v_lshlrev_b64 v[22:23], 3, v[22:23]
	s_delay_alu instid0(VALU_DEP_1) | instskip(NEXT) | instid1(VALU_DEP_2)
	v_add_co_u32 v22, vcc_lo, s5, v22
	v_add_co_ci_u32_e32 v23, vcc_lo, s6, v23, vcc_lo
	s_clause 0x1
	global_load_b64 v[36:37], v[12:13], off
	global_load_b64 v[39:40], v[22:23], off
	s_waitcnt vmcnt(0)
	v_dual_mul_f32 v1, v36, v20 :: v_dual_mul_f32 v42, v21, v39
	v_mul_f32_e32 v44, v37, v20
	s_delay_alu instid0(VALU_DEP_2) | instskip(NEXT) | instid1(VALU_DEP_3)
	v_fma_f32 v43, v21, v37, -v1
	v_fma_f32 v42, v40, v20, -v42
	v_mul_f32_e32 v41, v21, v40
	s_delay_alu instid0(VALU_DEP_4) | instskip(NEXT) | instid1(VALU_DEP_4)
	v_fma_f32 v44, v36, -v21, -v44
	v_fmac_f32_e32 v43, v38, v39
	s_delay_alu instid0(VALU_DEP_3) | instskip(NEXT) | instid1(VALU_DEP_3)
	v_dual_fmac_f32 v42, v38, v37 :: v_dual_fmac_f32 v41, v39, v20
	v_fmac_f32_e32 v44, v38, v40
	s_delay_alu instid0(VALU_DEP_2)
	v_fmac_f32_e32 v41, v38, v36
	s_clause 0x1
	global_store_b64 v[12:13], v[41:42], off
	global_store_b64 v[22:23], v[43:44], off
.LBB88_43:                              ;   in Loop: Header=BB88_10 Depth=1
	s_or_b32 exec_lo, exec_lo, s16
	v_xor_b32_e32 v1, 0x80000000, v21
	v_mov_b32_e32 v36, v20
.LBB88_44:                              ;   in Loop: Header=BB88_10 Depth=1
	s_or_b32 exec_lo, exec_lo, s13
	s_waitcnt_vscnt null, 0x0
	s_barrier
	buffer_gl0_inv
	s_and_saveexec_b32 s13, s4
	s_cbranch_execz .LBB88_47
; %bb.45:                               ;   in Loop: Header=BB88_10 Depth=1
	v_add_nc_u32_e32 v22, v35, v31
	s_delay_alu instid0(VALU_DEP_1) | instskip(NEXT) | instid1(VALU_DEP_1)
	v_ashrrev_i32_e32 v23, 31, v22
	v_lshlrev_b64 v[22:23], 3, v[22:23]
	s_delay_alu instid0(VALU_DEP_1) | instskip(NEXT) | instid1(VALU_DEP_2)
	v_add_co_u32 v22, vcc_lo, s5, v22
	v_add_co_ci_u32_e32 v23, vcc_lo, s6, v23, vcc_lo
	s_clause 0x1
	global_load_b64 v[39:40], v[14:15], off
	global_load_b64 v[41:42], v[22:23], off
	s_waitcnt vmcnt(0)
	v_mul_f32_e32 v43, v21, v42
	v_mul_f32_e32 v44, v20, v42
	;; [unrolled: 1-line block ×3, first 2 shown]
	s_delay_alu instid0(VALU_DEP_3) | instskip(NEXT) | instid1(VALU_DEP_3)
	v_fma_f32 v43, v20, v41, -v43
	v_fmac_f32_e32 v44, v21, v41
	v_mul_f32_e32 v46, v36, v40
	s_delay_alu instid0(VALU_DEP_4) | instskip(NEXT) | instid1(VALU_DEP_4)
	v_fma_f32 v45, v1, v40, -v37
	v_fmac_f32_e32 v43, v38, v39
	s_delay_alu instid0(VALU_DEP_4) | instskip(NEXT) | instid1(VALU_DEP_4)
	v_fmac_f32_e32 v44, v38, v40
	v_fma_f32 v46, v39, -v1, -v46
	s_delay_alu instid0(VALU_DEP_4) | instskip(NEXT) | instid1(VALU_DEP_2)
	v_fmac_f32_e32 v45, v38, v41
	v_fmac_f32_e32 v46, v38, v42
	s_clause 0x1
	global_store_b64 v[14:15], v[43:44], off
	global_store_b64 v[22:23], v[45:46], off
	s_and_b32 exec_lo, exec_lo, s2
	s_cbranch_execz .LBB88_47
; %bb.46:                               ;   in Loop: Header=BB88_10 Depth=1
	v_add_nc_u32_e32 v22, v35, v32
	s_delay_alu instid0(VALU_DEP_1) | instskip(NEXT) | instid1(VALU_DEP_1)
	v_ashrrev_i32_e32 v23, 31, v22
	v_lshlrev_b64 v[22:23], 3, v[22:23]
	s_delay_alu instid0(VALU_DEP_1) | instskip(NEXT) | instid1(VALU_DEP_2)
	v_add_co_u32 v22, vcc_lo, s5, v22
	v_add_co_ci_u32_e32 v23, vcc_lo, s6, v23, vcc_lo
	s_clause 0x1
	global_load_b64 v[39:40], v[18:19], off
	global_load_b64 v[41:42], v[22:23], off
	s_waitcnt vmcnt(1)
	v_mul_f32_e32 v37, v36, v39
	s_waitcnt vmcnt(0)
	v_dual_mul_f32 v43, v21, v42 :: v_dual_mul_f32 v46, v36, v40
	s_delay_alu instid0(VALU_DEP_2) | instskip(SKIP_1) | instid1(VALU_DEP_3)
	v_fma_f32 v45, v1, v40, -v37
	v_mul_f32_e32 v44, v20, v42
	v_fma_f32 v43, v20, v41, -v43
	s_delay_alu instid0(VALU_DEP_4) | instskip(NEXT) | instid1(VALU_DEP_4)
	v_fma_f32 v46, v39, -v1, -v46
	v_fmac_f32_e32 v45, v38, v41
	s_delay_alu instid0(VALU_DEP_3) | instskip(NEXT) | instid1(VALU_DEP_3)
	v_dual_fmac_f32 v44, v21, v41 :: v_dual_fmac_f32 v43, v38, v39
	v_fmac_f32_e32 v46, v38, v42
	s_delay_alu instid0(VALU_DEP_2)
	v_fmac_f32_e32 v44, v38, v40
	s_clause 0x1
	global_store_b64 v[18:19], v[43:44], off
	global_store_b64 v[22:23], v[45:46], off
.LBB88_47:                              ;   in Loop: Header=BB88_10 Depth=1
	s_or_b32 exec_lo, exec_lo, s13
	s_and_b32 s4, s0, s3
	s_waitcnt_vscnt null, 0x0
	s_barrier
	buffer_gl0_inv
	s_and_saveexec_b32 s3, s4
	s_cbranch_execz .LBB88_9
; %bb.48:                               ;   in Loop: Header=BB88_10 Depth=1
	v_mad_u64_u32 v[22:23], null, v35, s7, v[3:4]
	s_mov_b32 s13, s12
	s_delay_alu instid0(SALU_CYCLE_1) | instskip(SKIP_1) | instid1(VALU_DEP_2)
	v_dual_mov_b32 v42, s13 :: v_dual_add_nc_u32 v39, v35, v30
	v_mov_b32_e32 v41, s12
	v_ashrrev_i32_e32 v40, 31, v39
	s_delay_alu instid0(VALU_DEP_4) | instskip(NEXT) | instid1(VALU_DEP_2)
	v_ashrrev_i32_e32 v23, 31, v22
	v_lshlrev_b64 v[39:40], 3, v[39:40]
	s_delay_alu instid0(VALU_DEP_2) | instskip(NEXT) | instid1(VALU_DEP_1)
	v_lshlrev_b64 v[22:23], 3, v[22:23]
	v_add_co_u32 v22, vcc_lo, s5, v22
	s_delay_alu instid0(VALU_DEP_2) | instskip(NEXT) | instid1(VALU_DEP_4)
	v_add_co_ci_u32_e32 v23, vcc_lo, s6, v23, vcc_lo
	v_add_co_u32 v39, vcc_lo, s5, v39
	v_add_co_ci_u32_e32 v40, vcc_lo, s6, v40, vcc_lo
	s_clause 0x1
	global_store_b64 v[22:23], v[41:42], off
	global_store_b64 v[39:40], v[41:42], off
	s_branch .LBB88_9
.LBB88_49:
	s_endpgm
	.section	.rodata,"a",@progbits
	.p2align	6, 0x0
	.amdhsa_kernel _ZN9rocsolver6v33100L21syevj_offd_kernel_orgI19rocblas_complex_numIfEfPS3_EEviiT1_iilT0_PT_PiS9_S9_
		.amdhsa_group_segment_fixed_size 0
		.amdhsa_private_segment_fixed_size 0
		.amdhsa_kernarg_size 328
		.amdhsa_user_sgpr_count 14
		.amdhsa_user_sgpr_dispatch_ptr 0
		.amdhsa_user_sgpr_queue_ptr 0
		.amdhsa_user_sgpr_kernarg_segment_ptr 1
		.amdhsa_user_sgpr_dispatch_id 0
		.amdhsa_user_sgpr_private_segment_size 0
		.amdhsa_wavefront_size32 1
		.amdhsa_uses_dynamic_stack 0
		.amdhsa_enable_private_segment 0
		.amdhsa_system_sgpr_workgroup_id_x 1
		.amdhsa_system_sgpr_workgroup_id_y 0
		.amdhsa_system_sgpr_workgroup_id_z 1
		.amdhsa_system_sgpr_workgroup_info 0
		.amdhsa_system_vgpr_workitem_id 1
		.amdhsa_next_free_vgpr 49
		.amdhsa_next_free_sgpr 22
		.amdhsa_reserve_vcc 1
		.amdhsa_float_round_mode_32 0
		.amdhsa_float_round_mode_16_64 0
		.amdhsa_float_denorm_mode_32 3
		.amdhsa_float_denorm_mode_16_64 3
		.amdhsa_dx10_clamp 1
		.amdhsa_ieee_mode 1
		.amdhsa_fp16_overflow 0
		.amdhsa_workgroup_processor_mode 1
		.amdhsa_memory_ordered 1
		.amdhsa_forward_progress 0
		.amdhsa_shared_vgpr_count 0
		.amdhsa_exception_fp_ieee_invalid_op 0
		.amdhsa_exception_fp_denorm_src 0
		.amdhsa_exception_fp_ieee_div_zero 0
		.amdhsa_exception_fp_ieee_overflow 0
		.amdhsa_exception_fp_ieee_underflow 0
		.amdhsa_exception_fp_ieee_inexact 0
		.amdhsa_exception_int_div_zero 0
	.end_amdhsa_kernel
	.section	.text._ZN9rocsolver6v33100L21syevj_offd_kernel_orgI19rocblas_complex_numIfEfPS3_EEviiT1_iilT0_PT_PiS9_S9_,"axG",@progbits,_ZN9rocsolver6v33100L21syevj_offd_kernel_orgI19rocblas_complex_numIfEfPS3_EEviiT1_iilT0_PT_PiS9_S9_,comdat
.Lfunc_end88:
	.size	_ZN9rocsolver6v33100L21syevj_offd_kernel_orgI19rocblas_complex_numIfEfPS3_EEviiT1_iilT0_PT_PiS9_S9_, .Lfunc_end88-_ZN9rocsolver6v33100L21syevj_offd_kernel_orgI19rocblas_complex_numIfEfPS3_EEviiT1_iilT0_PT_PiS9_S9_
                                        ; -- End function
	.section	.AMDGPU.csdata,"",@progbits
; Kernel info:
; codeLenInByte = 4584
; NumSgprs: 24
; NumVgprs: 49
; ScratchSize: 0
; MemoryBound: 0
; FloatMode: 240
; IeeeMode: 1
; LDSByteSize: 0 bytes/workgroup (compile time only)
; SGPRBlocks: 2
; VGPRBlocks: 6
; NumSGPRsForWavesPerEU: 24
; NumVGPRsForWavesPerEU: 49
; Occupancy: 16
; WaveLimiterHint : 0
; COMPUTE_PGM_RSRC2:SCRATCH_EN: 0
; COMPUTE_PGM_RSRC2:USER_SGPR: 14
; COMPUTE_PGM_RSRC2:TRAP_HANDLER: 0
; COMPUTE_PGM_RSRC2:TGID_X_EN: 1
; COMPUTE_PGM_RSRC2:TGID_Y_EN: 0
; COMPUTE_PGM_RSRC2:TGID_Z_EN: 1
; COMPUTE_PGM_RSRC2:TIDIG_COMP_CNT: 1
	.section	.text._ZN9rocsolver6v33100L17syevj_offd_kernelI19rocblas_complex_numIfEfPS3_EEviiT1_iilT0_PT_PiS9_S9_i,"axG",@progbits,_ZN9rocsolver6v33100L17syevj_offd_kernelI19rocblas_complex_numIfEfPS3_EEviiT1_iilT0_PT_PiS9_S9_i,comdat
	.globl	_ZN9rocsolver6v33100L17syevj_offd_kernelI19rocblas_complex_numIfEfPS3_EEviiT1_iilT0_PT_PiS9_S9_i ; -- Begin function _ZN9rocsolver6v33100L17syevj_offd_kernelI19rocblas_complex_numIfEfPS3_EEviiT1_iilT0_PT_PiS9_S9_i
	.p2align	8
	.type	_ZN9rocsolver6v33100L17syevj_offd_kernelI19rocblas_complex_numIfEfPS3_EEviiT1_iilT0_PT_PiS9_S9_i,@function
_ZN9rocsolver6v33100L17syevj_offd_kernelI19rocblas_complex_numIfEfPS3_EEviiT1_iilT0_PT_PiS9_S9_i: ; @_ZN9rocsolver6v33100L17syevj_offd_kernelI19rocblas_complex_numIfEfPS3_EEviiT1_iilT0_PT_PiS9_S9_i
; %bb.0:
	s_mov_b32 s12, s15
	s_clause 0x1
	s_load_b64 s[20:21], s[0:1], 0x0
	s_load_b32 s15, s[0:1], 0x48
	s_waitcnt lgkmcnt(0)
	s_abs_i32 s2, s20
	s_cmp_ge_u32 s12, s15
	v_cvt_f32_u32_e32 v1, s2
	s_delay_alu instid0(VALU_DEP_1) | instskip(SKIP_2) | instid1(VALU_DEP_1)
	v_rcp_iflag_f32_e32 v1, v1
	s_waitcnt_depctr 0xfff
	v_mul_f32_e32 v1, 0x4f7ffffe, v1
	v_cvt_u32_f32_e32 v1, v1
	s_delay_alu instid0(VALU_DEP_1)
	v_readfirstlane_b32 s3, v1
	s_cbranch_scc1 .LBB89_92
; %bb.1:
	s_sub_i32 s4, 0, s2
	s_add_i32 s5, s21, -1
	s_delay_alu instid0(VALU_DEP_1)
	s_mul_i32 s4, s4, s3
	s_abs_i32 s6, s5
	s_mul_hi_u32 s4, s3, s4
	s_ashr_i32 s5, s5, 31
	s_add_i32 s3, s3, s4
	s_ashr_i32 s4, s20, 31
	s_mul_hi_u32 s3, s6, s3
	s_xor_b32 s4, s5, s4
	s_mul_i32 s7, s3, s2
	s_load_b32 s13, s[0:1], 0x20
	s_sub_i32 s5, s6, s7
	s_add_i32 s6, s3, 1
	s_sub_i32 s7, s5, s2
	s_cmp_ge_u32 s5, s2
	s_clause 0x1
	s_load_b64 s[22:23], s[0:1], 0x58
	s_load_b32 s28, s[0:1], 0x50
	s_cselect_b32 s3, s6, s3
	s_cselect_b32 s5, s7, s5
	s_add_i32 s6, s3, 1
	s_cmp_ge_u32 s5, s2
	s_clause 0x1
	s_load_b128 s[16:19], s[0:1], 0x8
	s_load_b64 s[26:27], s[0:1], 0x18
	s_cselect_b32 s2, s6, s3
	v_and_b32_e32 v8, 0x3ff, v0
	s_xor_b32 s2, s2, s4
	v_bfe_u32 v9, v0, 10, 10
	s_sub_i32 s29, s2, s4
	s_load_b256 s[4:11], s[0:1], 0x28
	s_add_i32 s2, s29, 1
	s_lshl_b32 s46, s20, 2
	s_lshr_b32 s3, s2, 31
	s_waitcnt lgkmcnt(0)
	v_div_scale_f32 v0, null, s13, s13, 0x800000
	s_add_i32 s0, s2, s3
	s_add_i32 s25, s46, 0
	s_and_b32 s0, s0, -2
	s_delay_alu instid0(VALU_DEP_1)
	v_rcp_f32_e32 v1, v0
	s_sub_i32 s0, s2, s0
	s_lshl_b32 s34, s20, 1
	s_add_i32 s0, s0, s2
	v_cvt_f32_u32_e32 v3, s20
	s_lshr_b32 s1, s0, 31
	s_mul_i32 s2, s20, 12
	s_add_i32 s0, s0, s1
	s_mul_hi_i32 s1, s34, s34
	s_ashr_i32 s31, s0, 1
	s_lshl_b32 s0, s20, 3
	s_waitcnt_depctr 0xfff
	v_fma_f32 v2, -v0, v1, 1.0
	s_add_i32 s33, s25, s0
	s_mul_i32 s0, s34, s34
	s_lshr_b32 s30, s23, 16
	s_lshl_b64 s[0:1], s[0:1], 3
	v_fmac_f32_e32 v1, v2, v1
	s_and_b32 s23, s23, 0xffff
	s_add_u32 s0, s0, s2
	s_mov_b32 s2, 0x800000
	v_rcp_iflag_f32_e32 v3, v3
	v_div_scale_f32 v2, vcc_lo, s2, s13, s2
	s_mul_hi_i32 s3, s20, 12
	s_mul_i32 s2, s29, s20
	s_addc_u32 s1, s1, s3
	s_delay_alu instid0(VALU_DEP_1)
	v_mul_f32_e32 v4, v2, v1
	s_ashr_i32 s3, s18, 31
	s_cmp_lt_u32 s14, s31
	v_cmp_lt_u64_e64 s45, 0x10000, s[0:1]
	s_waitcnt_depctr 0xfff
	v_mul_f32_e32 v3, 0x4f7ffffe, v3
	s_cselect_b32 s35, -1, 0
	s_sub_i32 s36, s21, s2
	v_fma_f32 v5, -v0, v4, v2
	s_cmp_lg_u64 s[4:5], 0
	s_mov_b32 s2, s18
	s_cselect_b32 s18, -1, 0
	s_cmp_gt_i32 s20, 0
	v_fmac_f32_e32 v4, v5, v1
	s_cselect_b32 s37, -1, 0
	s_ashr_i32 s38, s19, 31
	s_add_u32 s39, s10, 4
	s_addc_u32 s40, s11, 0
	s_lshl_b64 s[2:3], s[2:3], 3
	v_cvt_u32_f32_e32 v3, v3
	s_add_u32 s41, s16, s2
	s_addc_u32 s42, s17, s3
	s_sub_i32 s43, 0, s20
	v_fma_f32 v0, -v0, v4, v2
	v_mul_lo_u32 v5, s43, v3
	v_mul_lo_u32 v2, v9, s20
	s_mov_b64 s[2:3], src_shared_base
	v_cmp_gt_u32_e64 s0, s20, v9
	v_div_fmas_f32 v0, v0, v1, v4
	v_add_nc_u32_e32 v4, s20, v9
	v_cmp_gt_u32_e64 s1, s20, v8
	v_lshl_add_u32 v13, v8, 2, 0
	v_mul_hi_u32 v1, v3, v5
	v_div_fixup_f32 v10, v0, s13, 0x800000
	v_mul_lo_u32 v0, s20, v4
	v_lshlrev_b32_e32 v12, 1, v2
	v_lshl_add_u32 v14, v8, 3, s25
	s_mul_i32 s2, s20, s30
	s_mov_b32 s24, 0
	s_mov_b32 s44, s3
	v_add_nc_u32_e32 v11, v3, v1
	v_mov_b32_e32 v1, 0
	v_add_nc_u32_e32 v15, v8, v12
	v_lshl_add_u32 v16, v0, 1, v8
	s_mul_i32 s46, s46, s20
	s_lshl_b32 s47, s2, 1
	s_lshl_b32 s48, s23, 2
	;; [unrolled: 1-line block ×3, first 2 shown]
	s_branch .LBB89_3
.LBB89_2:                               ;   in Loop: Header=BB89_3 Depth=1
	s_add_i32 s12, s12, s22
	s_delay_alu instid0(SALU_CYCLE_1)
	s_cmp_ge_u32 s12, s15
	s_cbranch_scc1 .LBB89_92
.LBB89_3:                               ; =>This Loop Header: Depth=1
                                        ;     Child Loop BB89_8 Depth 2
                                        ;       Child Loop BB89_16 Depth 3
                                        ;         Child Loop BB89_18 Depth 4
                                        ;       Child Loop BB89_23 Depth 3
                                        ;         Child Loop BB89_26 Depth 4
                                        ;           Child Loop BB89_31 Depth 5
                                        ;         Child Loop BB89_58 Depth 4
                                        ;           Child Loop BB89_61 Depth 5
	;; [unrolled: 2-line block ×4, first 2 shown]
                                        ;       Child Loop BB89_89 Depth 3
                                        ;         Child Loop BB89_91 Depth 4
	s_mov_b32 s13, s24
	s_delay_alu instid0(SALU_CYCLE_1) | instskip(NEXT) | instid1(SALU_CYCLE_1)
	s_lshl_b64 s[2:3], s[12:13], 2
	s_add_u32 s2, s39, s2
	s_addc_u32 s3, s40, s3
	global_load_b32 v0, v1, s[2:3]
	s_waitcnt vmcnt(0)
	v_cmp_ne_u32_e32 vcc_lo, 0, v0
	s_cbranch_vccnz .LBB89_2
; %bb.4:                                ;   in Loop: Header=BB89_3 Depth=1
	s_and_not1_b32 vcc_lo, exec_lo, s35
	s_cbranch_vccnz .LBB89_2
; %bb.5:                                ;   in Loop: Header=BB89_3 Depth=1
	s_mul_i32 s3, s12, s27
	s_mul_hi_u32 s10, s12, s26
	s_mul_i32 s2, s12, s26
	s_add_i32 s3, s10, s3
	s_mul_i32 s13, s12, s31
	s_lshl_b64 s[2:3], s[2:3], 3
	s_mov_b32 s10, s14
	s_add_u32 s50, s41, s2
	s_addc_u32 s51, s42, s3
	s_branch .LBB89_8
.LBB89_6:                               ;   in Loop: Header=BB89_8 Depth=2
	s_set_inst_prefetch_distance 0x2
	s_or_b32 exec_lo, exec_lo, s25
	s_waitcnt lgkmcnt(0)
	s_waitcnt_vscnt null, 0x0
	s_barrier
	buffer_gl0_inv
.LBB89_7:                               ;   in Loop: Header=BB89_8 Depth=2
	s_add_i32 s10, s10, s28
	s_delay_alu instid0(SALU_CYCLE_1)
	s_cmp_lt_u32 s10, s31
	s_cbranch_scc0 .LBB89_2
.LBB89_8:                               ;   Parent Loop BB89_3 Depth=1
                                        ; =>  This Loop Header: Depth=2
                                        ;       Child Loop BB89_16 Depth 3
                                        ;         Child Loop BB89_18 Depth 4
                                        ;       Child Loop BB89_23 Depth 3
                                        ;         Child Loop BB89_26 Depth 4
                                        ;           Child Loop BB89_31 Depth 5
                                        ;         Child Loop BB89_58 Depth 4
                                        ;           Child Loop BB89_61 Depth 5
                                        ;         Child Loop BB89_71 Depth 4
                                        ;           Child Loop BB89_74 Depth 5
                                        ;         Child Loop BB89_80 Depth 4
                                        ;           Child Loop BB89_83 Depth 5
                                        ;       Child Loop BB89_89 Depth 3
                                        ;         Child Loop BB89_91 Depth 4
	s_mov_b32 s11, s24
	s_delay_alu instid0(SALU_CYCLE_1) | instskip(NEXT) | instid1(SALU_CYCLE_1)
	s_lshl_b64 s[2:3], s[10:11], 2
	s_add_u32 s16, s6, s2
	s_addc_u32 s17, s7, s3
	s_add_u32 s2, s8, s2
	s_addc_u32 s3, s9, s3
	s_clause 0x1
	global_load_b32 v0, v1, s[16:17]
	global_load_b32 v2, v1, s[2:3]
	s_waitcnt vmcnt(1)
	v_readfirstlane_b32 s2, v0
	s_waitcnt vmcnt(0)
	v_readfirstlane_b32 s3, v2
	s_delay_alu instid0(VALU_DEP_1) | instskip(NEXT) | instid1(SALU_CYCLE_1)
	s_max_i32 s55, s2, s3
	s_cmp_gt_i32 s55, s29
	s_cbranch_scc1 .LBB89_7
; %bb.9:                                ;   in Loop: Header=BB89_8 Depth=2
	s_and_not1_b32 vcc_lo, exec_lo, s18
	s_cbranch_vccnz .LBB89_11
; %bb.10:                               ;   in Loop: Header=BB89_8 Depth=2
	s_add_i32 s2, s10, s13
	s_mov_b32 s3, s24
	s_mul_i32 s2, s46, s2
	s_delay_alu instid0(SALU_CYCLE_1) | instskip(NEXT) | instid1(SALU_CYCLE_1)
	s_lshl_b64 s[2:3], s[2:3], 3
	s_add_u32 s16, s4, s2
	s_addc_u32 s17, s5, s3
	s_branch .LBB89_12
.LBB89_11:                              ;   in Loop: Header=BB89_8 Depth=2
	s_mov_b64 s[16:17], 0
.LBB89_12:                              ;   in Loop: Header=BB89_8 Depth=2
	v_min_i32_e32 v2, v2, v0
	v_mov_b32_e32 v0, s36
	s_cmp_eq_u32 s29, s55
	s_cselect_b32 s2, s36, s20
	s_delay_alu instid0(VALU_DEP_2)
	v_cmp_eq_u32_e32 vcc_lo, s29, v2
	s_and_b32 s3, s45, exec_lo
	s_cselect_b32 s11, s17, s44
	s_cselect_b32 s52, s16, s33
	s_cmp_eq_u64 s[16:17], 0
	v_cndmask_b32_e32 v0, s20, v0, vcc_lo
	s_cselect_b32 s53, -1, 0
	s_cmp_lg_u64 s[16:17], 0
	s_cselect_b32 s54, -1, 0
	s_delay_alu instid0(VALU_DEP_1)
	v_add_nc_u32_e32 v17, s2, v0
	s_and_b32 vcc_lo, exec_lo, s53
	s_cbranch_vccnz .LBB89_20
; %bb.13:                               ;   in Loop: Header=BB89_8 Depth=2
	s_mov_b32 s25, exec_lo
	s_waitcnt_vscnt null, 0x0
	s_barrier
	buffer_gl0_inv
	v_cmpx_lt_u32_e64 v9, v17
	s_cbranch_execz .LBB89_19
; %bb.14:                               ;   in Loop: Header=BB89_8 Depth=2
	v_cmp_lt_u32_e32 vcc_lo, v8, v17
	v_dual_mov_b32 v3, v12 :: v_dual_mov_b32 v4, v9
	s_mov_b32 s56, 0
	s_set_inst_prefetch_distance 0x1
	s_branch .LBB89_16
	.p2align	6
.LBB89_15:                              ;   in Loop: Header=BB89_16 Depth=3
	s_or_b32 exec_lo, exec_lo, s57
	v_add_nc_u32_e32 v4, s30, v4
	v_add_nc_u32_e32 v3, s47, v3
	s_delay_alu instid0(VALU_DEP_2) | instskip(NEXT) | instid1(VALU_DEP_1)
	v_cmp_ge_u32_e64 s2, v4, v17
	s_or_b32 s56, s2, s56
	s_delay_alu instid0(SALU_CYCLE_1)
	s_and_not1_b32 exec_lo, exec_lo, s56
	s_cbranch_execz .LBB89_19
.LBB89_16:                              ;   Parent Loop BB89_3 Depth=1
                                        ;     Parent Loop BB89_8 Depth=2
                                        ; =>    This Loop Header: Depth=3
                                        ;         Child Loop BB89_18 Depth 4
	s_and_saveexec_b32 s57, vcc_lo
	s_cbranch_execz .LBB89_15
; %bb.17:                               ;   in Loop: Header=BB89_16 Depth=3
	v_mov_b32_e32 v5, v8
	s_mov_b32 s58, 0
	.p2align	6
.LBB89_18:                              ;   Parent Loop BB89_3 Depth=1
                                        ;     Parent Loop BB89_8 Depth=2
                                        ;       Parent Loop BB89_16 Depth=3
                                        ; =>      This Inner Loop Header: Depth=4
	s_delay_alu instid0(VALU_DEP_1) | instskip(SKIP_2) | instid1(VALU_DEP_3)
	v_dual_mov_b32 v7, v1 :: v_dual_add_nc_u32 v0, v3, v5
	v_cmp_eq_u32_e64 s2, v4, v5
	v_add_nc_u32_e32 v5, s23, v5
	v_lshlrev_b64 v[18:19], 3, v[0:1]
	s_delay_alu instid0(VALU_DEP_3) | instskip(NEXT) | instid1(VALU_DEP_3)
	v_cndmask_b32_e64 v6, 0, 1.0, s2
	v_cmp_ge_u32_e64 s2, v5, v17
	s_delay_alu instid0(VALU_DEP_3) | instskip(NEXT) | instid1(VALU_DEP_1)
	v_add_co_u32 v18, s3, s52, v18
	v_add_co_ci_u32_e64 v19, s3, s11, v19, s3
	s_delay_alu instid0(VALU_DEP_3)
	s_or_b32 s58, s2, s58
	flat_store_b64 v[18:19], v[6:7]
	s_and_not1_b32 exec_lo, exec_lo, s58
	s_cbranch_execnz .LBB89_18
	s_branch .LBB89_15
.LBB89_19:                              ;   in Loop: Header=BB89_8 Depth=2
	s_set_inst_prefetch_distance 0x2
	s_or_b32 exec_lo, exec_lo, s25
	s_waitcnt lgkmcnt(0)
	s_waitcnt_vscnt null, 0x0
	s_barrier
	buffer_gl0_inv
.LBB89_20:                              ;   in Loop: Header=BB89_8 Depth=2
	s_and_not1_b32 vcc_lo, exec_lo, s37
	s_cbranch_vccnz .LBB89_85
; %bb.21:                               ;   in Loop: Header=BB89_8 Depth=2
	v_mul_lo_u32 v18, v2, s20
	v_mov_b32_e32 v20, v8
	s_mul_i32 s55, s55, s20
	s_mov_b32 s56, 0
	s_delay_alu instid0(VALU_DEP_2)
	v_add_nc_u32_e32 v19, v8, v18
	s_branch .LBB89_23
.LBB89_22:                              ;   in Loop: Header=BB89_23 Depth=3
	s_or_b32 exec_lo, exec_lo, s3
	v_add_nc_u32_e32 v20, 1, v20
	s_add_i32 s56, s56, 1
	s_delay_alu instid0(SALU_CYCLE_1)
	s_cmp_eq_u32 s56, s20
	s_cbranch_scc1 .LBB89_85
.LBB89_23:                              ;   Parent Loop BB89_3 Depth=1
                                        ;     Parent Loop BB89_8 Depth=2
                                        ; =>    This Loop Header: Depth=3
                                        ;         Child Loop BB89_26 Depth 4
                                        ;           Child Loop BB89_31 Depth 5
                                        ;         Child Loop BB89_58 Depth 4
                                        ;           Child Loop BB89_61 Depth 5
	;; [unrolled: 2-line block ×4, first 2 shown]
	s_and_saveexec_b32 s25, s0
	s_cbranch_execz .LBB89_55
; %bb.24:                               ;   in Loop: Header=BB89_23 Depth=3
	v_mov_b32_e32 v21, v9
	s_mov_b32 s57, 0
	s_branch .LBB89_26
.LBB89_25:                              ;   in Loop: Header=BB89_26 Depth=4
	s_or_b32 exec_lo, exec_lo, s58
	v_add_nc_u32_e32 v21, s30, v21
	s_delay_alu instid0(VALU_DEP_1) | instskip(SKIP_1) | instid1(SALU_CYCLE_1)
	v_cmp_le_u32_e32 vcc_lo, s20, v21
	s_or_b32 s57, vcc_lo, s57
	s_and_not1_b32 exec_lo, exec_lo, s57
	s_cbranch_execz .LBB89_55
.LBB89_26:                              ;   Parent Loop BB89_3 Depth=1
                                        ;     Parent Loop BB89_8 Depth=2
                                        ;       Parent Loop BB89_23 Depth=3
                                        ; =>      This Loop Header: Depth=4
                                        ;           Child Loop BB89_31 Depth 5
	s_and_saveexec_b32 s58, s1
	s_cbranch_execz .LBB89_25
; %bb.27:                               ;   in Loop: Header=BB89_26 Depth=4
	v_cmp_eq_u32_e64 s2, 0, v21
	v_dual_mov_b32 v22, v14 :: v_dual_mov_b32 v23, v13
	v_mov_b32_e32 v24, v20
	v_mov_b32_e32 v25, v8
	s_mov_b32 s59, 0
	s_branch .LBB89_31
.LBB89_28:                              ;   in Loop: Header=BB89_31 Depth=5
	s_or_b32 exec_lo, exec_lo, s3
.LBB89_29:                              ;   in Loop: Header=BB89_31 Depth=5
	s_delay_alu instid0(SALU_CYCLE_1)
	s_or_b32 exec_lo, exec_lo, s61
	ds_store_b32 v23, v5
	ds_store_2addr_b32 v22, v30, v29 offset1:1
.LBB89_30:                              ;   in Loop: Header=BB89_31 Depth=5
	s_or_b32 exec_lo, exec_lo, s60
	v_add_nc_u32_e32 v25, s23, v25
	v_add_nc_u32_e32 v24, s23, v24
	;; [unrolled: 1-line block ×4, first 2 shown]
	s_delay_alu instid0(VALU_DEP_4) | instskip(SKIP_1) | instid1(SALU_CYCLE_1)
	v_cmp_le_u32_e32 vcc_lo, s20, v25
	s_or_b32 s59, vcc_lo, s59
	s_and_not1_b32 exec_lo, exec_lo, s59
	s_cbranch_execz .LBB89_25
.LBB89_31:                              ;   Parent Loop BB89_3 Depth=1
                                        ;     Parent Loop BB89_8 Depth=2
                                        ;       Parent Loop BB89_23 Depth=3
                                        ;         Parent Loop BB89_26 Depth=4
                                        ; =>        This Inner Loop Header: Depth=5
	s_delay_alu instid0(VALU_DEP_2) | instskip(NEXT) | instid1(VALU_DEP_2)
	v_mul_hi_u32 v4, v11, v24
	v_add_nc_u32_e32 v0, s56, v25
	s_delay_alu instid0(VALU_DEP_2) | instskip(NEXT) | instid1(VALU_DEP_2)
	v_not_b32_e32 v5, v4
	v_mad_u64_u32 v[2:3], null, s43, v4, v[0:1]
	s_delay_alu instid0(VALU_DEP_2) | instskip(NEXT) | instid1(VALU_DEP_2)
	v_mad_u64_u32 v[3:4], null, s20, v5, v[0:1]
	v_cmp_le_u32_e32 vcc_lo, s20, v2
	s_delay_alu instid0(VALU_DEP_2) | instskip(NEXT) | instid1(VALU_DEP_1)
	v_cndmask_b32_e32 v0, v2, v3, vcc_lo
	v_subrev_nc_u32_e32 v2, s20, v0
	v_cmp_le_u32_e32 vcc_lo, s20, v0
	s_delay_alu instid0(VALU_DEP_2) | instskip(SKIP_1) | instid1(VALU_DEP_2)
	v_cndmask_b32_e32 v2, v0, v2, vcc_lo
	v_add_nc_u32_e32 v0, v18, v25
	v_add_nc_u32_e32 v4, s55, v2
	s_delay_alu instid0(VALU_DEP_2) | instskip(NEXT) | instid1(VALU_DEP_2)
	v_cmp_gt_u32_e32 vcc_lo, s21, v0
	v_cmp_gt_u32_e64 s3, s21, v4
	s_and_b32 s60, s2, vcc_lo
	s_delay_alu instid0(VALU_DEP_1) | instid1(SALU_CYCLE_1)
	s_and_b32 s3, s60, s3
	s_delay_alu instid0(SALU_CYCLE_1)
	s_and_saveexec_b32 s60, s3
	s_cbranch_execz .LBB89_30
; %bb.32:                               ;   in Loop: Header=BB89_31 Depth=5
	v_mad_u64_u32 v[2:3], null, v4, s19, 0
                                        ; implicit-def: $vgpr26
	s_mov_b32 s3, exec_lo
	s_delay_alu instid0(VALU_DEP_1) | instskip(SKIP_1) | instid1(VALU_DEP_2)
	v_mad_u64_u32 v[5:6], null, v4, s38, v[3:4]
	v_lshlrev_b64 v[6:7], 3, v[0:1]
	v_mov_b32_e32 v3, v5
	s_delay_alu instid0(VALU_DEP_1) | instskip(NEXT) | instid1(VALU_DEP_1)
	v_lshlrev_b64 v[2:3], 3, v[2:3]
	v_add_co_u32 v27, vcc_lo, s50, v2
	s_delay_alu instid0(VALU_DEP_2) | instskip(NEXT) | instid1(VALU_DEP_2)
	v_add_co_ci_u32_e32 v28, vcc_lo, s51, v3, vcc_lo
	v_add_co_u32 v2, vcc_lo, v27, v6
	s_delay_alu instid0(VALU_DEP_2)
	v_add_co_ci_u32_e32 v3, vcc_lo, v28, v7, vcc_lo
	global_load_b64 v[2:3], v[2:3], off
	s_waitcnt vmcnt(0)
	v_cmp_gt_f32_e32 vcc_lo, 0, v2
	v_cndmask_b32_e64 v5, v2, -v2, vcc_lo
	v_cmp_gt_f32_e32 vcc_lo, 0, v3
	v_cndmask_b32_e64 v29, v3, -v3, vcc_lo
	s_delay_alu instid0(VALU_DEP_1)
	v_cmpx_ngt_f32_e32 v5, v29
	s_xor_b32 s61, exec_lo, s3
	s_cbranch_execz .LBB89_36
; %bb.33:                               ;   in Loop: Header=BB89_31 Depth=5
	v_mov_b32_e32 v26, 0
	s_mov_b32 s62, exec_lo
	v_cmpx_neq_f32_e32 0, v3
	s_cbranch_execz .LBB89_35
; %bb.34:                               ;   in Loop: Header=BB89_31 Depth=5
	v_div_scale_f32 v26, null, v29, v29, v5
	v_div_scale_f32 v32, vcc_lo, v5, v29, v5
	s_delay_alu instid0(VALU_DEP_2) | instskip(SKIP_2) | instid1(VALU_DEP_1)
	v_rcp_f32_e32 v30, v26
	s_waitcnt_depctr 0xfff
	v_fma_f32 v31, -v26, v30, 1.0
	v_fmac_f32_e32 v30, v31, v30
	s_delay_alu instid0(VALU_DEP_1) | instskip(NEXT) | instid1(VALU_DEP_1)
	v_mul_f32_e32 v31, v32, v30
	v_fma_f32 v33, -v26, v31, v32
	s_delay_alu instid0(VALU_DEP_1) | instskip(NEXT) | instid1(VALU_DEP_1)
	v_fmac_f32_e32 v31, v33, v30
	v_fma_f32 v26, -v26, v31, v32
	s_delay_alu instid0(VALU_DEP_1) | instskip(NEXT) | instid1(VALU_DEP_1)
	v_div_fmas_f32 v26, v26, v30, v31
	v_div_fixup_f32 v5, v26, v29, v5
	s_delay_alu instid0(VALU_DEP_1) | instskip(NEXT) | instid1(VALU_DEP_1)
	v_fma_f32 v5, v5, v5, 1.0
	v_mul_f32_e32 v26, 0x4f800000, v5
	v_cmp_gt_f32_e32 vcc_lo, 0xf800000, v5
	s_delay_alu instid0(VALU_DEP_2) | instskip(NEXT) | instid1(VALU_DEP_1)
	v_cndmask_b32_e32 v5, v5, v26, vcc_lo
	v_sqrt_f32_e32 v26, v5
	s_waitcnt_depctr 0xfff
	v_add_nc_u32_e32 v30, -1, v26
	v_add_nc_u32_e32 v31, 1, v26
	s_delay_alu instid0(VALU_DEP_2) | instskip(NEXT) | instid1(VALU_DEP_2)
	v_fma_f32 v32, -v30, v26, v5
	v_fma_f32 v33, -v31, v26, v5
	s_delay_alu instid0(VALU_DEP_2) | instskip(NEXT) | instid1(VALU_DEP_1)
	v_cmp_ge_f32_e64 s3, 0, v32
	v_cndmask_b32_e64 v26, v26, v30, s3
	s_delay_alu instid0(VALU_DEP_3) | instskip(NEXT) | instid1(VALU_DEP_1)
	v_cmp_lt_f32_e64 s3, 0, v33
	v_cndmask_b32_e64 v26, v26, v31, s3
	s_delay_alu instid0(VALU_DEP_1) | instskip(NEXT) | instid1(VALU_DEP_1)
	v_mul_f32_e32 v30, 0x37800000, v26
	v_cndmask_b32_e32 v26, v26, v30, vcc_lo
	v_cmp_class_f32_e64 vcc_lo, v5, 0x260
	s_delay_alu instid0(VALU_DEP_2) | instskip(NEXT) | instid1(VALU_DEP_1)
	v_cndmask_b32_e32 v5, v26, v5, vcc_lo
	v_mul_f32_e32 v26, v29, v5
.LBB89_35:                              ;   in Loop: Header=BB89_31 Depth=5
	s_or_b32 exec_lo, exec_lo, s62
                                        ; implicit-def: $vgpr5
                                        ; implicit-def: $vgpr29
.LBB89_36:                              ;   in Loop: Header=BB89_31 Depth=5
	s_and_not1_saveexec_b32 s61, s61
	s_cbranch_execz .LBB89_38
; %bb.37:                               ;   in Loop: Header=BB89_31 Depth=5
	v_div_scale_f32 v26, null, v5, v5, v29
	v_div_scale_f32 v32, vcc_lo, v29, v5, v29
	s_delay_alu instid0(VALU_DEP_2) | instskip(SKIP_2) | instid1(VALU_DEP_1)
	v_rcp_f32_e32 v30, v26
	s_waitcnt_depctr 0xfff
	v_fma_f32 v31, -v26, v30, 1.0
	v_fmac_f32_e32 v30, v31, v30
	s_delay_alu instid0(VALU_DEP_1) | instskip(NEXT) | instid1(VALU_DEP_1)
	v_mul_f32_e32 v31, v32, v30
	v_fma_f32 v33, -v26, v31, v32
	s_delay_alu instid0(VALU_DEP_1) | instskip(NEXT) | instid1(VALU_DEP_1)
	v_fmac_f32_e32 v31, v33, v30
	v_fma_f32 v26, -v26, v31, v32
	s_delay_alu instid0(VALU_DEP_1) | instskip(NEXT) | instid1(VALU_DEP_1)
	v_div_fmas_f32 v26, v26, v30, v31
	v_div_fixup_f32 v26, v26, v5, v29
	s_delay_alu instid0(VALU_DEP_1) | instskip(NEXT) | instid1(VALU_DEP_1)
	v_fma_f32 v26, v26, v26, 1.0
	v_mul_f32_e32 v29, 0x4f800000, v26
	v_cmp_gt_f32_e32 vcc_lo, 0xf800000, v26
	s_delay_alu instid0(VALU_DEP_2) | instskip(NEXT) | instid1(VALU_DEP_1)
	v_cndmask_b32_e32 v26, v26, v29, vcc_lo
	v_sqrt_f32_e32 v29, v26
	s_waitcnt_depctr 0xfff
	v_add_nc_u32_e32 v30, -1, v29
	v_add_nc_u32_e32 v31, 1, v29
	s_delay_alu instid0(VALU_DEP_2) | instskip(NEXT) | instid1(VALU_DEP_2)
	v_fma_f32 v32, -v30, v29, v26
	v_fma_f32 v33, -v31, v29, v26
	s_delay_alu instid0(VALU_DEP_2) | instskip(NEXT) | instid1(VALU_DEP_1)
	v_cmp_ge_f32_e64 s3, 0, v32
	v_cndmask_b32_e64 v29, v29, v30, s3
	s_delay_alu instid0(VALU_DEP_3) | instskip(NEXT) | instid1(VALU_DEP_1)
	v_cmp_lt_f32_e64 s3, 0, v33
	v_cndmask_b32_e64 v29, v29, v31, s3
	s_delay_alu instid0(VALU_DEP_1) | instskip(NEXT) | instid1(VALU_DEP_1)
	v_mul_f32_e32 v30, 0x37800000, v29
	v_cndmask_b32_e32 v29, v29, v30, vcc_lo
	v_cmp_class_f32_e64 vcc_lo, v26, 0x260
	s_delay_alu instid0(VALU_DEP_2) | instskip(NEXT) | instid1(VALU_DEP_1)
	v_cndmask_b32_e32 v26, v29, v26, vcc_lo
	v_mul_f32_e32 v26, v5, v26
.LBB89_38:                              ;   in Loop: Header=BB89_31 Depth=5
	s_or_b32 exec_lo, exec_lo, s61
	s_delay_alu instid0(VALU_DEP_1) | instskip(SKIP_1) | instid1(VALU_DEP_2)
	v_dual_mul_f32 v30, v26, v26 :: v_dual_mov_b32 v5, 1.0
	v_mov_b32_e32 v29, 0
	v_cmp_nlt_f32_e32 vcc_lo, v30, v10
	v_mov_b32_e32 v30, 0
	s_and_saveexec_b32 s61, vcc_lo
	s_cbranch_execz .LBB89_29
; %bb.39:                               ;   in Loop: Header=BB89_31 Depth=5
	v_mad_u64_u32 v[29:30], null, v0, s19, 0
	s_mov_b32 s3, exec_lo
	s_delay_alu instid0(VALU_DEP_1) | instskip(NEXT) | instid1(VALU_DEP_1)
	v_mov_b32_e32 v5, v30
	v_mad_u64_u32 v[30:31], null, v0, s38, v[5:6]
	v_mov_b32_e32 v5, v1
	s_delay_alu instid0(VALU_DEP_1) | instskip(NEXT) | instid1(VALU_DEP_3)
	v_lshlrev_b64 v[4:5], 3, v[4:5]
	v_lshlrev_b64 v[29:30], 3, v[29:30]
	s_delay_alu instid0(VALU_DEP_1) | instskip(NEXT) | instid1(VALU_DEP_2)
	v_add_co_u32 v0, vcc_lo, s50, v29
	v_add_co_ci_u32_e32 v29, vcc_lo, s51, v30, vcc_lo
	s_delay_alu instid0(VALU_DEP_4) | instskip(SKIP_1) | instid1(VALU_DEP_4)
	v_add_co_u32 v4, vcc_lo, v27, v4
	v_add_co_ci_u32_e32 v5, vcc_lo, v28, v5, vcc_lo
	v_add_co_u32 v6, vcc_lo, v0, v6
	v_add_f32_e32 v0, v26, v26
	v_add_co_ci_u32_e32 v7, vcc_lo, v29, v7, vcc_lo
	s_clause 0x1
	global_load_b32 v4, v[4:5], off
	global_load_b32 v5, v[6:7], off
	s_waitcnt vmcnt(0)
	v_sub_f32_e32 v6, v4, v5
	s_delay_alu instid0(VALU_DEP_1) | instskip(NEXT) | instid1(VALU_DEP_1)
	v_max_f32_e64 v4, |v6|, |v0|
	v_cvt_f64_f32_e32 v[27:28], v4
	s_delay_alu instid0(VALU_DEP_1) | instskip(NEXT) | instid1(VALU_DEP_1)
	v_frexp_exp_i32_f64_e32 v5, v[27:28]
	v_sub_nc_u32_e32 v7, 0, v5
	s_delay_alu instid0(VALU_DEP_1) | instskip(NEXT) | instid1(VALU_DEP_1)
	v_ldexp_f32 v27, |v0|, v7
	v_mul_f32_e32 v27, v27, v27
	v_ldexp_f32 v7, |v6|, v7
	s_delay_alu instid0(VALU_DEP_1) | instskip(NEXT) | instid1(VALU_DEP_1)
	v_fmac_f32_e32 v27, v7, v7
                                        ; implicit-def: $vgpr7
	v_sqrt_f32_e32 v27, v27
	v_cmpx_ngt_f32_e32 0, v6
	s_xor_b32 s3, exec_lo, s3
; %bb.40:                               ;   in Loop: Header=BB89_31 Depth=5
	s_waitcnt_depctr 0xfff
	v_ldexp_f32 v5, v27, v5
	v_cmp_neq_f32_e32 vcc_lo, 0x7f800000, v4
                                        ; implicit-def: $vgpr27
                                        ; implicit-def: $vgpr4
	s_delay_alu instid0(VALU_DEP_2)
	v_cndmask_b32_e32 v7, 0x7f800000, v5, vcc_lo
                                        ; implicit-def: $vgpr5
; %bb.41:                               ;   in Loop: Header=BB89_31 Depth=5
	s_and_not1_saveexec_b32 s3, s3
; %bb.42:                               ;   in Loop: Header=BB89_31 Depth=5
	v_ldexp_f32 v5, -v27, v5
	v_cmp_neq_f32_e32 vcc_lo, 0x7f800000, v4
	s_delay_alu instid0(VALU_DEP_2)
	v_cndmask_b32_e32 v7, 0xff800000, v5, vcc_lo
; %bb.43:                               ;   in Loop: Header=BB89_31 Depth=5
	s_or_b32 exec_lo, exec_lo, s3
	v_dual_mov_b32 v4, 0 :: v_dual_mov_b32 v5, 1.0
	s_mov_b32 s62, exec_lo
	v_cmpx_neq_f32_e32 0, v0
	s_cbranch_execz .LBB89_51
; %bb.44:                               ;   in Loop: Header=BB89_31 Depth=5
	v_dual_add_f32 v6, v6, v7 :: v_dual_mov_b32 v5, 0
	v_mov_b32_e32 v4, 1.0
	s_mov_b32 s63, exec_lo
	s_delay_alu instid0(VALU_DEP_2)
	v_cmpx_neq_f32_e32 0, v6
	s_cbranch_execz .LBB89_50
; %bb.45:                               ;   in Loop: Header=BB89_31 Depth=5
	s_mov_b32 s64, exec_lo
                                        ; implicit-def: $vgpr5
                                        ; implicit-def: $vgpr4
	v_cmpx_ngt_f32_e64 |v0|, |v6|
	s_xor_b32 s64, exec_lo, s64
	s_cbranch_execz .LBB89_47
; %bb.46:                               ;   in Loop: Header=BB89_31 Depth=5
	v_div_scale_f32 v4, null, v6, v6, -v0
	v_div_scale_f32 v27, vcc_lo, -v0, v6, -v0
	s_delay_alu instid0(VALU_DEP_2) | instskip(SKIP_2) | instid1(VALU_DEP_1)
	v_rcp_f32_e32 v5, v4
	s_waitcnt_depctr 0xfff
	v_fma_f32 v7, -v4, v5, 1.0
	v_fmac_f32_e32 v5, v7, v5
	s_delay_alu instid0(VALU_DEP_1) | instskip(NEXT) | instid1(VALU_DEP_1)
	v_mul_f32_e32 v7, v27, v5
	v_fma_f32 v28, -v4, v7, v27
	s_delay_alu instid0(VALU_DEP_1) | instskip(NEXT) | instid1(VALU_DEP_1)
	v_fmac_f32_e32 v7, v28, v5
	v_fma_f32 v4, -v4, v7, v27
	s_delay_alu instid0(VALU_DEP_1) | instskip(NEXT) | instid1(VALU_DEP_1)
	v_div_fmas_f32 v4, v4, v5, v7
	v_div_fixup_f32 v0, v4, v6, -v0
	s_delay_alu instid0(VALU_DEP_1) | instskip(NEXT) | instid1(VALU_DEP_1)
	v_fma_f32 v4, v0, v0, 1.0
	v_mul_f32_e32 v5, 0x4f800000, v4
	v_cmp_gt_f32_e32 vcc_lo, 0xf800000, v4
	s_delay_alu instid0(VALU_DEP_2) | instskip(NEXT) | instid1(VALU_DEP_1)
	v_cndmask_b32_e32 v4, v4, v5, vcc_lo
	v_sqrt_f32_e32 v5, v4
	s_waitcnt_depctr 0xfff
	v_add_nc_u32_e32 v6, -1, v5
	v_add_nc_u32_e32 v7, 1, v5
	s_delay_alu instid0(VALU_DEP_2) | instskip(NEXT) | instid1(VALU_DEP_2)
	v_fma_f32 v27, -v6, v5, v4
	v_fma_f32 v28, -v7, v5, v4
	s_delay_alu instid0(VALU_DEP_2) | instskip(NEXT) | instid1(VALU_DEP_1)
	v_cmp_ge_f32_e64 s3, 0, v27
	v_cndmask_b32_e64 v5, v5, v6, s3
	s_delay_alu instid0(VALU_DEP_3) | instskip(NEXT) | instid1(VALU_DEP_1)
	v_cmp_lt_f32_e64 s3, 0, v28
	v_cndmask_b32_e64 v5, v5, v7, s3
	s_delay_alu instid0(VALU_DEP_1) | instskip(NEXT) | instid1(VALU_DEP_1)
	v_mul_f32_e32 v6, 0x37800000, v5
	v_cndmask_b32_e32 v5, v5, v6, vcc_lo
	v_cmp_class_f32_e64 vcc_lo, v4, 0x260
	s_delay_alu instid0(VALU_DEP_2) | instskip(NEXT) | instid1(VALU_DEP_1)
	v_cndmask_b32_e32 v4, v5, v4, vcc_lo
	v_div_scale_f32 v5, null, v4, v4, 1.0
	s_delay_alu instid0(VALU_DEP_1) | instskip(SKIP_2) | instid1(VALU_DEP_1)
	v_rcp_f32_e32 v6, v5
	s_waitcnt_depctr 0xfff
	v_fma_f32 v7, -v5, v6, 1.0
	v_fmac_f32_e32 v6, v7, v6
	v_div_scale_f32 v7, vcc_lo, 1.0, v4, 1.0
	s_delay_alu instid0(VALU_DEP_1) | instskip(NEXT) | instid1(VALU_DEP_1)
	v_mul_f32_e32 v27, v7, v6
	v_fma_f32 v28, -v5, v27, v7
	s_delay_alu instid0(VALU_DEP_1) | instskip(NEXT) | instid1(VALU_DEP_1)
	v_fmac_f32_e32 v27, v28, v6
	v_fma_f32 v5, -v5, v27, v7
	s_delay_alu instid0(VALU_DEP_1) | instskip(NEXT) | instid1(VALU_DEP_1)
	v_div_fmas_f32 v5, v5, v6, v27
                                        ; implicit-def: $vgpr6
	v_div_fixup_f32 v5, v5, v4, 1.0
	s_delay_alu instid0(VALU_DEP_1)
	v_mul_f32_e32 v4, v0, v5
                                        ; implicit-def: $vgpr0
.LBB89_47:                              ;   in Loop: Header=BB89_31 Depth=5
	s_and_not1_saveexec_b32 s64, s64
	s_cbranch_execz .LBB89_49
; %bb.48:                               ;   in Loop: Header=BB89_31 Depth=5
	v_div_scale_f32 v4, null, v0, v0, -v6
	v_div_scale_f32 v27, vcc_lo, -v6, v0, -v6
	s_delay_alu instid0(VALU_DEP_2) | instskip(SKIP_2) | instid1(VALU_DEP_1)
	v_rcp_f32_e32 v5, v4
	s_waitcnt_depctr 0xfff
	v_fma_f32 v7, -v4, v5, 1.0
	v_fmac_f32_e32 v5, v7, v5
	s_delay_alu instid0(VALU_DEP_1) | instskip(NEXT) | instid1(VALU_DEP_1)
	v_mul_f32_e32 v7, v27, v5
	v_fma_f32 v28, -v4, v7, v27
	s_delay_alu instid0(VALU_DEP_1) | instskip(NEXT) | instid1(VALU_DEP_1)
	v_fmac_f32_e32 v7, v28, v5
	v_fma_f32 v4, -v4, v7, v27
	s_delay_alu instid0(VALU_DEP_1) | instskip(NEXT) | instid1(VALU_DEP_1)
	v_div_fmas_f32 v4, v4, v5, v7
	v_div_fixup_f32 v0, v4, v0, -v6
	s_delay_alu instid0(VALU_DEP_1) | instskip(NEXT) | instid1(VALU_DEP_1)
	v_fma_f32 v4, v0, v0, 1.0
	v_mul_f32_e32 v5, 0x4f800000, v4
	v_cmp_gt_f32_e32 vcc_lo, 0xf800000, v4
	s_delay_alu instid0(VALU_DEP_2) | instskip(NEXT) | instid1(VALU_DEP_1)
	v_cndmask_b32_e32 v4, v4, v5, vcc_lo
	v_sqrt_f32_e32 v5, v4
	s_waitcnt_depctr 0xfff
	v_add_nc_u32_e32 v6, -1, v5
	v_add_nc_u32_e32 v7, 1, v5
	s_delay_alu instid0(VALU_DEP_2) | instskip(NEXT) | instid1(VALU_DEP_2)
	v_fma_f32 v27, -v6, v5, v4
	v_fma_f32 v28, -v7, v5, v4
	s_delay_alu instid0(VALU_DEP_2) | instskip(NEXT) | instid1(VALU_DEP_1)
	v_cmp_ge_f32_e64 s3, 0, v27
	v_cndmask_b32_e64 v5, v5, v6, s3
	s_delay_alu instid0(VALU_DEP_3) | instskip(NEXT) | instid1(VALU_DEP_1)
	v_cmp_lt_f32_e64 s3, 0, v28
	v_cndmask_b32_e64 v5, v5, v7, s3
	s_delay_alu instid0(VALU_DEP_1) | instskip(NEXT) | instid1(VALU_DEP_1)
	v_mul_f32_e32 v6, 0x37800000, v5
	v_cndmask_b32_e32 v5, v5, v6, vcc_lo
	v_cmp_class_f32_e64 vcc_lo, v4, 0x260
	s_delay_alu instid0(VALU_DEP_2) | instskip(NEXT) | instid1(VALU_DEP_1)
	v_cndmask_b32_e32 v4, v5, v4, vcc_lo
	v_div_scale_f32 v5, null, v4, v4, 1.0
	s_delay_alu instid0(VALU_DEP_1) | instskip(SKIP_2) | instid1(VALU_DEP_1)
	v_rcp_f32_e32 v6, v5
	s_waitcnt_depctr 0xfff
	v_fma_f32 v7, -v5, v6, 1.0
	v_fmac_f32_e32 v6, v7, v6
	v_div_scale_f32 v7, vcc_lo, 1.0, v4, 1.0
	s_delay_alu instid0(VALU_DEP_1) | instskip(NEXT) | instid1(VALU_DEP_1)
	v_mul_f32_e32 v27, v7, v6
	v_fma_f32 v28, -v5, v27, v7
	s_delay_alu instid0(VALU_DEP_1) | instskip(NEXT) | instid1(VALU_DEP_1)
	v_fmac_f32_e32 v27, v28, v6
	v_fma_f32 v5, -v5, v27, v7
	s_delay_alu instid0(VALU_DEP_1) | instskip(NEXT) | instid1(VALU_DEP_1)
	v_div_fmas_f32 v5, v5, v6, v27
	v_div_fixup_f32 v4, v5, v4, 1.0
	s_delay_alu instid0(VALU_DEP_1)
	v_mul_f32_e32 v5, v0, v4
.LBB89_49:                              ;   in Loop: Header=BB89_31 Depth=5
	s_or_b32 exec_lo, exec_lo, s64
.LBB89_50:                              ;   in Loop: Header=BB89_31 Depth=5
	s_delay_alu instid0(SALU_CYCLE_1)
	s_or_b32 exec_lo, exec_lo, s63
.LBB89_51:                              ;   in Loop: Header=BB89_31 Depth=5
	s_delay_alu instid0(SALU_CYCLE_1)
	s_or_b32 exec_lo, exec_lo, s62
	v_cmp_gt_f32_e32 vcc_lo, 0, v26
	v_mul_f32_e32 v2, v2, v4
	v_mul_f32_e32 v0, v3, v4
	s_mov_b32 s3, exec_lo
                                        ; implicit-def: $vgpr29
                                        ; implicit-def: $vgpr30
	v_cndmask_b32_e64 v6, v26, -v26, vcc_lo
	s_delay_alu instid0(VALU_DEP_1)
	v_cmpx_nlt_f32_e32 0, v6
	s_xor_b32 s3, exec_lo, s3
	s_cbranch_execz .LBB89_53
; %bb.52:                               ;   in Loop: Header=BB89_31 Depth=5
	v_div_scale_f32 v3, null, 0, 0, v26
	v_div_scale_f32 v7, vcc_lo, v26, 0, v26
	s_delay_alu instid0(VALU_DEP_2) | instskip(SKIP_2) | instid1(VALU_DEP_1)
	v_rcp_f32_e32 v4, v3
	s_waitcnt_depctr 0xfff
	v_fma_f32 v6, -v3, v4, 1.0
	v_fmac_f32_e32 v4, v6, v4
	s_delay_alu instid0(VALU_DEP_1) | instskip(NEXT) | instid1(VALU_DEP_1)
	v_mul_f32_e32 v6, v7, v4
	v_fma_f32 v27, -v3, v6, v7
	s_delay_alu instid0(VALU_DEP_1) | instskip(NEXT) | instid1(VALU_DEP_1)
	v_fmac_f32_e32 v6, v27, v4
	v_fma_f32 v3, -v3, v6, v7
	s_delay_alu instid0(VALU_DEP_1) | instskip(NEXT) | instid1(VALU_DEP_1)
	v_div_fmas_f32 v3, v3, v4, v6
	v_div_fixup_f32 v3, v3, 0, v26
	s_delay_alu instid0(VALU_DEP_1) | instskip(NEXT) | instid1(VALU_DEP_1)
	v_fma_f32 v4, v26, v3, 0
	v_div_scale_f32 v6, null, v4, v4, 1.0
	v_div_scale_f32 v27, vcc_lo, 1.0, v4, 1.0
	s_delay_alu instid0(VALU_DEP_2) | instskip(SKIP_2) | instid1(VALU_DEP_1)
	v_rcp_f32_e32 v7, v6
	s_waitcnt_depctr 0xfff
	v_fma_f32 v26, -v6, v7, 1.0
	v_fmac_f32_e32 v7, v26, v7
	s_delay_alu instid0(VALU_DEP_1) | instskip(NEXT) | instid1(VALU_DEP_1)
	v_mul_f32_e32 v26, v27, v7
	v_fma_f32 v28, -v6, v26, v27
	s_delay_alu instid0(VALU_DEP_1) | instskip(NEXT) | instid1(VALU_DEP_1)
	v_fmac_f32_e32 v26, v28, v7
	v_fma_f32 v6, -v6, v26, v27
	s_delay_alu instid0(VALU_DEP_1) | instskip(SKIP_2) | instid1(VALU_DEP_3)
	v_div_fmas_f32 v6, v6, v7, v26
	v_fma_f32 v7, v3, v2, v0
	v_fma_f32 v0, v3, v0, -v2
                                        ; implicit-def: $vgpr26
                                        ; implicit-def: $vgpr2
	v_div_fixup_f32 v4, v6, v4, 1.0
	s_delay_alu instid0(VALU_DEP_1) | instskip(NEXT) | instid1(VALU_DEP_4)
	v_mul_f32_e32 v29, v4, v0
	v_mul_f32_e32 v30, v4, v7
                                        ; implicit-def: $vgpr0
.LBB89_53:                              ;   in Loop: Header=BB89_31 Depth=5
	s_and_not1_saveexec_b32 s3, s3
	s_cbranch_execz .LBB89_28
; %bb.54:                               ;   in Loop: Header=BB89_31 Depth=5
	v_div_scale_f32 v3, null, v26, v26, 0
	v_div_scale_f32 v7, vcc_lo, 0, v26, 0
	s_delay_alu instid0(VALU_DEP_2) | instskip(SKIP_2) | instid1(VALU_DEP_1)
	v_rcp_f32_e32 v4, v3
	s_waitcnt_depctr 0xfff
	v_fma_f32 v6, -v3, v4, 1.0
	v_fmac_f32_e32 v4, v6, v4
	s_delay_alu instid0(VALU_DEP_1) | instskip(NEXT) | instid1(VALU_DEP_1)
	v_mul_f32_e32 v6, v7, v4
	v_fma_f32 v27, -v3, v6, v7
	s_delay_alu instid0(VALU_DEP_1) | instskip(NEXT) | instid1(VALU_DEP_1)
	v_fmac_f32_e32 v6, v27, v4
	v_fma_f32 v3, -v3, v6, v7
	s_delay_alu instid0(VALU_DEP_1) | instskip(NEXT) | instid1(VALU_DEP_1)
	v_div_fmas_f32 v3, v3, v4, v6
	v_div_fixup_f32 v3, v3, v26, 0
	s_delay_alu instid0(VALU_DEP_1) | instskip(NEXT) | instid1(VALU_DEP_1)
	v_fmac_f32_e32 v26, 0, v3
	v_div_scale_f32 v4, null, v26, v26, 1.0
	v_div_scale_f32 v27, vcc_lo, 1.0, v26, 1.0
	s_delay_alu instid0(VALU_DEP_2) | instskip(SKIP_2) | instid1(VALU_DEP_1)
	v_rcp_f32_e32 v6, v4
	s_waitcnt_depctr 0xfff
	v_fma_f32 v7, -v4, v6, 1.0
	v_fmac_f32_e32 v6, v7, v6
	s_delay_alu instid0(VALU_DEP_1) | instskip(NEXT) | instid1(VALU_DEP_1)
	v_mul_f32_e32 v7, v27, v6
	v_fma_f32 v28, -v4, v7, v27
	s_delay_alu instid0(VALU_DEP_1) | instskip(NEXT) | instid1(VALU_DEP_1)
	v_fmac_f32_e32 v7, v28, v6
	v_fma_f32 v4, -v4, v7, v27
	s_delay_alu instid0(VALU_DEP_1) | instskip(SKIP_2) | instid1(VALU_DEP_3)
	v_div_fmas_f32 v4, v4, v6, v7
	v_fma_f32 v6, v3, v0, v2
	v_fma_f32 v0, -v3, v2, v0
	v_div_fixup_f32 v4, v4, v26, 1.0
	s_delay_alu instid0(VALU_DEP_1) | instskip(NEXT) | instid1(VALU_DEP_4)
	v_mul_f32_e32 v29, v4, v0
	v_mul_f32_e32 v30, v4, v6
	s_branch .LBB89_28
.LBB89_55:                              ;   in Loop: Header=BB89_23 Depth=3
	s_or_b32 exec_lo, exec_lo, s25
	s_waitcnt lgkmcnt(0)
	s_waitcnt_vscnt null, 0x0
	s_barrier
	buffer_gl0_inv
	s_and_saveexec_b32 s3, s0
	s_cbranch_execz .LBB89_68
; %bb.56:                               ;   in Loop: Header=BB89_23 Depth=3
	v_dual_mov_b32 v21, v16 :: v_dual_mov_b32 v22, v15
	v_mov_b32_e32 v23, v9
	s_mov_b32 s25, 0
	s_branch .LBB89_58
.LBB89_57:                              ;   in Loop: Header=BB89_58 Depth=4
	s_or_b32 exec_lo, exec_lo, s57
	v_add_nc_u32_e32 v23, s30, v23
	v_add_nc_u32_e32 v22, s47, v22
	;; [unrolled: 1-line block ×3, first 2 shown]
	s_delay_alu instid0(VALU_DEP_3) | instskip(SKIP_1) | instid1(SALU_CYCLE_1)
	v_cmp_le_u32_e32 vcc_lo, s20, v23
	s_or_b32 s25, vcc_lo, s25
	s_and_not1_b32 exec_lo, exec_lo, s25
	s_cbranch_execz .LBB89_68
.LBB89_58:                              ;   Parent Loop BB89_3 Depth=1
                                        ;     Parent Loop BB89_8 Depth=2
                                        ;       Parent Loop BB89_23 Depth=3
                                        ; =>      This Loop Header: Depth=4
                                        ;           Child Loop BB89_61 Depth 5
	s_and_saveexec_b32 s57, s1
	s_cbranch_execz .LBB89_57
; %bb.59:                               ;   in Loop: Header=BB89_58 Depth=4
	v_dual_mov_b32 v27, v13 :: v_dual_add_nc_u32 v2, s20, v23
	v_dual_mov_b32 v5, v1 :: v_dual_add_nc_u32 v4, s55, v23
	v_add_nc_u32_e32 v0, v23, v18
	v_mul_lo_u32 v24, v23, s34
	s_delay_alu instid0(VALU_DEP_4) | instskip(NEXT) | instid1(VALU_DEP_4)
	v_mul_lo_u32 v25, v2, s34
	v_cmp_gt_u32_e64 s2, s21, v4
	v_lshlrev_b64 v[4:5], 3, v[4:5]
	v_lshlrev_b64 v[2:3], 3, v[0:1]
	v_mov_b32_e32 v26, v14
	v_mov_b32_e32 v28, v20
	s_mov_b32 s58, 0
	s_mov_b32 s59, 0
	s_branch .LBB89_61
.LBB89_60:                              ;   in Loop: Header=BB89_61 Depth=5
	s_or_b32 exec_lo, exec_lo, s60
	s_add_i32 s59, s59, s23
	v_add_nc_u32_e32 v28, s23, v28
	v_add_nc_u32_e32 v0, s59, v8
	;; [unrolled: 1-line block ×4, first 2 shown]
	s_delay_alu instid0(VALU_DEP_3) | instskip(SKIP_1) | instid1(SALU_CYCLE_1)
	v_cmp_le_u32_e32 vcc_lo, s20, v0
	s_or_b32 s58, vcc_lo, s58
	s_and_not1_b32 exec_lo, exec_lo, s58
	s_cbranch_execz .LBB89_57
.LBB89_61:                              ;   Parent Loop BB89_3 Depth=1
                                        ;     Parent Loop BB89_8 Depth=2
                                        ;       Parent Loop BB89_23 Depth=3
                                        ;         Parent Loop BB89_58 Depth=4
                                        ; =>        This Inner Loop Header: Depth=5
	s_delay_alu instid0(VALU_DEP_1) | instskip(SKIP_3) | instid1(VALU_DEP_3)
	v_mul_hi_u32 v0, v11, v28
	v_add_nc_u32_e32 v7, s59, v8
	v_add_nc_u32_e32 v30, s59, v19
	s_mov_b32 s60, exec_lo
	v_mul_lo_u32 v6, s20, v0
	v_not_b32_e32 v0, v0
	s_delay_alu instid0(VALU_DEP_1) | instskip(NEXT) | instid1(VALU_DEP_3)
	v_mul_lo_u32 v0, s20, v0
	v_sub_nc_u32_e32 v6, s56, v6
	s_delay_alu instid0(VALU_DEP_1) | instskip(NEXT) | instid1(VALU_DEP_3)
	v_add_nc_u32_e32 v6, v7, v6
	v_add3_u32 v0, s56, v0, v7
	s_delay_alu instid0(VALU_DEP_2) | instskip(NEXT) | instid1(VALU_DEP_2)
	v_cmp_le_u32_e32 vcc_lo, s20, v6
	v_cndmask_b32_e32 v0, v6, v0, vcc_lo
	s_delay_alu instid0(VALU_DEP_1) | instskip(SKIP_1) | instid1(VALU_DEP_2)
	v_subrev_nc_u32_e32 v6, s20, v0
	v_cmp_le_u32_e32 vcc_lo, s20, v0
	v_cndmask_b32_e32 v32, v0, v6, vcc_lo
	s_delay_alu instid0(VALU_DEP_1) | instskip(NEXT) | instid1(VALU_DEP_1)
	v_add_nc_u32_e32 v31, s55, v32
	v_max_u32_e32 v0, v30, v31
	s_delay_alu instid0(VALU_DEP_1)
	v_cmpx_gt_u32_e64 s21, v0
	s_cbranch_execz .LBB89_60
; %bb.62:                               ;   in Loop: Header=BB89_61 Depth=5
	ds_load_b32 v29, v27
	ds_load_2addr_b32 v[6:7], v26 offset1:1
	s_and_not1_b32 vcc_lo, exec_lo, s54
	s_cbranch_vccnz .LBB89_66
; %bb.63:                               ;   in Loop: Header=BB89_61 Depth=5
	v_add_nc_u32_e32 v0, s59, v22
	v_add_nc_u32_e32 v32, s20, v32
	s_delay_alu instid0(VALU_DEP_2) | instskip(NEXT) | instid1(VALU_DEP_2)
	v_lshlrev_b64 v[33:34], 3, v[0:1]
	v_add_nc_u32_e32 v0, v32, v24
	s_delay_alu instid0(VALU_DEP_1) | instskip(NEXT) | instid1(VALU_DEP_3)
	v_lshlrev_b64 v[35:36], 3, v[0:1]
	v_add_co_u32 v33, vcc_lo, s52, v33
	s_delay_alu instid0(VALU_DEP_4) | instskip(NEXT) | instid1(VALU_DEP_3)
	v_add_co_ci_u32_e32 v34, vcc_lo, s11, v34, vcc_lo
	v_add_co_u32 v35, vcc_lo, s52, v35
	s_delay_alu instid0(VALU_DEP_4)
	v_add_co_ci_u32_e32 v36, vcc_lo, s11, v36, vcc_lo
	s_clause 0x1
	flat_load_b64 v[37:38], v[33:34]
	flat_load_b64 v[39:40], v[35:36]
	s_waitcnt vmcnt(0) lgkmcnt(0)
	v_dual_mul_f32 v0, v37, v6 :: v_dual_mul_f32 v41, v7, v40
	v_mul_f32_e32 v44, v38, v6
	s_delay_alu instid0(VALU_DEP_2) | instskip(NEXT) | instid1(VALU_DEP_3)
	v_fma_f32 v43, v7, v38, -v0
	v_fmac_f32_e32 v41, v39, v6
	v_mul_f32_e32 v42, v7, v39
	s_delay_alu instid0(VALU_DEP_4) | instskip(NEXT) | instid1(VALU_DEP_4)
	v_fma_f32 v44, v37, -v7, -v44
	v_fmac_f32_e32 v43, v29, v39
	s_delay_alu instid0(VALU_DEP_4) | instskip(NEXT) | instid1(VALU_DEP_4)
	v_fmac_f32_e32 v41, v29, v37
	v_fma_f32 v42, v40, v6, -v42
	s_delay_alu instid0(VALU_DEP_4) | instskip(NEXT) | instid1(VALU_DEP_2)
	v_fmac_f32_e32 v44, v29, v40
	v_fmac_f32_e32 v42, v29, v38
	s_clause 0x1
	flat_store_b64 v[33:34], v[41:42]
	flat_store_b64 v[35:36], v[43:44]
	s_and_saveexec_b32 s61, s2
	s_cbranch_execz .LBB89_65
; %bb.64:                               ;   in Loop: Header=BB89_61 Depth=5
	v_add_nc_u32_e32 v0, s59, v21
	s_delay_alu instid0(VALU_DEP_1) | instskip(SKIP_1) | instid1(VALU_DEP_1)
	v_lshlrev_b64 v[33:34], 3, v[0:1]
	v_add_nc_u32_e32 v0, v32, v25
	v_lshlrev_b64 v[35:36], 3, v[0:1]
	s_delay_alu instid0(VALU_DEP_3) | instskip(NEXT) | instid1(VALU_DEP_4)
	v_add_co_u32 v32, vcc_lo, s52, v33
	v_add_co_ci_u32_e32 v33, vcc_lo, s11, v34, vcc_lo
	s_delay_alu instid0(VALU_DEP_3) | instskip(NEXT) | instid1(VALU_DEP_4)
	v_add_co_u32 v34, vcc_lo, s52, v35
	v_add_co_ci_u32_e32 v35, vcc_lo, s11, v36, vcc_lo
	s_clause 0x1
	flat_load_b64 v[36:37], v[32:33]
	flat_load_b64 v[38:39], v[34:35]
	s_waitcnt vmcnt(1) lgkmcnt(1)
	v_mul_f32_e32 v43, v37, v6
	s_waitcnt vmcnt(0) lgkmcnt(0)
	v_mul_f32_e32 v41, v7, v38
	v_mul_f32_e32 v40, v7, v39
	s_delay_alu instid0(VALU_DEP_3) | instskip(NEXT) | instid1(VALU_DEP_3)
	v_fma_f32 v43, v36, -v7, -v43
	v_fma_f32 v41, v39, v6, -v41
	v_mul_f32_e32 v0, v36, v6
	s_delay_alu instid0(VALU_DEP_3) | instskip(NEXT) | instid1(VALU_DEP_3)
	v_dual_fmac_f32 v40, v38, v6 :: v_dual_fmac_f32 v43, v29, v39
	v_fmac_f32_e32 v41, v29, v37
	s_delay_alu instid0(VALU_DEP_3) | instskip(NEXT) | instid1(VALU_DEP_3)
	v_fma_f32 v42, v7, v37, -v0
	v_fmac_f32_e32 v40, v29, v36
	s_delay_alu instid0(VALU_DEP_2)
	v_fmac_f32_e32 v42, v29, v38
	s_clause 0x1
	flat_store_b64 v[32:33], v[40:41]
	flat_store_b64 v[34:35], v[42:43]
.LBB89_65:                              ;   in Loop: Header=BB89_61 Depth=5
	s_or_b32 exec_lo, exec_lo, s61
.LBB89_66:                              ;   in Loop: Header=BB89_61 Depth=5
	v_mad_u64_u32 v[32:33], null, v31, s19, 0
	v_mad_u64_u32 v[34:35], null, v30, s19, 0
	s_delay_alu instid0(VALU_DEP_1) | instskip(NEXT) | instid1(VALU_DEP_1)
	v_dual_mov_b32 v0, v33 :: v_dual_mov_b32 v33, v35
	v_mad_u64_u32 v[35:36], null, v31, s38, v[0:1]
	s_delay_alu instid0(VALU_DEP_2) | instskip(NEXT) | instid1(VALU_DEP_2)
	v_mad_u64_u32 v[36:37], null, v30, s38, v[33:34]
	v_mov_b32_e32 v33, v35
	s_delay_alu instid0(VALU_DEP_2) | instskip(NEXT) | instid1(VALU_DEP_2)
	v_mov_b32_e32 v35, v36
	v_lshlrev_b64 v[31:32], 3, v[32:33]
	s_delay_alu instid0(VALU_DEP_2) | instskip(NEXT) | instid1(VALU_DEP_2)
	v_lshlrev_b64 v[33:34], 3, v[34:35]
	v_add_co_u32 v31, vcc_lo, s50, v31
	s_delay_alu instid0(VALU_DEP_3) | instskip(NEXT) | instid1(VALU_DEP_3)
	v_add_co_ci_u32_e32 v32, vcc_lo, s51, v32, vcc_lo
	v_add_co_u32 v0, vcc_lo, s50, v33
	s_delay_alu instid0(VALU_DEP_4) | instskip(NEXT) | instid1(VALU_DEP_4)
	v_add_co_ci_u32_e32 v30, vcc_lo, s51, v34, vcc_lo
	v_add_co_u32 v33, vcc_lo, v31, v2
	s_delay_alu instid0(VALU_DEP_4) | instskip(NEXT) | instid1(VALU_DEP_4)
	v_add_co_ci_u32_e32 v34, vcc_lo, v32, v3, vcc_lo
	v_add_co_u32 v35, vcc_lo, v0, v2
	s_delay_alu instid0(VALU_DEP_4)
	v_add_co_ci_u32_e32 v36, vcc_lo, v30, v3, vcc_lo
	s_clause 0x1
	global_load_b64 v[37:38], v[33:34], off
	global_load_b64 v[39:40], v[35:36], off
	s_waitcnt vmcnt(1) lgkmcnt(0)
	v_mul_f32_e32 v42, v7, v37
	s_waitcnt vmcnt(0)
	v_mul_f32_e32 v43, v39, v6
	v_mul_f32_e32 v44, v40, v6
	s_delay_alu instid0(VALU_DEP_3) | instskip(SKIP_1) | instid1(VALU_DEP_4)
	v_fma_f32 v42, v38, v6, -v42
	v_mul_f32_e32 v41, v7, v38
	v_fma_f32 v43, v7, v40, -v43
	s_delay_alu instid0(VALU_DEP_4) | instskip(NEXT) | instid1(VALU_DEP_4)
	v_fma_f32 v44, v39, -v7, -v44
	v_fmac_f32_e32 v42, v29, v40
	s_delay_alu instid0(VALU_DEP_4) | instskip(NEXT) | instid1(VALU_DEP_4)
	v_fmac_f32_e32 v41, v37, v6
	v_fmac_f32_e32 v43, v29, v37
	s_delay_alu instid0(VALU_DEP_4) | instskip(NEXT) | instid1(VALU_DEP_3)
	v_fmac_f32_e32 v44, v29, v38
	v_fmac_f32_e32 v41, v29, v39
	s_clause 0x1
	global_store_b64 v[35:36], v[41:42], off
	global_store_b64 v[33:34], v[43:44], off
	s_and_b32 exec_lo, exec_lo, s2
	s_cbranch_execz .LBB89_60
; %bb.67:                               ;   in Loop: Header=BB89_61 Depth=5
	v_add_co_u32 v31, vcc_lo, v31, v4
	v_add_co_ci_u32_e32 v32, vcc_lo, v32, v5, vcc_lo
	v_add_co_u32 v33, vcc_lo, v0, v4
	v_add_co_ci_u32_e32 v34, vcc_lo, v30, v5, vcc_lo
	s_clause 0x1
	global_load_b64 v[35:36], v[31:32], off
	global_load_b64 v[37:38], v[33:34], off
	s_waitcnt vmcnt(0)
	v_dual_mul_f32 v39, v7, v36 :: v_dual_mul_f32 v30, v37, v6
	v_dual_mul_f32 v0, v7, v35 :: v_dual_mul_f32 v41, v38, v6
	s_delay_alu instid0(VALU_DEP_2) | instskip(NEXT) | instid1(VALU_DEP_2)
	v_fmac_f32_e32 v39, v35, v6
	v_fma_f32 v40, v36, v6, -v0
	s_delay_alu instid0(VALU_DEP_4) | instskip(NEXT) | instid1(VALU_DEP_4)
	v_fma_f32 v6, v7, v38, -v30
	v_fma_f32 v7, v37, -v7, -v41
	s_delay_alu instid0(VALU_DEP_3) | instskip(NEXT) | instid1(VALU_DEP_3)
	v_fmac_f32_e32 v40, v29, v38
	v_fmac_f32_e32 v6, v29, v35
	v_fmac_f32_e32 v39, v29, v37
	s_delay_alu instid0(VALU_DEP_4)
	v_fmac_f32_e32 v7, v29, v36
	s_clause 0x1
	global_store_b64 v[33:34], v[39:40], off
	global_store_b64 v[31:32], v[6:7], off
	s_branch .LBB89_60
.LBB89_68:                              ;   in Loop: Header=BB89_23 Depth=3
	s_or_b32 exec_lo, exec_lo, s3
	s_waitcnt_vscnt null, 0x0
	s_barrier
	buffer_gl0_inv
	s_and_saveexec_b32 s3, s0
	s_cbranch_execz .LBB89_77
; %bb.69:                               ;   in Loop: Header=BB89_23 Depth=3
	v_mov_b32_e32 v21, v9
	s_mov_b32 s25, 0
	s_branch .LBB89_71
.LBB89_70:                              ;   in Loop: Header=BB89_71 Depth=4
	s_or_b32 exec_lo, exec_lo, s57
	v_add_nc_u32_e32 v21, s30, v21
	s_delay_alu instid0(VALU_DEP_1) | instskip(SKIP_1) | instid1(SALU_CYCLE_1)
	v_cmp_le_u32_e32 vcc_lo, s20, v21
	s_or_b32 s25, vcc_lo, s25
	s_and_not1_b32 exec_lo, exec_lo, s25
	s_cbranch_execz .LBB89_77
.LBB89_71:                              ;   Parent Loop BB89_3 Depth=1
                                        ;     Parent Loop BB89_8 Depth=2
                                        ;       Parent Loop BB89_23 Depth=3
                                        ; =>      This Loop Header: Depth=4
                                        ;           Child Loop BB89_74 Depth 5
	s_and_saveexec_b32 s57, s1
	s_cbranch_execz .LBB89_70
; %bb.72:                               ;   in Loop: Header=BB89_71 Depth=4
	v_add_nc_u32_e32 v7, v21, v18
	v_dual_mov_b32 v22, v14 :: v_dual_add_nc_u32 v25, s55, v21
	v_mov_b32_e32 v23, v13
	v_mov_b32_e32 v29, v8
	s_delay_alu instid0(VALU_DEP_4) | instskip(NEXT) | instid1(VALU_DEP_4)
	v_mad_u64_u32 v[2:3], null, v7, s19, 0
	v_mad_u64_u32 v[4:5], null, v25, s19, 0
	v_cmp_gt_u32_e32 vcc_lo, s21, v25
	s_mov_b32 s58, 0
	v_mov_b32_e32 v24, v20
	s_delay_alu instid0(VALU_DEP_3) | instskip(NEXT) | instid1(VALU_DEP_1)
	v_dual_mov_b32 v0, v3 :: v_dual_mov_b32 v3, v5
	v_mad_u64_u32 v[5:6], null, v7, s38, v[0:1]
	s_delay_alu instid0(VALU_DEP_2) | instskip(NEXT) | instid1(VALU_DEP_2)
	v_mad_u64_u32 v[6:7], null, v25, s38, v[3:4]
	v_mov_b32_e32 v3, v5
	s_delay_alu instid0(VALU_DEP_2) | instskip(NEXT) | instid1(VALU_DEP_2)
	v_mov_b32_e32 v5, v6
	v_lshlrev_b64 v[2:3], 3, v[2:3]
	s_delay_alu instid0(VALU_DEP_2) | instskip(NEXT) | instid1(VALU_DEP_2)
	v_lshlrev_b64 v[4:5], 3, v[4:5]
	v_add_co_u32 v25, s2, s50, v2
	s_delay_alu instid0(VALU_DEP_1) | instskip(NEXT) | instid1(VALU_DEP_3)
	v_add_co_ci_u32_e64 v26, s2, s51, v3, s2
	v_add_co_u32 v27, s2, s50, v4
	s_delay_alu instid0(VALU_DEP_1)
	v_add_co_ci_u32_e64 v28, s2, s51, v5, s2
	s_branch .LBB89_74
.LBB89_73:                              ;   in Loop: Header=BB89_74 Depth=5
	s_or_b32 exec_lo, exec_lo, s59
	v_add_nc_u32_e32 v29, s23, v29
	v_add_nc_u32_e32 v24, s23, v24
	;; [unrolled: 1-line block ×4, first 2 shown]
	s_delay_alu instid0(VALU_DEP_4) | instskip(NEXT) | instid1(VALU_DEP_1)
	v_cmp_le_u32_e64 s2, s20, v29
	s_or_b32 s58, s2, s58
	s_delay_alu instid0(SALU_CYCLE_1)
	s_and_not1_b32 exec_lo, exec_lo, s58
	s_cbranch_execz .LBB89_70
.LBB89_74:                              ;   Parent Loop BB89_3 Depth=1
                                        ;     Parent Loop BB89_8 Depth=2
                                        ;       Parent Loop BB89_23 Depth=3
                                        ;         Parent Loop BB89_71 Depth=4
                                        ; =>        This Inner Loop Header: Depth=5
	v_mul_hi_u32 v4, v11, v24
	v_add_nc_u32_e32 v0, s56, v29
	s_mov_b32 s59, exec_lo
	s_delay_alu instid0(VALU_DEP_2) | instskip(NEXT) | instid1(VALU_DEP_2)
	v_not_b32_e32 v5, v4
	v_mad_u64_u32 v[2:3], null, s43, v4, v[0:1]
	s_delay_alu instid0(VALU_DEP_2) | instskip(NEXT) | instid1(VALU_DEP_2)
	v_mad_u64_u32 v[3:4], null, s20, v5, v[0:1]
	v_cmp_le_u32_e64 s2, s20, v2
	s_delay_alu instid0(VALU_DEP_1) | instskip(NEXT) | instid1(VALU_DEP_1)
	v_cndmask_b32_e64 v0, v2, v3, s2
	v_subrev_nc_u32_e32 v2, s20, v0
	v_cmp_le_u32_e64 s2, s20, v0
	s_delay_alu instid0(VALU_DEP_1) | instskip(SKIP_1) | instid1(VALU_DEP_2)
	v_cndmask_b32_e64 v2, v0, v2, s2
	v_add_nc_u32_e32 v0, v18, v29
	v_add_nc_u32_e32 v2, s55, v2
	s_delay_alu instid0(VALU_DEP_1) | instskip(NEXT) | instid1(VALU_DEP_1)
	v_max_u32_e32 v3, v0, v2
	v_cmpx_gt_u32_e64 s21, v3
	s_cbranch_execz .LBB89_73
; %bb.75:                               ;   in Loop: Header=BB89_74 Depth=5
	v_mov_b32_e32 v3, v1
	v_lshlrev_b64 v[4:5], 3, v[0:1]
	s_delay_alu instid0(VALU_DEP_2) | instskip(NEXT) | instid1(VALU_DEP_2)
	v_lshlrev_b64 v[6:7], 3, v[2:3]
	v_add_co_u32 v30, s2, v25, v4
	s_delay_alu instid0(VALU_DEP_1) | instskip(NEXT) | instid1(VALU_DEP_3)
	v_add_co_ci_u32_e64 v31, s2, v26, v5, s2
	v_add_co_u32 v32, s2, v25, v6
	s_delay_alu instid0(VALU_DEP_1)
	v_add_co_ci_u32_e64 v33, s2, v26, v7, s2
	s_clause 0x1
	global_load_b64 v[34:35], v[30:31], off
	global_load_b64 v[36:37], v[32:33], off
	ds_load_2addr_b32 v[2:3], v22 offset1:1
	ds_load_b32 v0, v23
	s_waitcnt vmcnt(1) lgkmcnt(1)
	v_mul_f32_e32 v42, v35, v2
	s_waitcnt vmcnt(0)
	v_dual_mul_f32 v38, v35, v3 :: v_dual_mul_f32 v39, v37, v2
	s_delay_alu instid0(VALU_DEP_1) | instskip(SKIP_1) | instid1(VALU_DEP_3)
	v_fma_f32 v40, v34, -v2, -v38
	v_mul_f32_e32 v41, v37, v3
	v_fmac_f32_e32 v39, v36, v3
	s_waitcnt lgkmcnt(0)
	s_delay_alu instid0(VALU_DEP_3) | instskip(NEXT) | instid1(VALU_DEP_3)
	v_fmac_f32_e32 v40, v0, v36
	v_fma_f32 v38, v36, v2, -v41
	v_fma_f32 v41, v34, v3, -v42
	v_fmac_f32_e32 v39, v0, v35
	s_delay_alu instid0(VALU_DEP_3) | instskip(NEXT) | instid1(VALU_DEP_3)
	v_fmac_f32_e32 v38, v0, v34
	v_fmac_f32_e32 v41, v0, v37
	s_clause 0x1
	global_store_b64 v[30:31], v[38:39], off
	global_store_b64 v[32:33], v[40:41], off
	s_and_b32 exec_lo, exec_lo, vcc_lo
	s_cbranch_execz .LBB89_73
; %bb.76:                               ;   in Loop: Header=BB89_74 Depth=5
	v_add_co_u32 v6, s2, v27, v6
	s_delay_alu instid0(VALU_DEP_1) | instskip(SKIP_1) | instid1(VALU_DEP_1)
	v_add_co_ci_u32_e64 v7, s2, v28, v7, s2
	v_add_co_u32 v4, s2, v27, v4
	v_add_co_ci_u32_e64 v5, s2, v28, v5, s2
	s_clause 0x1
	global_load_b64 v[30:31], v[6:7], off
	global_load_b64 v[32:33], v[4:5], off
	s_waitcnt vmcnt(0)
	v_dual_mul_f32 v34, v31, v3 :: v_dual_mul_f32 v37, v33, v2
	v_dual_mul_f32 v35, v31, v2 :: v_dual_mul_f32 v36, v33, v3
	s_delay_alu instid0(VALU_DEP_2) | instskip(NEXT) | instid1(VALU_DEP_2)
	v_fma_f32 v34, v30, v2, -v34
	v_fmac_f32_e32 v35, v30, v3
	s_delay_alu instid0(VALU_DEP_3) | instskip(SKIP_1) | instid1(VALU_DEP_4)
	v_fma_f32 v2, v32, -v2, -v36
	v_fma_f32 v3, v32, v3, -v37
	v_fmac_f32_e32 v34, v0, v32
	s_delay_alu instid0(VALU_DEP_4) | instskip(NEXT) | instid1(VALU_DEP_4)
	v_fmac_f32_e32 v35, v0, v33
	v_fmac_f32_e32 v2, v0, v30
	s_delay_alu instid0(VALU_DEP_4)
	v_fmac_f32_e32 v3, v0, v31
	s_clause 0x1
	global_store_b64 v[4:5], v[34:35], off
	global_store_b64 v[6:7], v[2:3], off
	s_branch .LBB89_73
.LBB89_77:                              ;   in Loop: Header=BB89_23 Depth=3
	s_or_b32 exec_lo, exec_lo, s3
	s_waitcnt_vscnt null, 0x0
	s_barrier
	buffer_gl0_inv
	s_and_saveexec_b32 s3, s0
	s_cbranch_execz .LBB89_22
; %bb.78:                               ;   in Loop: Header=BB89_23 Depth=3
	v_mov_b32_e32 v4, v9
	s_mov_b32 s57, 0
	s_branch .LBB89_80
.LBB89_79:                              ;   in Loop: Header=BB89_80 Depth=4
	s_or_b32 exec_lo, exec_lo, s58
	v_add_nc_u32_e32 v4, s30, v4
	s_delay_alu instid0(VALU_DEP_1) | instskip(SKIP_1) | instid1(SALU_CYCLE_1)
	v_cmp_le_u32_e32 vcc_lo, s20, v4
	s_or_b32 s57, vcc_lo, s57
	s_and_not1_b32 exec_lo, exec_lo, s57
	s_cbranch_execz .LBB89_22
.LBB89_80:                              ;   Parent Loop BB89_3 Depth=1
                                        ;     Parent Loop BB89_8 Depth=2
                                        ;       Parent Loop BB89_23 Depth=3
                                        ; =>      This Loop Header: Depth=4
                                        ;           Child Loop BB89_83 Depth 5
	s_and_saveexec_b32 s58, s1
	s_cbranch_execz .LBB89_79
; %bb.81:                               ;   in Loop: Header=BB89_80 Depth=4
	v_cmp_eq_u32_e32 vcc_lo, 0, v4
	v_mov_b32_e32 v5, v20
	v_mov_b32_e32 v6, v8
	s_mov_b32 s59, 0
	s_branch .LBB89_83
.LBB89_82:                              ;   in Loop: Header=BB89_83 Depth=5
	s_or_b32 exec_lo, exec_lo, s60
	v_add_nc_u32_e32 v6, s23, v6
	v_add_nc_u32_e32 v5, s23, v5
	s_delay_alu instid0(VALU_DEP_2) | instskip(NEXT) | instid1(VALU_DEP_1)
	v_cmp_le_u32_e64 s2, s20, v6
	s_or_b32 s59, s2, s59
	s_delay_alu instid0(SALU_CYCLE_1)
	s_and_not1_b32 exec_lo, exec_lo, s59
	s_cbranch_execz .LBB89_79
.LBB89_83:                              ;   Parent Loop BB89_3 Depth=1
                                        ;     Parent Loop BB89_8 Depth=2
                                        ;       Parent Loop BB89_23 Depth=3
                                        ;         Parent Loop BB89_80 Depth=4
                                        ; =>        This Inner Loop Header: Depth=5
	s_delay_alu instid0(VALU_DEP_2) | instskip(NEXT) | instid1(VALU_DEP_2)
	v_mul_hi_u32 v7, v11, v5
	v_add_nc_u32_e32 v0, s56, v6
	s_delay_alu instid0(VALU_DEP_2) | instskip(NEXT) | instid1(VALU_DEP_2)
	v_not_b32_e32 v23, v7
	v_mad_u64_u32 v[2:3], null, s43, v7, v[0:1]
	s_delay_alu instid0(VALU_DEP_2) | instskip(NEXT) | instid1(VALU_DEP_2)
	v_mad_u64_u32 v[21:22], null, s20, v23, v[0:1]
	v_cmp_le_u32_e64 s2, s20, v2
	s_delay_alu instid0(VALU_DEP_1) | instskip(NEXT) | instid1(VALU_DEP_1)
	v_cndmask_b32_e64 v0, v2, v21, s2
	v_subrev_nc_u32_e32 v2, s20, v0
	v_cmp_le_u32_e64 s2, s20, v0
	s_delay_alu instid0(VALU_DEP_1) | instskip(NEXT) | instid1(VALU_DEP_1)
	v_cndmask_b32_e64 v0, v0, v2, s2
	v_add_nc_u32_e32 v2, s55, v0
	s_delay_alu instid0(VALU_DEP_1) | instskip(NEXT) | instid1(VALU_DEP_1)
	v_cmp_gt_u32_e64 s2, s21, v2
	s_and_b32 s2, vcc_lo, s2
	s_delay_alu instid0(SALU_CYCLE_1)
	s_and_saveexec_b32 s60, s2
	s_cbranch_execz .LBB89_82
; %bb.84:                               ;   in Loop: Header=BB89_83 Depth=5
	v_add_nc_u32_e32 v0, v18, v6
	v_mad_u64_u32 v[21:22], null, v2, s19, 0
	s_mov_b32 s25, s24
	s_delay_alu instid0(VALU_DEP_2) | instskip(NEXT) | instid1(VALU_DEP_2)
	v_mad_u64_u32 v[23:24], null, v0, s19, 0
	v_mov_b32_e32 v3, v22
	s_delay_alu instid0(VALU_DEP_2) | instskip(NEXT) | instid1(VALU_DEP_2)
	v_mov_b32_e32 v7, v24
	v_mad_u64_u32 v[24:25], null, v2, s38, v[3:4]
	v_mov_b32_e32 v3, v1
	v_lshlrev_b64 v[27:28], 3, v[0:1]
	s_delay_alu instid0(VALU_DEP_4) | instskip(NEXT) | instid1(VALU_DEP_4)
	v_mad_u64_u32 v[25:26], null, v0, s38, v[7:8]
	v_mov_b32_e32 v22, v24
	s_delay_alu instid0(VALU_DEP_2) | instskip(NEXT) | instid1(VALU_DEP_2)
	v_mov_b32_e32 v24, v25
	v_lshlrev_b64 v[21:22], 3, v[21:22]
	v_dual_mov_b32 v26, s25 :: v_dual_mov_b32 v25, s24
	v_lshlrev_b64 v[2:3], 3, v[2:3]
	s_delay_alu instid0(VALU_DEP_4) | instskip(NEXT) | instid1(VALU_DEP_4)
	v_lshlrev_b64 v[23:24], 3, v[23:24]
	v_add_co_u32 v0, s2, s50, v21
	s_delay_alu instid0(VALU_DEP_1) | instskip(NEXT) | instid1(VALU_DEP_3)
	v_add_co_ci_u32_e64 v7, s2, s51, v22, s2
	v_add_co_u32 v23, s2, s50, v23
	s_delay_alu instid0(VALU_DEP_1) | instskip(NEXT) | instid1(VALU_DEP_4)
	v_add_co_ci_u32_e64 v24, s2, s51, v24, s2
	v_add_co_u32 v21, s2, v0, v27
	s_delay_alu instid0(VALU_DEP_1) | instskip(NEXT) | instid1(VALU_DEP_4)
	v_add_co_ci_u32_e64 v22, s2, v7, v28, s2
	v_add_co_u32 v2, s2, v23, v2
	s_delay_alu instid0(VALU_DEP_1)
	v_add_co_ci_u32_e64 v3, s2, v24, v3, s2
	s_clause 0x1
	global_store_b64 v[21:22], v[25:26], off
	global_store_b64 v[2:3], v[25:26], off
	s_branch .LBB89_82
.LBB89_85:                              ;   in Loop: Header=BB89_8 Depth=2
	s_or_b32 s2, s53, s45
	s_delay_alu instid0(SALU_CYCLE_1)
	s_and_not1_b32 vcc_lo, exec_lo, s2
	s_cbranch_vccz .LBB89_7
; %bb.86:                               ;   in Loop: Header=BB89_8 Depth=2
	s_mov_b32 s25, exec_lo
	s_waitcnt_vscnt null, 0x0
	s_barrier
	buffer_gl0_inv
	v_cmpx_lt_u32_e64 v9, v17
	s_cbranch_execz .LBB89_6
; %bb.87:                               ;   in Loop: Header=BB89_8 Depth=2
	v_cmp_lt_u32_e32 vcc_lo, v8, v17
	v_dual_mov_b32 v2, v12 :: v_dual_mov_b32 v3, v9
	s_mov_b32 s53, 0
	s_set_inst_prefetch_distance 0x1
	s_branch .LBB89_89
	.p2align	6
.LBB89_88:                              ;   in Loop: Header=BB89_89 Depth=3
	s_or_b32 exec_lo, exec_lo, s54
	v_add_nc_u32_e32 v3, s30, v3
	v_add_nc_u32_e32 v2, s47, v2
	s_delay_alu instid0(VALU_DEP_2) | instskip(NEXT) | instid1(VALU_DEP_1)
	v_cmp_ge_u32_e64 s2, v3, v17
	s_or_b32 s53, s2, s53
	s_delay_alu instid0(SALU_CYCLE_1)
	s_and_not1_b32 exec_lo, exec_lo, s53
	s_cbranch_execz .LBB89_6
.LBB89_89:                              ;   Parent Loop BB89_3 Depth=1
                                        ;     Parent Loop BB89_8 Depth=2
                                        ; =>    This Loop Header: Depth=3
                                        ;         Child Loop BB89_91 Depth 4
	s_and_saveexec_b32 s54, vcc_lo
	s_cbranch_execz .LBB89_88
; %bb.90:                               ;   in Loop: Header=BB89_89 Depth=3
	v_mov_b32_e32 v4, v8
	s_mov_b32 s55, 0
	.p2align	6
.LBB89_91:                              ;   Parent Loop BB89_3 Depth=1
                                        ;     Parent Loop BB89_8 Depth=2
                                        ;       Parent Loop BB89_89 Depth=3
                                        ; =>      This Inner Loop Header: Depth=4
	s_delay_alu instid0(VALU_DEP_1) | instskip(SKIP_1) | instid1(VALU_DEP_2)
	v_add_nc_u32_e32 v0, v2, v4
	v_add_nc_u32_e32 v4, s23, v4
	v_lshlrev_b64 v[5:6], 3, v[0:1]
	s_delay_alu instid0(VALU_DEP_1) | instskip(NEXT) | instid1(VALU_DEP_1)
	v_add_co_u32 v18, s2, s52, v5
	v_add_co_ci_u32_e64 v19, s2, s11, v6, s2
	s_delay_alu instid0(VALU_DEP_4)
	v_cmp_ge_u32_e64 s2, v4, v17
	v_add_co_u32 v5, s3, s16, v5
	flat_load_b64 v[18:19], v[18:19]
	v_add_co_ci_u32_e64 v6, s3, s17, v6, s3
	s_or_b32 s55, s2, s55
	s_waitcnt vmcnt(0) lgkmcnt(0)
	flat_store_b64 v[5:6], v[18:19]
	s_and_not1_b32 exec_lo, exec_lo, s55
	s_cbranch_execnz .LBB89_91
	s_branch .LBB89_88
.LBB89_92:
	s_nop 0
	s_sendmsg sendmsg(MSG_DEALLOC_VGPRS)
	s_endpgm
	.section	.rodata,"a",@progbits
	.p2align	6, 0x0
	.amdhsa_kernel _ZN9rocsolver6v33100L17syevj_offd_kernelI19rocblas_complex_numIfEfPS3_EEviiT1_iilT0_PT_PiS9_S9_i
		.amdhsa_group_segment_fixed_size 0
		.amdhsa_private_segment_fixed_size 0
		.amdhsa_kernarg_size 336
		.amdhsa_user_sgpr_count 14
		.amdhsa_user_sgpr_dispatch_ptr 0
		.amdhsa_user_sgpr_queue_ptr 0
		.amdhsa_user_sgpr_kernarg_segment_ptr 1
		.amdhsa_user_sgpr_dispatch_id 0
		.amdhsa_user_sgpr_private_segment_size 0
		.amdhsa_wavefront_size32 1
		.amdhsa_uses_dynamic_stack 0
		.amdhsa_enable_private_segment 0
		.amdhsa_system_sgpr_workgroup_id_x 1
		.amdhsa_system_sgpr_workgroup_id_y 0
		.amdhsa_system_sgpr_workgroup_id_z 1
		.amdhsa_system_sgpr_workgroup_info 0
		.amdhsa_system_vgpr_workitem_id 1
		.amdhsa_next_free_vgpr 45
		.amdhsa_next_free_sgpr 65
		.amdhsa_reserve_vcc 1
		.amdhsa_float_round_mode_32 0
		.amdhsa_float_round_mode_16_64 0
		.amdhsa_float_denorm_mode_32 3
		.amdhsa_float_denorm_mode_16_64 3
		.amdhsa_dx10_clamp 1
		.amdhsa_ieee_mode 1
		.amdhsa_fp16_overflow 0
		.amdhsa_workgroup_processor_mode 1
		.amdhsa_memory_ordered 1
		.amdhsa_forward_progress 0
		.amdhsa_shared_vgpr_count 0
		.amdhsa_exception_fp_ieee_invalid_op 0
		.amdhsa_exception_fp_denorm_src 0
		.amdhsa_exception_fp_ieee_div_zero 0
		.amdhsa_exception_fp_ieee_overflow 0
		.amdhsa_exception_fp_ieee_underflow 0
		.amdhsa_exception_fp_ieee_inexact 0
		.amdhsa_exception_int_div_zero 0
	.end_amdhsa_kernel
	.section	.text._ZN9rocsolver6v33100L17syevj_offd_kernelI19rocblas_complex_numIfEfPS3_EEviiT1_iilT0_PT_PiS9_S9_i,"axG",@progbits,_ZN9rocsolver6v33100L17syevj_offd_kernelI19rocblas_complex_numIfEfPS3_EEviiT1_iilT0_PT_PiS9_S9_i,comdat
.Lfunc_end89:
	.size	_ZN9rocsolver6v33100L17syevj_offd_kernelI19rocblas_complex_numIfEfPS3_EEviiT1_iilT0_PT_PiS9_S9_i, .Lfunc_end89-_ZN9rocsolver6v33100L17syevj_offd_kernelI19rocblas_complex_numIfEfPS3_EEviiT1_iilT0_PT_PiS9_S9_i
                                        ; -- End function
	.section	.AMDGPU.csdata,"",@progbits
; Kernel info:
; codeLenInByte = 6496
; NumSgprs: 67
; NumVgprs: 45
; ScratchSize: 0
; MemoryBound: 0
; FloatMode: 240
; IeeeMode: 1
; LDSByteSize: 0 bytes/workgroup (compile time only)
; SGPRBlocks: 8
; VGPRBlocks: 5
; NumSGPRsForWavesPerEU: 67
; NumVGPRsForWavesPerEU: 45
; Occupancy: 16
; WaveLimiterHint : 1
; COMPUTE_PGM_RSRC2:SCRATCH_EN: 0
; COMPUTE_PGM_RSRC2:USER_SGPR: 14
; COMPUTE_PGM_RSRC2:TRAP_HANDLER: 0
; COMPUTE_PGM_RSRC2:TGID_X_EN: 1
; COMPUTE_PGM_RSRC2:TGID_Y_EN: 0
; COMPUTE_PGM_RSRC2:TGID_Z_EN: 1
; COMPUTE_PGM_RSRC2:TIDIG_COMP_CNT: 1
	.section	.text._ZN9rocsolver6v33100L21syevj_offd_rotate_orgILb0E19rocblas_complex_numIfEfPS3_EEvbiiT2_iilPT0_PiS8_S8_,"axG",@progbits,_ZN9rocsolver6v33100L21syevj_offd_rotate_orgILb0E19rocblas_complex_numIfEfPS3_EEvbiiT2_iilPT0_PiS8_S8_,comdat
	.globl	_ZN9rocsolver6v33100L21syevj_offd_rotate_orgILb0E19rocblas_complex_numIfEfPS3_EEvbiiT2_iilPT0_PiS8_S8_ ; -- Begin function _ZN9rocsolver6v33100L21syevj_offd_rotate_orgILb0E19rocblas_complex_numIfEfPS3_EEvbiiT2_iilPT0_PiS8_S8_
	.p2align	8
	.type	_ZN9rocsolver6v33100L21syevj_offd_rotate_orgILb0E19rocblas_complex_numIfEfPS3_EEvbiiT2_iilPT0_PiS8_S8_,@function
_ZN9rocsolver6v33100L21syevj_offd_rotate_orgILb0E19rocblas_complex_numIfEfPS3_EEvbiiT2_iilPT0_PiS8_S8_: ; @_ZN9rocsolver6v33100L21syevj_offd_rotate_orgILb0E19rocblas_complex_numIfEfPS3_EEvbiiT2_iilPT0_PiS8_S8_
; %bb.0:
	s_load_b64 s[2:3], s[0:1], 0x40
	s_mov_b32 s12, s15
	s_mov_b32 s16, s13
	s_ashr_i32 s13, s15, 31
	s_delay_alu instid0(SALU_CYCLE_1)
	s_lshl_b64 s[4:5], s[12:13], 2
	s_waitcnt lgkmcnt(0)
	s_add_u32 s2, s2, s4
	s_addc_u32 s3, s3, s5
	s_load_b32 s2, s[2:3], 0x4
	s_waitcnt lgkmcnt(0)
	s_cmp_lg_u32 s2, 0
	s_cbranch_scc0 .LBB90_2
.LBB90_1:
	s_endpgm
.LBB90_2:
	s_load_b256 s[4:11], s[0:1], 0x20
	s_ashr_i32 s17, s16, 31
	s_delay_alu instid0(SALU_CYCLE_1)
	s_lshl_b64 s[2:3], s[16:17], 2
	s_waitcnt lgkmcnt(0)
	s_add_u32 s8, s8, s2
	s_addc_u32 s9, s9, s3
	s_add_u32 s2, s10, s2
	s_addc_u32 s3, s11, s3
	s_load_b32 s15, s[8:9], 0x0
	s_load_b32 s17, s[2:3], 0x0
	s_load_b128 s[8:11], s[0:1], 0x0
	s_waitcnt lgkmcnt(0)
	s_max_i32 s11, s15, s17
	s_delay_alu instid0(SALU_CYCLE_1)
	s_cmp_ge_i32 s11, s9
	s_cbranch_scc1 .LBB90_1
; %bb.3:
	s_add_u32 s2, s0, 0x48
	s_addc_u32 s3, s1, 0
	s_bitcmp1_b32 s8, 0
	s_cselect_b32 s8, -1, 0
	s_min_i32 s15, s15, s17
	s_xor_b32 s8, s8, -1
	s_delay_alu instid0(SALU_CYCLE_1)
	s_and_b32 vcc_lo, exec_lo, s8
	s_cbranch_vccnz .LBB90_5
; %bb.4:
	s_lshr_b32 s8, s14, 31
	s_delay_alu instid0(SALU_CYCLE_1) | instskip(NEXT) | instid1(SALU_CYCLE_1)
	s_add_i32 s8, s14, s8
	s_ashr_i32 s8, s8, 1
	s_delay_alu instid0(SALU_CYCLE_1) | instskip(SKIP_3) | instid1(SALU_CYCLE_1)
	s_cmp_lg_u32 s8, s15
	s_cselect_b32 s9, -1, 0
	s_cmp_lg_u32 s8, s11
	s_cselect_b32 s8, -1, 0
	s_and_b32 s8, s9, s8
.LBB90_5:
	s_delay_alu instid0(SALU_CYCLE_1)
	s_and_not1_b32 vcc_lo, exec_lo, s8
	s_cbranch_vccnz .LBB90_1
; %bb.6:
	s_load_b32 s17, s[2:3], 0xc
	v_bfe_u32 v9, v0, 10, 10
	s_waitcnt lgkmcnt(0)
	s_bfe_u32 s8, s17, 0xf0001
	s_delay_alu instid0(SALU_CYCLE_1) | instskip(NEXT) | instid1(SALU_CYCLE_1)
	s_mul_i32 s2, s15, s8
	v_dual_mov_b32 v1, s2 :: v_dual_and_b32 v8, 0x3ff, v0
	s_mul_i32 s9, s11, s8
	s_delay_alu instid0(SALU_CYCLE_1) | instskip(NEXT) | instid1(VALU_DEP_1)
	s_sub_i32 s2, s9, s8
	v_cmp_gt_u32_e32 vcc_lo, s8, v8
	s_delay_alu instid0(VALU_DEP_2) | instskip(SKIP_1) | instid1(SALU_CYCLE_1)
	v_cndmask_b32_e32 v1, s2, v1, vcc_lo
	s_lshr_b32 s2, s17, 16
	s_mul_i32 s14, s14, s2
	s_mov_b32 s2, exec_lo
	s_delay_alu instid0(VALU_DEP_1) | instskip(SKIP_1) | instid1(VALU_DEP_1)
	v_add_nc_u32_e32 v7, v1, v8
	v_add_nc_u32_e32 v0, s14, v9
	v_max_i32_e32 v1, v7, v0
	s_delay_alu instid0(VALU_DEP_1)
	v_cmpx_gt_i32_e64 s10, v1
	s_cbranch_execz .LBB90_1
; %bb.7:
	s_clause 0x1
	s_load_b32 s20, s[0:1], 0x48
	s_load_b128 s[0:3], s[0:1], 0x10
	s_mul_i32 s5, s12, s5
	s_mul_hi_u32 s18, s12, s4
	s_mul_i32 s13, s13, s4
	s_add_i32 s5, s18, s5
	s_mul_i32 s18, s12, s4
	s_add_i32 s19, s5, s13
	s_and_b32 s17, s17, 0xffff
	s_lshl_b64 s[18:19], s[18:19], 3
	s_lshl_b32 s4, s8, 1
	v_dual_mov_b32 v2, 0 :: v_dual_mov_b32 v1, 0
	s_waitcnt lgkmcnt(0)
	s_mul_i32 s5, s20, s12
	s_ashr_i32 s13, s2, 31
	s_mov_b32 s12, s2
	s_add_i32 s2, s5, s16
	s_add_u32 s5, s0, s18
	s_mul_i32 s2, s2, s8
	s_addc_u32 s16, s1, s19
	s_lshl_b64 s[0:1], s[12:13], 3
	s_mul_i32 s2, s2, s8
	s_add_u32 s0, s5, s0
	s_addc_u32 s1, s16, s1
	s_lshl_b32 s12, s2, 2
	s_delay_alu instid0(SALU_CYCLE_1) | instskip(NEXT) | instid1(SALU_CYCLE_1)
	s_ashr_i32 s13, s12, 31
	s_lshl_b64 s[12:13], s[12:13], 3
	s_delay_alu instid0(SALU_CYCLE_1)
	s_add_u32 s2, s6, s12
	s_addc_u32 s5, s7, s13
	s_cmp_lt_u32 s17, 2
	s_cbranch_scc1 .LBB90_10
; %bb.8:
	s_mul_i32 s6, s3, s15
	v_dual_mov_b32 v2, 0 :: v_dual_mov_b32 v3, v8
	s_mul_i32 s6, s6, s8
	v_dual_mov_b32 v4, 0 :: v_dual_mov_b32 v1, 0
	v_add3_u32 v5, s14, s6, v9
	s_mov_b32 s6, s8
	.p2align	6
.LBB90_9:                               ; =>This Inner Loop Header: Depth=1
	s_delay_alu instid0(VALU_DEP_1) | instskip(NEXT) | instid1(VALU_DEP_3)
	v_ashrrev_i32_e32 v6, 31, v5
	v_lshlrev_b64 v[10:11], 3, v[3:4]
	v_add_nc_u32_e32 v3, s4, v3
	s_add_i32 s6, s6, -1
	s_delay_alu instid0(SALU_CYCLE_1) | instskip(SKIP_1) | instid1(VALU_DEP_3)
	s_cmp_eq_u32 s6, 0
	v_lshlrev_b64 v[12:13], 3, v[5:6]
	v_add_co_u32 v10, vcc_lo, s2, v10
	v_add_co_ci_u32_e32 v11, vcc_lo, s5, v11, vcc_lo
	v_add_nc_u32_e32 v5, s3, v5
	s_delay_alu instid0(VALU_DEP_4)
	v_add_co_u32 v12, vcc_lo, s0, v12
	v_add_co_ci_u32_e32 v13, vcc_lo, s1, v13, vcc_lo
	global_load_b64 v[10:11], v[10:11], off
	global_load_b64 v[12:13], v[12:13], off
	s_waitcnt vmcnt(0)
	v_mul_f32_e32 v6, v13, v11
	v_mul_f32_e32 v11, v12, v11
	s_delay_alu instid0(VALU_DEP_2) | instskip(NEXT) | instid1(VALU_DEP_2)
	v_fma_f32 v6, v12, v10, -v6
	v_fmac_f32_e32 v11, v13, v10
	s_delay_alu instid0(VALU_DEP_1)
	v_dual_add_f32 v1, v1, v6 :: v_dual_add_f32 v2, v2, v11
	s_cbranch_scc0 .LBB90_9
.LBB90_10:
	s_sub_i32 s6, s10, s9
	s_delay_alu instid0(SALU_CYCLE_1) | instskip(NEXT) | instid1(SALU_CYCLE_1)
	s_min_i32 s6, s6, s8
	s_cmp_lt_i32 s6, 1
	s_cbranch_scc1 .LBB90_13
; %bb.11:
	s_mul_i32 s7, s3, s11
	s_mul_i32 s9, s8, s8
	;; [unrolled: 1-line block ×3, first 2 shown]
	v_lshl_add_u32 v3, s9, 1, v8
	v_add3_u32 v5, s14, s7, v9
	v_mov_b32_e32 v4, 0
	.p2align	6
.LBB90_12:                              ; =>This Inner Loop Header: Depth=1
	s_delay_alu instid0(VALU_DEP_2) | instskip(NEXT) | instid1(VALU_DEP_2)
	v_ashrrev_i32_e32 v6, 31, v5
	v_lshlrev_b64 v[8:9], 3, v[3:4]
	s_add_i32 s6, s6, -1
	v_add_nc_u32_e32 v3, s4, v3
	s_cmp_lg_u32 s6, 0
	v_lshlrev_b64 v[10:11], 3, v[5:6]
	v_add_nc_u32_e32 v5, s3, v5
	v_add_co_u32 v8, vcc_lo, s2, v8
	v_add_co_ci_u32_e32 v9, vcc_lo, s5, v9, vcc_lo
	s_delay_alu instid0(VALU_DEP_4)
	v_add_co_u32 v10, vcc_lo, s0, v10
	v_add_co_ci_u32_e32 v11, vcc_lo, s1, v11, vcc_lo
	global_load_b64 v[8:9], v[8:9], off
	global_load_b64 v[10:11], v[10:11], off
	s_waitcnt vmcnt(0)
	v_mul_f32_e32 v6, v11, v9
	v_mul_f32_e32 v9, v10, v9
	s_delay_alu instid0(VALU_DEP_2) | instskip(NEXT) | instid1(VALU_DEP_2)
	v_fma_f32 v6, v10, v8, -v6
	v_fmac_f32_e32 v9, v11, v8
	s_delay_alu instid0(VALU_DEP_1)
	v_dual_add_f32 v1, v1, v6 :: v_dual_add_f32 v2, v2, v9
	s_cbranch_scc1 .LBB90_12
.LBB90_13:
	s_delay_alu instid0(VALU_DEP_1) | instskip(SKIP_3) | instid1(VALU_DEP_1)
	v_mad_u64_u32 v[3:4], null, v7, s3, v[0:1]
	s_barrier
	buffer_gl0_inv
	v_ashrrev_i32_e32 v4, 31, v3
	v_lshlrev_b64 v[3:4], 3, v[3:4]
	s_delay_alu instid0(VALU_DEP_1) | instskip(NEXT) | instid1(VALU_DEP_2)
	v_add_co_u32 v3, vcc_lo, s0, v3
	v_add_co_ci_u32_e32 v4, vcc_lo, s1, v4, vcc_lo
	global_store_b64 v[3:4], v[1:2], off
	s_nop 0
	s_sendmsg sendmsg(MSG_DEALLOC_VGPRS)
	s_endpgm
	.section	.rodata,"a",@progbits
	.p2align	6, 0x0
	.amdhsa_kernel _ZN9rocsolver6v33100L21syevj_offd_rotate_orgILb0E19rocblas_complex_numIfEfPS3_EEvbiiT2_iilPT0_PiS8_S8_
		.amdhsa_group_segment_fixed_size 0
		.amdhsa_private_segment_fixed_size 0
		.amdhsa_kernarg_size 328
		.amdhsa_user_sgpr_count 13
		.amdhsa_user_sgpr_dispatch_ptr 0
		.amdhsa_user_sgpr_queue_ptr 0
		.amdhsa_user_sgpr_kernarg_segment_ptr 1
		.amdhsa_user_sgpr_dispatch_id 0
		.amdhsa_user_sgpr_private_segment_size 0
		.amdhsa_wavefront_size32 1
		.amdhsa_uses_dynamic_stack 0
		.amdhsa_enable_private_segment 0
		.amdhsa_system_sgpr_workgroup_id_x 1
		.amdhsa_system_sgpr_workgroup_id_y 1
		.amdhsa_system_sgpr_workgroup_id_z 1
		.amdhsa_system_sgpr_workgroup_info 0
		.amdhsa_system_vgpr_workitem_id 1
		.amdhsa_next_free_vgpr 14
		.amdhsa_next_free_sgpr 21
		.amdhsa_reserve_vcc 1
		.amdhsa_float_round_mode_32 0
		.amdhsa_float_round_mode_16_64 0
		.amdhsa_float_denorm_mode_32 3
		.amdhsa_float_denorm_mode_16_64 3
		.amdhsa_dx10_clamp 1
		.amdhsa_ieee_mode 1
		.amdhsa_fp16_overflow 0
		.amdhsa_workgroup_processor_mode 1
		.amdhsa_memory_ordered 1
		.amdhsa_forward_progress 0
		.amdhsa_shared_vgpr_count 0
		.amdhsa_exception_fp_ieee_invalid_op 0
		.amdhsa_exception_fp_denorm_src 0
		.amdhsa_exception_fp_ieee_div_zero 0
		.amdhsa_exception_fp_ieee_overflow 0
		.amdhsa_exception_fp_ieee_underflow 0
		.amdhsa_exception_fp_ieee_inexact 0
		.amdhsa_exception_int_div_zero 0
	.end_amdhsa_kernel
	.section	.text._ZN9rocsolver6v33100L21syevj_offd_rotate_orgILb0E19rocblas_complex_numIfEfPS3_EEvbiiT2_iilPT0_PiS8_S8_,"axG",@progbits,_ZN9rocsolver6v33100L21syevj_offd_rotate_orgILb0E19rocblas_complex_numIfEfPS3_EEvbiiT2_iilPT0_PiS8_S8_,comdat
.Lfunc_end90:
	.size	_ZN9rocsolver6v33100L21syevj_offd_rotate_orgILb0E19rocblas_complex_numIfEfPS3_EEvbiiT2_iilPT0_PiS8_S8_, .Lfunc_end90-_ZN9rocsolver6v33100L21syevj_offd_rotate_orgILb0E19rocblas_complex_numIfEfPS3_EEvbiiT2_iilPT0_PiS8_S8_
                                        ; -- End function
	.section	.AMDGPU.csdata,"",@progbits
; Kernel info:
; codeLenInByte = 928
; NumSgprs: 23
; NumVgprs: 14
; ScratchSize: 0
; MemoryBound: 0
; FloatMode: 240
; IeeeMode: 1
; LDSByteSize: 0 bytes/workgroup (compile time only)
; SGPRBlocks: 2
; VGPRBlocks: 1
; NumSGPRsForWavesPerEU: 23
; NumVGPRsForWavesPerEU: 14
; Occupancy: 16
; WaveLimiterHint : 0
; COMPUTE_PGM_RSRC2:SCRATCH_EN: 0
; COMPUTE_PGM_RSRC2:USER_SGPR: 13
; COMPUTE_PGM_RSRC2:TRAP_HANDLER: 0
; COMPUTE_PGM_RSRC2:TGID_X_EN: 1
; COMPUTE_PGM_RSRC2:TGID_Y_EN: 1
; COMPUTE_PGM_RSRC2:TGID_Z_EN: 1
; COMPUTE_PGM_RSRC2:TIDIG_COMP_CNT: 1
	.section	.text._ZN9rocsolver6v33100L17syevj_offd_rotateILb0E19rocblas_complex_numIfEfPS3_EEvbiiT2_iilPT0_PiS8_S8_i,"axG",@progbits,_ZN9rocsolver6v33100L17syevj_offd_rotateILb0E19rocblas_complex_numIfEfPS3_EEvbiiT2_iilPT0_PiS8_S8_i,comdat
	.globl	_ZN9rocsolver6v33100L17syevj_offd_rotateILb0E19rocblas_complex_numIfEfPS3_EEvbiiT2_iilPT0_PiS8_S8_i ; -- Begin function _ZN9rocsolver6v33100L17syevj_offd_rotateILb0E19rocblas_complex_numIfEfPS3_EEvbiiT2_iilPT0_PiS8_S8_i
	.p2align	8
	.type	_ZN9rocsolver6v33100L17syevj_offd_rotateILb0E19rocblas_complex_numIfEfPS3_EEvbiiT2_iilPT0_PiS8_S8_i,@function
_ZN9rocsolver6v33100L17syevj_offd_rotateILb0E19rocblas_complex_numIfEfPS3_EEvbiiT2_iilPT0_PiS8_S8_i: ; @_ZN9rocsolver6v33100L17syevj_offd_rotateILb0E19rocblas_complex_numIfEfPS3_EEvbiiT2_iilPT0_PiS8_S8_i
; %bb.0:
	s_clause 0x1
	s_load_b128 s[16:19], s[0:1], 0x0
	s_load_b32 s12, s[0:1], 0x48
	s_waitcnt lgkmcnt(0)
	s_abs_i32 s2, s17
	s_cmp_ge_u32 s15, s12
	v_cvt_f32_u32_e32 v1, s2
	s_delay_alu instid0(VALU_DEP_1) | instskip(SKIP_2) | instid1(VALU_DEP_1)
	v_rcp_iflag_f32_e32 v1, v1
	s_waitcnt_depctr 0xfff
	v_mul_f32_e32 v1, 0x4f7ffffe, v1
	v_cvt_u32_f32_e32 v1, v1
	s_delay_alu instid0(VALU_DEP_1)
	v_readfirstlane_b32 s3, v1
	s_cbranch_scc1 .LBB91_35
; %bb.1:
	s_sub_i32 s5, 0, s2
	s_add_i32 s4, s18, -1
	s_delay_alu instid0(VALU_DEP_1)
	s_mul_i32 s5, s5, s3
	s_ashr_i32 s6, s4, 31
	s_mul_hi_u32 s5, s3, s5
	s_ashr_i32 s7, s17, 31
	s_abs_i32 s4, s4
	s_add_i32 s3, s3, s5
	s_bitcmp1_b32 s16, 0
	s_mul_hi_u32 s3, s4, s3
	s_cselect_b32 s5, -1, 0
	s_mov_b32 s24, s15
	v_cndmask_b32_e64 v6, 0, 1, s5
	s_xor_b32 s15, s5, -1
	s_mul_i32 s5, s3, s2
	s_xor_b32 s6, s6, s7
	s_sub_i32 s4, s4, s5
	s_add_i32 s5, s3, 1
	s_sub_i32 s7, s4, s2
	s_cmp_ge_u32 s4, s2
	s_load_b128 s[20:23], s[0:1], 0x50
	s_cselect_b32 s3, s5, s3
	s_cselect_b32 s4, s7, s4
	s_add_i32 s5, s3, 1
	s_cmp_ge_u32 s4, s2
	s_load_b128 s[44:47], s[0:1], 0x10
	s_cselect_b32 s2, s5, s3
	s_lshl_b32 s28, s17, 1
	s_xor_b32 s2, s2, s6
	v_and_b32_e32 v1, 0x3ff, v0
	s_sub_i32 s16, s2, s6
	s_load_b64 s[2:3], s[0:1], 0x40
	s_add_i32 s26, s16, 1
	v_bfe_u32 v0, v0, 10, 10
	s_lshr_b32 s4, s26, 31
	v_lshl_add_u32 v9, v1, 3, 0
	s_add_i32 s25, s26, s4
	s_load_b256 s[4:11], s[0:1], 0x20
	s_and_b32 s0, s25, -2
	v_mov_b32_e32 v3, 0
	s_sub_i32 s0, s26, s0
	s_waitcnt lgkmcnt(0)
	s_lshr_b32 s27, s23, 16
	s_add_i32 s0, s0, s26
	s_and_b32 s23, s23, 0xffff
	s_lshr_b32 s1, s0, 31
	v_mad_u32_u24 v7, v0, s23, v1
	s_add_i32 s0, s0, s1
	s_mul_i32 s1, s28, s17
	s_ashr_i32 s29, s0, 1
	s_lshl_b32 s0, s1, 3
	s_mul_i32 s25, s1, 3
	s_add_i32 s30, s0, 0
	s_mov_b64 s[0:1], src_shared_base
	s_cmpk_lt_u32 s25, 0x2001
	s_mov_b32 s31, s1
	s_mul_i32 s1, s17, s17
	s_cselect_b32 s33, -1, 0
	s_ashr_i32 s43, s46, 31
	s_lshl_b32 s34, s1, 2
	s_cmp_lt_u32 s13, s29
	s_mul_i32 s0, s16, s17
	s_cselect_b32 s35, -1, 0
	s_sub_i32 s36, s18, s0
	s_cmp_lt_u32 s14, s26
	s_mov_b32 s42, s46
	s_cselect_b32 s38, -1, 0
	s_ashr_i32 s39, s47, 31
	s_add_u32 s40, s2, 4
	s_addc_u32 s41, s3, 0
	s_lshl_b64 s[2:3], s[42:43], 3
	v_lshlrev_b32_e32 v2, 3, v7
	s_add_u32 s42, s44, s2
	s_addc_u32 s43, s45, s3
	s_lshl_b32 s1, s1, 4
	v_cmp_gt_u32_e64 s0, s34, v7
	v_add3_u32 v8, 0, s1, v2
	s_mul_i32 s37, s27, s23
	s_mov_b32 s19, 0
	s_mov_b32 s44, s47
	s_lshl_b32 s45, s37, 3
	s_mul_i32 s46, s14, s17
	s_mul_i32 s47, s21, s17
	s_lshl_b32 s48, s27, 3
	s_lshl_b32 s49, s23, 3
	s_branch .LBB91_3
.LBB91_2:                               ;   in Loop: Header=BB91_3 Depth=1
	s_add_i32 s24, s24, s22
	s_delay_alu instid0(SALU_CYCLE_1)
	s_cmp_ge_u32 s24, s12
	s_cbranch_scc1 .LBB91_35
.LBB91_3:                               ; =>This Loop Header: Depth=1
                                        ;     Child Loop BB91_7 Depth 2
                                        ;       Child Loop BB91_11 Depth 3
                                        ;       Child Loop BB91_17 Depth 3
                                        ;         Child Loop BB91_23 Depth 4
                                        ;           Child Loop BB91_25 Depth 5
                                        ;         Child Loop BB91_29 Depth 4
                                        ;           Child Loop BB91_32 Depth 5
                                        ;             Child Loop BB91_34 Depth 6
	s_mov_b32 s25, s19
	s_delay_alu instid0(SALU_CYCLE_1) | instskip(NEXT) | instid1(SALU_CYCLE_1)
	s_lshl_b64 s[2:3], s[24:25], 2
	s_add_u32 s2, s40, s2
	s_addc_u32 s3, s41, s3
	s_load_b32 s1, s[2:3], 0x0
	s_waitcnt lgkmcnt(0)
	s_cmp_lg_u32 s1, 0
	s_cbranch_scc1 .LBB91_2
; %bb.4:                                ;   in Loop: Header=BB91_3 Depth=1
	s_and_not1_b32 vcc_lo, exec_lo, s35
	s_cbranch_vccnz .LBB91_2
; %bb.5:                                ;   in Loop: Header=BB91_3 Depth=1
	s_mul_i32 s1, s24, s5
	s_mul_hi_u32 s3, s24, s4
	s_mul_i32 s2, s24, s4
	s_add_i32 s3, s3, s1
	s_mul_i32 s25, s24, s29
	s_lshl_b64 s[2:3], s[2:3], 3
	s_mov_b32 s18, s13
	s_add_u32 s50, s42, s2
	s_addc_u32 s51, s43, s3
	s_branch .LBB91_7
.LBB91_6:                               ;   in Loop: Header=BB91_7 Depth=2
	s_add_i32 s18, s18, s20
	s_delay_alu instid0(SALU_CYCLE_1)
	s_cmp_lt_u32 s18, s29
	s_cbranch_scc0 .LBB91_2
.LBB91_7:                               ;   Parent Loop BB91_3 Depth=1
                                        ; =>  This Loop Header: Depth=2
                                        ;       Child Loop BB91_11 Depth 3
                                        ;       Child Loop BB91_17 Depth 3
                                        ;         Child Loop BB91_23 Depth 4
                                        ;           Child Loop BB91_25 Depth 5
                                        ;         Child Loop BB91_29 Depth 4
                                        ;           Child Loop BB91_32 Depth 5
                                        ;             Child Loop BB91_34 Depth 6
	s_lshl_b64 s[2:3], s[18:19], 2
	s_delay_alu instid0(SALU_CYCLE_1)
	s_add_u32 s52, s8, s2
	s_addc_u32 s53, s9, s3
	s_add_u32 s2, s10, s2
	s_addc_u32 s3, s11, s3
	s_clause 0x1
	global_load_b32 v2, v3, s[2:3]
	global_load_b32 v4, v3, s[52:53]
	s_waitcnt vmcnt(1)
	v_readfirstlane_b32 s1, v2
	s_waitcnt vmcnt(0)
	v_readfirstlane_b32 s2, v4
	s_delay_alu instid0(VALU_DEP_1) | instskip(NEXT) | instid1(SALU_CYCLE_1)
	s_max_i32 s52, s2, s1
	s_cmp_gt_i32 s52, s16
	s_cbranch_scc1 .LBB91_6
; %bb.8:                                ;   in Loop: Header=BB91_7 Depth=2
	s_add_i32 s3, s18, s25
	s_mov_b32 s55, s19
	s_mul_i32 s54, s34, s3
	s_delay_alu instid0(SALU_CYCLE_1) | instskip(NEXT) | instid1(SALU_CYCLE_1)
	s_lshl_b64 s[54:55], s[54:55], 3
	s_add_u32 s3, s6, s54
	s_addc_u32 s56, s7, s55
	s_and_not1_b32 vcc_lo, exec_lo, s33
	s_cbranch_vccnz .LBB91_13
; %bb.9:                                ;   in Loop: Header=BB91_7 Depth=2
	s_barrier
	buffer_gl0_inv
	s_and_saveexec_b32 s53, s0
	s_cbranch_execz .LBB91_12
; %bb.10:                               ;   in Loop: Header=BB91_7 Depth=2
	v_mov_b32_e32 v4, v8
	v_mov_b32_e32 v2, v7
	s_mov_b32 s54, 0
.LBB91_11:                              ;   Parent Loop BB91_3 Depth=1
                                        ;     Parent Loop BB91_7 Depth=2
                                        ; =>    This Inner Loop Header: Depth=3
	s_delay_alu instid0(VALU_DEP_1) | instskip(SKIP_1) | instid1(VALU_DEP_2)
	v_lshlrev_b64 v[10:11], 3, v[2:3]
	v_add_nc_u32_e32 v2, s37, v2
	v_add_co_u32 v10, vcc_lo, s3, v10
	s_delay_alu instid0(VALU_DEP_3) | instskip(NEXT) | instid1(VALU_DEP_3)
	v_add_co_ci_u32_e32 v11, vcc_lo, s56, v11, vcc_lo
	v_cmp_le_u32_e32 vcc_lo, s34, v2
	global_load_b64 v[10:11], v[10:11], off
	s_or_b32 s54, vcc_lo, s54
	s_waitcnt vmcnt(0)
	ds_store_b64 v4, v[10:11]
	v_add_nc_u32_e32 v4, s45, v4
	s_and_not1_b32 exec_lo, exec_lo, s54
	s_cbranch_execnz .LBB91_11
.LBB91_12:                              ;   in Loop: Header=BB91_7 Depth=2
	s_or_b32 exec_lo, exec_lo, s53
	s_waitcnt lgkmcnt(0)
	s_barrier
	buffer_gl0_inv
.LBB91_13:                              ;   in Loop: Header=BB91_7 Depth=2
	s_and_not1_b32 vcc_lo, exec_lo, s38
	s_cbranch_vccnz .LBB91_6
; %bb.14:                               ;   in Loop: Header=BB91_7 Depth=2
	s_min_i32 s53, s1, s2
	s_mul_i32 s2, s52, s17
	s_cmp_eq_u32 s16, s53
	s_mul_i32 s60, s53, s17
	s_cselect_b32 s54, s36, s17
	s_cmp_eq_u32 s16, s52
	s_mov_b32 s61, s46
	s_cselect_b32 s1, s36, s17
	s_mov_b32 s62, s14
	s_add_i32 s55, s54, s1
	s_and_b32 s1, s33, exec_lo
	s_cselect_b32 s56, s31, s56
	s_cselect_b32 s57, s30, s3
	s_sub_i32 s58, s2, s54
	v_cmp_gt_u32_e64 s1, s55, v0
	s_cmp_gt_i32 s55, 0
	s_cselect_b32 s59, -1, 0
	s_branch .LBB91_17
.LBB91_15:                              ;   in Loop: Header=BB91_17 Depth=3
	s_or_b32 exec_lo, exec_lo, s64
	s_waitcnt_vscnt null, 0x0
	s_barrier
	buffer_gl0_inv
.LBB91_16:                              ;   in Loop: Header=BB91_17 Depth=3
	s_add_i32 s62, s62, s21
	s_add_i32 s61, s61, s47
	s_cmp_lt_u32 s62, s26
	s_cbranch_scc0 .LBB91_6
.LBB91_17:                              ;   Parent Loop BB91_3 Depth=1
                                        ;     Parent Loop BB91_7 Depth=2
                                        ; =>    This Loop Header: Depth=3
                                        ;         Child Loop BB91_23 Depth 4
                                        ;           Child Loop BB91_25 Depth 5
                                        ;         Child Loop BB91_29 Depth 4
                                        ;           Child Loop BB91_32 Depth 5
                                        ;             Child Loop BB91_34 Depth 6
	v_cmp_ne_u32_e32 vcc_lo, 1, v6
	s_mov_b32 s2, s15
	s_cbranch_vccz .LBB91_19
; %bb.18:                               ;   in Loop: Header=BB91_17 Depth=3
	s_and_not1_b32 vcc_lo, exec_lo, s2
	s_cbranch_vccnz .LBB91_16
	s_branch .LBB91_20
.LBB91_19:                              ;   in Loop: Header=BB91_17 Depth=3
	s_cmp_lg_u32 s62, s53
	s_cselect_b32 s2, -1, 0
	s_cmp_lg_u32 s62, s52
	s_cselect_b32 s3, -1, 0
	s_delay_alu instid0(SALU_CYCLE_1) | instskip(NEXT) | instid1(SALU_CYCLE_1)
	s_and_b32 s2, s2, s3
	s_and_not1_b32 vcc_lo, exec_lo, s2
	s_cbranch_vccnz .LBB91_16
.LBB91_20:                              ;   in Loop: Header=BB91_17 Depth=3
	s_cmp_eq_u32 s16, s62
	s_cselect_b32 s63, s36, s17
	s_barrier
	buffer_gl0_inv
	s_and_saveexec_b32 s3, s1
	s_cbranch_execz .LBB91_26
; %bb.21:                               ;   in Loop: Header=BB91_17 Depth=3
	v_mad_u64_u32 v[4:5], null, v0, s63, v[1:2]
	v_cmp_gt_u32_e32 vcc_lo, s63, v1
	v_mov_b32_e32 v5, v0
	s_mul_i32 s64, s48, s63
	s_mov_b32 s65, 0
	s_delay_alu instid0(VALU_DEP_3)
	v_lshl_add_u32 v4, v4, 3, 0
	s_branch .LBB91_23
.LBB91_22:                              ;   in Loop: Header=BB91_23 Depth=4
	s_or_b32 exec_lo, exec_lo, s66
	v_add_nc_u32_e32 v5, s27, v5
	v_add_nc_u32_e32 v4, s64, v4
	s_delay_alu instid0(VALU_DEP_2) | instskip(NEXT) | instid1(VALU_DEP_1)
	v_cmp_le_u32_e64 s2, s55, v5
	s_or_b32 s65, s2, s65
	s_delay_alu instid0(SALU_CYCLE_1)
	s_and_not1_b32 exec_lo, exec_lo, s65
	s_cbranch_execz .LBB91_26
.LBB91_23:                              ;   Parent Loop BB91_3 Depth=1
                                        ;     Parent Loop BB91_7 Depth=2
                                        ;       Parent Loop BB91_17 Depth=3
                                        ; =>      This Loop Header: Depth=4
                                        ;           Child Loop BB91_25 Depth 5
	s_and_saveexec_b32 s66, vcc_lo
	s_cbranch_execz .LBB91_22
; %bb.24:                               ;   in Loop: Header=BB91_23 Depth=4
	v_mov_b32_e32 v2, s60
	v_cmp_gt_u32_e64 s2, s54, v5
	s_mov_b32 s67, 0
	s_delay_alu instid0(VALU_DEP_1) | instskip(NEXT) | instid1(VALU_DEP_1)
	v_cndmask_b32_e64 v2, s58, v2, s2
	v_add_nc_u32_e32 v13, v5, v2
	s_delay_alu instid0(VALU_DEP_1) | instskip(NEXT) | instid1(VALU_DEP_1)
	v_mad_u64_u32 v[10:11], null, v13, s44, 0
	v_mov_b32_e32 v2, v11
	s_delay_alu instid0(VALU_DEP_1) | instskip(SKIP_1) | instid1(VALU_DEP_2)
	v_mad_u64_u32 v[11:12], null, v13, s39, v[2:3]
	v_mov_b32_e32 v13, v1
	v_lshlrev_b64 v[11:12], 3, v[10:11]
	v_mov_b32_e32 v10, v4
	s_delay_alu instid0(VALU_DEP_2) | instskip(NEXT) | instid1(VALU_DEP_1)
	v_add_co_u32 v11, s2, s50, v11
	v_add_co_ci_u32_e64 v12, s2, s51, v12, s2
	.p2align	6
.LBB91_25:                              ;   Parent Loop BB91_3 Depth=1
                                        ;     Parent Loop BB91_7 Depth=2
                                        ;       Parent Loop BB91_17 Depth=3
                                        ;         Parent Loop BB91_23 Depth=4
                                        ; =>        This Inner Loop Header: Depth=5
	v_add_nc_u32_e32 v2, s61, v13
	v_add_nc_u32_e32 v13, s23, v13
	s_delay_alu instid0(VALU_DEP_2) | instskip(NEXT) | instid1(VALU_DEP_1)
	v_lshlrev_b64 v[14:15], 3, v[2:3]
	v_add_co_u32 v14, s2, v11, v14
	s_delay_alu instid0(VALU_DEP_1) | instskip(NEXT) | instid1(VALU_DEP_4)
	v_add_co_ci_u32_e64 v15, s2, v12, v15, s2
	v_cmp_le_u32_e64 s2, s63, v13
	global_load_b64 v[14:15], v[14:15], off
	s_or_b32 s67, s2, s67
	s_waitcnt vmcnt(0)
	ds_store_2addr_b32 v10, v14, v15 offset1:1
	v_add_nc_u32_e32 v10, s49, v10
	s_and_not1_b32 exec_lo, exec_lo, s67
	s_cbranch_execnz .LBB91_25
	s_branch .LBB91_22
.LBB91_26:                              ;   in Loop: Header=BB91_17 Depth=3
	s_or_b32 exec_lo, exec_lo, s3
	s_waitcnt lgkmcnt(0)
	s_barrier
	buffer_gl0_inv
	s_and_saveexec_b32 s64, s1
	s_cbranch_execz .LBB91_15
; %bb.27:                               ;   in Loop: Header=BB91_17 Depth=3
	v_cmp_gt_u32_e64 s2, s63, v1
	v_mov_b32_e32 v10, v0
	s_mul_i32 s65, s62, s17
	s_lshl_b32 s66, s63, 3
	s_mov_b32 s67, 0
	s_branch .LBB91_29
.LBB91_28:                              ;   in Loop: Header=BB91_29 Depth=4
	s_set_inst_prefetch_distance 0x2
	s_or_b32 exec_lo, exec_lo, s68
	v_add_nc_u32_e32 v10, s27, v10
	s_delay_alu instid0(VALU_DEP_1) | instskip(SKIP_1) | instid1(SALU_CYCLE_1)
	v_cmp_le_u32_e32 vcc_lo, s55, v10
	s_or_b32 s67, vcc_lo, s67
	s_and_not1_b32 exec_lo, exec_lo, s67
	s_cbranch_execz .LBB91_15
.LBB91_29:                              ;   Parent Loop BB91_3 Depth=1
                                        ;     Parent Loop BB91_7 Depth=2
                                        ;       Parent Loop BB91_17 Depth=3
                                        ; =>      This Loop Header: Depth=4
                                        ;           Child Loop BB91_32 Depth 5
                                        ;             Child Loop BB91_34 Depth 6
	s_and_saveexec_b32 s68, s2
	s_cbranch_execz .LBB91_28
; %bb.30:                               ;   in Loop: Header=BB91_29 Depth=4
	v_mov_b32_e32 v2, s60
	v_cmp_gt_u32_e32 vcc_lo, s54, v10
	v_mov_b32_e32 v14, v1
	s_mov_b32 s69, 0
	s_delay_alu instid0(VALU_DEP_3) | instskip(NEXT) | instid1(VALU_DEP_1)
	v_cndmask_b32_e32 v2, s58, v2, vcc_lo
	v_add_nc_u32_e32 v13, v10, v2
	s_delay_alu instid0(VALU_DEP_1) | instskip(NEXT) | instid1(VALU_DEP_1)
	v_mad_u64_u32 v[4:5], null, v13, s44, 0
	v_mov_b32_e32 v2, v5
	s_delay_alu instid0(VALU_DEP_1) | instskip(NEXT) | instid1(VALU_DEP_1)
	v_mad_u64_u32 v[11:12], null, v13, s39, v[2:3]
	v_mov_b32_e32 v5, v11
	v_mov_b32_e32 v11, v9
	s_delay_alu instid0(VALU_DEP_2) | instskip(NEXT) | instid1(VALU_DEP_1)
	v_lshlrev_b64 v[4:5], 3, v[4:5]
	v_add_co_u32 v12, vcc_lo, s50, v4
	s_delay_alu instid0(VALU_DEP_2)
	v_add_co_ci_u32_e32 v13, vcc_lo, s51, v5, vcc_lo
	s_set_inst_prefetch_distance 0x1
	s_branch .LBB91_32
	.p2align	6
.LBB91_31:                              ;   in Loop: Header=BB91_32 Depth=5
	v_add_nc_u32_e32 v2, s65, v14
	v_add_nc_u32_e32 v14, s23, v14
	;; [unrolled: 1-line block ×3, first 2 shown]
	s_delay_alu instid0(VALU_DEP_3) | instskip(NEXT) | instid1(VALU_DEP_3)
	v_lshlrev_b64 v[15:16], 3, v[2:3]
	v_cmp_le_u32_e32 vcc_lo, s63, v14
	s_or_b32 s69, vcc_lo, s69
	s_delay_alu instid0(VALU_DEP_2) | instskip(NEXT) | instid1(VALU_DEP_1)
	v_add_co_u32 v15, s3, v12, v15
	v_add_co_ci_u32_e64 v16, s3, v13, v16, s3
	global_store_b64 v[15:16], v[4:5], off
	s_and_not1_b32 exec_lo, exec_lo, s69
	s_cbranch_execz .LBB91_28
.LBB91_32:                              ;   Parent Loop BB91_3 Depth=1
                                        ;     Parent Loop BB91_7 Depth=2
                                        ;       Parent Loop BB91_17 Depth=3
                                        ;         Parent Loop BB91_29 Depth=4
                                        ; =>        This Loop Header: Depth=5
                                        ;             Child Loop BB91_34 Depth 6
	v_dual_mov_b32 v5, 0 :: v_dual_mov_b32 v4, 0
	s_and_not1_b32 vcc_lo, exec_lo, s59
	s_cbranch_vccnz .LBB91_31
; %bb.33:                               ;   in Loop: Header=BB91_32 Depth=5
	v_dual_mov_b32 v5, 0 :: v_dual_mov_b32 v2, v10
	v_mov_b32_e32 v15, v11
	s_mov_b32 s3, s55
	s_delay_alu instid0(VALU_DEP_2)
	v_mov_b32_e32 v4, v5
	.p2align	6
.LBB91_34:                              ;   Parent Loop BB91_3 Depth=1
                                        ;     Parent Loop BB91_7 Depth=2
                                        ;       Parent Loop BB91_17 Depth=3
                                        ;         Parent Loop BB91_29 Depth=4
                                        ;           Parent Loop BB91_32 Depth=5
                                        ; =>          This Inner Loop Header: Depth=6
	s_delay_alu instid0(VALU_DEP_3)
	v_lshlrev_b64 v[16:17], 3, v[2:3]
	ds_load_2addr_b32 v[18:19], v15 offset1:1
	v_add_nc_u32_e32 v15, s66, v15
	s_add_i32 s3, s3, -1
	v_add_nc_u32_e32 v2, s28, v2
	s_cmp_eq_u32 s3, 0
	v_add_co_u32 v16, vcc_lo, s57, v16
	v_add_co_ci_u32_e32 v17, vcc_lo, s56, v17, vcc_lo
	flat_load_b64 v[16:17], v[16:17]
	s_waitcnt vmcnt(0) lgkmcnt(0)
	v_mul_f32_e32 v20, v17, v19
	v_mul_f32_e32 v19, v16, v19
	s_delay_alu instid0(VALU_DEP_2) | instskip(NEXT) | instid1(VALU_DEP_1)
	v_fma_f32 v16, v16, v18, -v20
	v_dual_fmac_f32 v19, v17, v18 :: v_dual_add_f32 v4, v4, v16
	s_delay_alu instid0(VALU_DEP_1)
	v_add_f32_e32 v5, v5, v19
	s_cbranch_scc0 .LBB91_34
	s_branch .LBB91_31
.LBB91_35:
	s_endpgm
	.section	.rodata,"a",@progbits
	.p2align	6, 0x0
	.amdhsa_kernel _ZN9rocsolver6v33100L17syevj_offd_rotateILb0E19rocblas_complex_numIfEfPS3_EEvbiiT2_iilPT0_PiS8_S8_i
		.amdhsa_group_segment_fixed_size 0
		.amdhsa_private_segment_fixed_size 0
		.amdhsa_kernarg_size 336
		.amdhsa_user_sgpr_count 13
		.amdhsa_user_sgpr_dispatch_ptr 0
		.amdhsa_user_sgpr_queue_ptr 0
		.amdhsa_user_sgpr_kernarg_segment_ptr 1
		.amdhsa_user_sgpr_dispatch_id 0
		.amdhsa_user_sgpr_private_segment_size 0
		.amdhsa_wavefront_size32 1
		.amdhsa_uses_dynamic_stack 0
		.amdhsa_enable_private_segment 0
		.amdhsa_system_sgpr_workgroup_id_x 1
		.amdhsa_system_sgpr_workgroup_id_y 1
		.amdhsa_system_sgpr_workgroup_id_z 1
		.amdhsa_system_sgpr_workgroup_info 0
		.amdhsa_system_vgpr_workitem_id 1
		.amdhsa_next_free_vgpr 21
		.amdhsa_next_free_sgpr 70
		.amdhsa_reserve_vcc 1
		.amdhsa_float_round_mode_32 0
		.amdhsa_float_round_mode_16_64 0
		.amdhsa_float_denorm_mode_32 3
		.amdhsa_float_denorm_mode_16_64 3
		.amdhsa_dx10_clamp 1
		.amdhsa_ieee_mode 1
		.amdhsa_fp16_overflow 0
		.amdhsa_workgroup_processor_mode 1
		.amdhsa_memory_ordered 1
		.amdhsa_forward_progress 0
		.amdhsa_shared_vgpr_count 0
		.amdhsa_exception_fp_ieee_invalid_op 0
		.amdhsa_exception_fp_denorm_src 0
		.amdhsa_exception_fp_ieee_div_zero 0
		.amdhsa_exception_fp_ieee_overflow 0
		.amdhsa_exception_fp_ieee_underflow 0
		.amdhsa_exception_fp_ieee_inexact 0
		.amdhsa_exception_int_div_zero 0
	.end_amdhsa_kernel
	.section	.text._ZN9rocsolver6v33100L17syevj_offd_rotateILb0E19rocblas_complex_numIfEfPS3_EEvbiiT2_iilPT0_PiS8_S8_i,"axG",@progbits,_ZN9rocsolver6v33100L17syevj_offd_rotateILb0E19rocblas_complex_numIfEfPS3_EEvbiiT2_iilPT0_PiS8_S8_i,comdat
.Lfunc_end91:
	.size	_ZN9rocsolver6v33100L17syevj_offd_rotateILb0E19rocblas_complex_numIfEfPS3_EEvbiiT2_iilPT0_PiS8_S8_i, .Lfunc_end91-_ZN9rocsolver6v33100L17syevj_offd_rotateILb0E19rocblas_complex_numIfEfPS3_EEvbiiT2_iilPT0_PiS8_S8_i
                                        ; -- End function
	.section	.AMDGPU.csdata,"",@progbits
; Kernel info:
; codeLenInByte = 1712
; NumSgprs: 72
; NumVgprs: 21
; ScratchSize: 0
; MemoryBound: 0
; FloatMode: 240
; IeeeMode: 1
; LDSByteSize: 0 bytes/workgroup (compile time only)
; SGPRBlocks: 8
; VGPRBlocks: 2
; NumSGPRsForWavesPerEU: 72
; NumVGPRsForWavesPerEU: 21
; Occupancy: 16
; WaveLimiterHint : 1
; COMPUTE_PGM_RSRC2:SCRATCH_EN: 0
; COMPUTE_PGM_RSRC2:USER_SGPR: 13
; COMPUTE_PGM_RSRC2:TRAP_HANDLER: 0
; COMPUTE_PGM_RSRC2:TGID_X_EN: 1
; COMPUTE_PGM_RSRC2:TGID_Y_EN: 1
; COMPUTE_PGM_RSRC2:TGID_Z_EN: 1
; COMPUTE_PGM_RSRC2:TIDIG_COMP_CNT: 1
	.section	.text._ZN9rocsolver6v33100L21syevj_offd_rotate_orgILb1E19rocblas_complex_numIfEfPS3_EEvbiiT2_iilPT0_PiS8_S8_,"axG",@progbits,_ZN9rocsolver6v33100L21syevj_offd_rotate_orgILb1E19rocblas_complex_numIfEfPS3_EEvbiiT2_iilPT0_PiS8_S8_,comdat
	.globl	_ZN9rocsolver6v33100L21syevj_offd_rotate_orgILb1E19rocblas_complex_numIfEfPS3_EEvbiiT2_iilPT0_PiS8_S8_ ; -- Begin function _ZN9rocsolver6v33100L21syevj_offd_rotate_orgILb1E19rocblas_complex_numIfEfPS3_EEvbiiT2_iilPT0_PiS8_S8_
	.p2align	8
	.type	_ZN9rocsolver6v33100L21syevj_offd_rotate_orgILb1E19rocblas_complex_numIfEfPS3_EEvbiiT2_iilPT0_PiS8_S8_,@function
_ZN9rocsolver6v33100L21syevj_offd_rotate_orgILb1E19rocblas_complex_numIfEfPS3_EEvbiiT2_iilPT0_PiS8_S8_: ; @_ZN9rocsolver6v33100L21syevj_offd_rotate_orgILb1E19rocblas_complex_numIfEfPS3_EEvbiiT2_iilPT0_PiS8_S8_
; %bb.0:
	s_load_b64 s[2:3], s[0:1], 0x40
	s_mov_b32 s12, s15
	s_mov_b32 s16, s13
	s_ashr_i32 s13, s15, 31
	s_delay_alu instid0(SALU_CYCLE_1)
	s_lshl_b64 s[4:5], s[12:13], 2
	s_waitcnt lgkmcnt(0)
	s_add_u32 s2, s2, s4
	s_addc_u32 s3, s3, s5
	s_load_b32 s2, s[2:3], 0x4
	s_waitcnt lgkmcnt(0)
	s_cmp_lg_u32 s2, 0
	s_cbranch_scc0 .LBB92_2
.LBB92_1:
	s_endpgm
.LBB92_2:
	s_load_b256 s[4:11], s[0:1], 0x20
	s_ashr_i32 s17, s16, 31
	s_delay_alu instid0(SALU_CYCLE_1)
	s_lshl_b64 s[2:3], s[16:17], 2
	s_waitcnt lgkmcnt(0)
	s_add_u32 s8, s8, s2
	s_addc_u32 s9, s9, s3
	s_add_u32 s2, s10, s2
	s_addc_u32 s3, s11, s3
	s_load_b32 s17, s[8:9], 0x0
	s_load_b32 s18, s[2:3], 0x0
	s_load_b128 s[8:11], s[0:1], 0x0
	s_waitcnt lgkmcnt(0)
	s_max_i32 s15, s17, s18
	s_delay_alu instid0(SALU_CYCLE_1)
	s_cmp_ge_i32 s15, s9
	s_cbranch_scc1 .LBB92_1
; %bb.3:
	s_add_u32 s2, s0, 0x48
	s_addc_u32 s3, s1, 0
	s_bitcmp1_b32 s8, 0
	s_cselect_b32 s8, -1, 0
	s_min_i32 s11, s17, s18
	s_xor_b32 s8, s8, -1
	s_delay_alu instid0(SALU_CYCLE_1)
	s_and_b32 vcc_lo, exec_lo, s8
	s_cbranch_vccnz .LBB92_5
; %bb.4:
	s_lshr_b32 s8, s14, 31
	s_delay_alu instid0(SALU_CYCLE_1) | instskip(NEXT) | instid1(SALU_CYCLE_1)
	s_add_i32 s8, s14, s8
	s_ashr_i32 s8, s8, 1
	s_delay_alu instid0(SALU_CYCLE_1) | instskip(SKIP_3) | instid1(SALU_CYCLE_1)
	s_cmp_lg_u32 s8, s11
	s_cselect_b32 s9, -1, 0
	s_cmp_lg_u32 s8, s15
	s_cselect_b32 s8, -1, 0
	s_and_b32 s8, s9, s8
.LBB92_5:
	s_delay_alu instid0(SALU_CYCLE_1)
	s_and_not1_b32 vcc_lo, exec_lo, s8
	s_cbranch_vccnz .LBB92_1
; %bb.6:
	s_load_b32 s17, s[2:3], 0xc
	v_and_b32_e32 v7, 0x3ff, v0
	v_bfe_u32 v2, v0, 10, 10
	s_waitcnt lgkmcnt(0)
	s_bfe_u32 s8, s17, 0xf0001
	s_lshr_b32 s2, s17, 16
	s_mul_i32 s11, s11, s8
	v_cmp_gt_u32_e32 vcc_lo, s8, v7
	v_mov_b32_e32 v1, s11
	s_mul_i32 s9, s15, s8
	s_delay_alu instid0(SALU_CYCLE_1)
	s_sub_i32 s3, s9, s8
	s_delay_alu instid0(VALU_DEP_1) | instid1(SALU_CYCLE_1)
	v_cndmask_b32_e32 v3, s3, v1, vcc_lo
	s_delay_alu instid0(VALU_DEP_1) | instskip(SKIP_2) | instid1(VALU_DEP_1)
	v_add_nc_u32_e32 v6, v3, v7
	v_mad_u64_u32 v[0:1], null, s14, s2, v[2:3]
	s_mov_b32 s2, exec_lo
	v_max_i32_e32 v1, v6, v0
	s_delay_alu instid0(VALU_DEP_1)
	v_cmpx_gt_i32_e64 s10, v1
	s_cbranch_execz .LBB92_1
; %bb.7:
	s_clause 0x1
	s_load_b32 s18, s[0:1], 0x48
	s_load_b128 s[0:3], s[0:1], 0x10
	s_mul_i32 s5, s12, s5
	s_mul_hi_u32 s14, s12, s4
	s_mul_i32 s13, s13, s4
	s_add_i32 s5, s14, s5
	s_mul_i32 s14, s12, s4
	s_add_i32 s15, s5, s13
	s_and_b32 s17, s17, 0xffff
	s_lshl_b64 s[14:15], s[14:15], 3
	s_lshl_b32 s4, s8, 1
	s_waitcnt lgkmcnt(0)
	s_mul_i32 s5, s18, s12
	s_ashr_i32 s13, s2, 31
	s_mov_b32 s12, s2
	s_add_i32 s2, s5, s16
	s_add_u32 s5, s0, s14
	s_mul_i32 s2, s2, s8
	s_addc_u32 s14, s1, s15
	s_lshl_b64 s[0:1], s[12:13], 3
	s_mul_i32 s2, s2, s8
	s_add_u32 s0, s5, s0
	s_addc_u32 s1, s14, s1
	s_lshl_b32 s12, s2, 2
	v_mul_lo_u32 v9, v0, s3
	s_ashr_i32 s13, s12, 31
	s_delay_alu instid0(SALU_CYCLE_1) | instskip(NEXT) | instid1(SALU_CYCLE_1)
	s_lshl_b64 s[12:13], s[12:13], 3
	s_add_u32 s2, s6, s12
	s_addc_u32 s5, s7, s13
	s_cmp_gt_u32 s17, 1
	s_cbranch_scc0 .LBB92_11
; %bb.8:
	v_mul_lo_u32 v8, v0, s3
	v_dual_mov_b32 v1, 0 :: v_dual_mov_b32 v2, v7
	v_dual_mov_b32 v3, 0 :: v_dual_mov_b32 v0, 0
	s_mov_b32 s3, s8
	s_delay_alu instid0(VALU_DEP_3)
	v_add_nc_u32_e32 v4, s11, v8
	.p2align	6
.LBB92_9:                               ; =>This Inner Loop Header: Depth=1
	s_delay_alu instid0(VALU_DEP_1) | instskip(NEXT) | instid1(VALU_DEP_3)
	v_ashrrev_i32_e32 v5, 31, v4
	v_lshlrev_b64 v[10:11], 3, v[2:3]
	s_add_i32 s3, s3, -1
	v_add_nc_u32_e32 v2, s4, v2
	s_cmp_eq_u32 s3, 0
	v_lshlrev_b64 v[12:13], 3, v[4:5]
	s_delay_alu instid0(VALU_DEP_3) | instskip(SKIP_1) | instid1(VALU_DEP_3)
	v_add_co_u32 v10, vcc_lo, s2, v10
	v_add_co_ci_u32_e32 v11, vcc_lo, s5, v11, vcc_lo
	v_add_co_u32 v12, vcc_lo, s0, v12
	s_delay_alu instid0(VALU_DEP_4) | instskip(SKIP_4) | instid1(VALU_DEP_1)
	v_add_co_ci_u32_e32 v13, vcc_lo, s1, v13, vcc_lo
	global_load_b64 v[10:11], v[10:11], off
	global_load_b64 v[12:13], v[12:13], off
	s_waitcnt vmcnt(0)
	v_mul_f32_e32 v5, v11, v13
	v_fmac_f32_e32 v5, v10, v12
	s_delay_alu instid0(VALU_DEP_1) | instskip(NEXT) | instid1(VALU_DEP_1)
	v_dual_mul_f32 v11, v11, v12 :: v_dual_add_f32 v0, v0, v5
	v_fma_f32 v10, v10, v13, -v11
	s_delay_alu instid0(VALU_DEP_1)
	v_dual_add_f32 v1, v1, v10 :: v_dual_add_nc_u32 v4, 1, v4
	s_cbranch_scc0 .LBB92_9
; %bb.10:
	s_mov_b32 s3, 0
	s_branch .LBB92_12
.LBB92_11:
	s_mov_b32 s3, -1
                                        ; implicit-def: $vgpr1
                                        ; implicit-def: $vgpr8
.LBB92_12:
	s_delay_alu instid0(SALU_CYCLE_1)
	s_and_b32 vcc_lo, exec_lo, s3
	s_cbranch_vccz .LBB92_14
; %bb.13:
	v_dual_mov_b32 v0, 0 :: v_dual_mov_b32 v1, 0
	v_mov_b32_e32 v8, v9
.LBB92_14:
	s_sub_i32 s3, s10, s9
	s_delay_alu instid0(SALU_CYCLE_1) | instskip(NEXT) | instid1(SALU_CYCLE_1)
	s_min_i32 s3, s3, s8
	s_cmp_lt_i32 s3, 1
	s_cbranch_scc1 .LBB92_17
; %bb.15:
	s_mul_i32 s8, s8, s8
	v_dual_mov_b32 v5, 0 :: v_dual_add_nc_u32 v2, s9, v8
	v_lshl_add_u32 v4, s8, 1, v7
	.p2align	6
.LBB92_16:                              ; =>This Inner Loop Header: Depth=1
	s_delay_alu instid0(VALU_DEP_2) | instskip(NEXT) | instid1(VALU_DEP_2)
	v_ashrrev_i32_e32 v3, 31, v2
	v_lshlrev_b64 v[9:10], 3, v[4:5]
	s_add_i32 s3, s3, -1
	v_add_nc_u32_e32 v4, s4, v4
	s_cmp_lg_u32 s3, 0
	v_lshlrev_b64 v[11:12], 3, v[2:3]
	v_add_nc_u32_e32 v2, 1, v2
	v_add_co_u32 v9, vcc_lo, s2, v9
	v_add_co_ci_u32_e32 v10, vcc_lo, s5, v10, vcc_lo
	s_delay_alu instid0(VALU_DEP_4)
	v_add_co_u32 v11, vcc_lo, s0, v11
	v_add_co_ci_u32_e32 v12, vcc_lo, s1, v12, vcc_lo
	global_load_b64 v[9:10], v[9:10], off
	global_load_b64 v[11:12], v[11:12], off
	s_waitcnt vmcnt(0)
	v_mul_f32_e32 v3, v10, v12
	v_mul_f32_e32 v7, v10, v11
	s_delay_alu instid0(VALU_DEP_2) | instskip(NEXT) | instid1(VALU_DEP_2)
	v_fmac_f32_e32 v3, v9, v11
	v_fma_f32 v7, v9, v12, -v7
	s_delay_alu instid0(VALU_DEP_2) | instskip(NEXT) | instid1(VALU_DEP_2)
	v_add_f32_e32 v0, v0, v3
	v_add_f32_e32 v1, v1, v7
	s_cbranch_scc1 .LBB92_16
.LBB92_17:
	v_add_nc_u32_e32 v2, v6, v8
	s_barrier
	buffer_gl0_inv
	v_ashrrev_i32_e32 v3, 31, v2
	s_delay_alu instid0(VALU_DEP_1) | instskip(NEXT) | instid1(VALU_DEP_1)
	v_lshlrev_b64 v[2:3], 3, v[2:3]
	v_add_co_u32 v2, vcc_lo, s0, v2
	s_delay_alu instid0(VALU_DEP_2)
	v_add_co_ci_u32_e32 v3, vcc_lo, s1, v3, vcc_lo
	global_store_b64 v[2:3], v[0:1], off
	s_nop 0
	s_sendmsg sendmsg(MSG_DEALLOC_VGPRS)
	s_endpgm
	.section	.rodata,"a",@progbits
	.p2align	6, 0x0
	.amdhsa_kernel _ZN9rocsolver6v33100L21syevj_offd_rotate_orgILb1E19rocblas_complex_numIfEfPS3_EEvbiiT2_iilPT0_PiS8_S8_
		.amdhsa_group_segment_fixed_size 0
		.amdhsa_private_segment_fixed_size 0
		.amdhsa_kernarg_size 328
		.amdhsa_user_sgpr_count 13
		.amdhsa_user_sgpr_dispatch_ptr 0
		.amdhsa_user_sgpr_queue_ptr 0
		.amdhsa_user_sgpr_kernarg_segment_ptr 1
		.amdhsa_user_sgpr_dispatch_id 0
		.amdhsa_user_sgpr_private_segment_size 0
		.amdhsa_wavefront_size32 1
		.amdhsa_uses_dynamic_stack 0
		.amdhsa_enable_private_segment 0
		.amdhsa_system_sgpr_workgroup_id_x 1
		.amdhsa_system_sgpr_workgroup_id_y 1
		.amdhsa_system_sgpr_workgroup_id_z 1
		.amdhsa_system_sgpr_workgroup_info 0
		.amdhsa_system_vgpr_workitem_id 1
		.amdhsa_next_free_vgpr 14
		.amdhsa_next_free_sgpr 19
		.amdhsa_reserve_vcc 1
		.amdhsa_float_round_mode_32 0
		.amdhsa_float_round_mode_16_64 0
		.amdhsa_float_denorm_mode_32 3
		.amdhsa_float_denorm_mode_16_64 3
		.amdhsa_dx10_clamp 1
		.amdhsa_ieee_mode 1
		.amdhsa_fp16_overflow 0
		.amdhsa_workgroup_processor_mode 1
		.amdhsa_memory_ordered 1
		.amdhsa_forward_progress 0
		.amdhsa_shared_vgpr_count 0
		.amdhsa_exception_fp_ieee_invalid_op 0
		.amdhsa_exception_fp_denorm_src 0
		.amdhsa_exception_fp_ieee_div_zero 0
		.amdhsa_exception_fp_ieee_overflow 0
		.amdhsa_exception_fp_ieee_underflow 0
		.amdhsa_exception_fp_ieee_inexact 0
		.amdhsa_exception_int_div_zero 0
	.end_amdhsa_kernel
	.section	.text._ZN9rocsolver6v33100L21syevj_offd_rotate_orgILb1E19rocblas_complex_numIfEfPS3_EEvbiiT2_iilPT0_PiS8_S8_,"axG",@progbits,_ZN9rocsolver6v33100L21syevj_offd_rotate_orgILb1E19rocblas_complex_numIfEfPS3_EEvbiiT2_iilPT0_PiS8_S8_,comdat
.Lfunc_end92:
	.size	_ZN9rocsolver6v33100L21syevj_offd_rotate_orgILb1E19rocblas_complex_numIfEfPS3_EEvbiiT2_iilPT0_PiS8_S8_, .Lfunc_end92-_ZN9rocsolver6v33100L21syevj_offd_rotate_orgILb1E19rocblas_complex_numIfEfPS3_EEvbiiT2_iilPT0_PiS8_S8_
                                        ; -- End function
	.section	.AMDGPU.csdata,"",@progbits
; Kernel info:
; codeLenInByte = 940
; NumSgprs: 21
; NumVgprs: 14
; ScratchSize: 0
; MemoryBound: 0
; FloatMode: 240
; IeeeMode: 1
; LDSByteSize: 0 bytes/workgroup (compile time only)
; SGPRBlocks: 2
; VGPRBlocks: 1
; NumSGPRsForWavesPerEU: 21
; NumVGPRsForWavesPerEU: 14
; Occupancy: 16
; WaveLimiterHint : 0
; COMPUTE_PGM_RSRC2:SCRATCH_EN: 0
; COMPUTE_PGM_RSRC2:USER_SGPR: 13
; COMPUTE_PGM_RSRC2:TRAP_HANDLER: 0
; COMPUTE_PGM_RSRC2:TGID_X_EN: 1
; COMPUTE_PGM_RSRC2:TGID_Y_EN: 1
; COMPUTE_PGM_RSRC2:TGID_Z_EN: 1
; COMPUTE_PGM_RSRC2:TIDIG_COMP_CNT: 1
	.section	.text._ZN9rocsolver6v33100L17syevj_offd_rotateILb1E19rocblas_complex_numIfEfPS3_EEvbiiT2_iilPT0_PiS8_S8_i,"axG",@progbits,_ZN9rocsolver6v33100L17syevj_offd_rotateILb1E19rocblas_complex_numIfEfPS3_EEvbiiT2_iilPT0_PiS8_S8_i,comdat
	.globl	_ZN9rocsolver6v33100L17syevj_offd_rotateILb1E19rocblas_complex_numIfEfPS3_EEvbiiT2_iilPT0_PiS8_S8_i ; -- Begin function _ZN9rocsolver6v33100L17syevj_offd_rotateILb1E19rocblas_complex_numIfEfPS3_EEvbiiT2_iilPT0_PiS8_S8_i
	.p2align	8
	.type	_ZN9rocsolver6v33100L17syevj_offd_rotateILb1E19rocblas_complex_numIfEfPS3_EEvbiiT2_iilPT0_PiS8_S8_i,@function
_ZN9rocsolver6v33100L17syevj_offd_rotateILb1E19rocblas_complex_numIfEfPS3_EEvbiiT2_iilPT0_PiS8_S8_i: ; @_ZN9rocsolver6v33100L17syevj_offd_rotateILb1E19rocblas_complex_numIfEfPS3_EEvbiiT2_iilPT0_PiS8_S8_i
; %bb.0:
	s_clause 0x1
	s_load_b128 s[16:19], s[0:1], 0x0
	s_load_b32 s3, s[0:1], 0x48
	s_waitcnt lgkmcnt(0)
	s_abs_i32 s2, s17
	s_cmp_ge_u32 s15, s3
	v_cvt_f32_u32_e32 v1, s2
	s_delay_alu instid0(VALU_DEP_1) | instskip(SKIP_2) | instid1(VALU_DEP_1)
	v_rcp_iflag_f32_e32 v1, v1
	s_waitcnt_depctr 0xfff
	v_mul_f32_e32 v1, 0x4f7ffffe, v1
	v_cvt_u32_f32_e32 v1, v1
	s_delay_alu instid0(VALU_DEP_1)
	v_readfirstlane_b32 s4, v1
	s_cbranch_scc1 .LBB93_35
; %bb.1:
	s_sub_i32 s6, 0, s2
	s_add_i32 s5, s18, -1
	s_delay_alu instid0(VALU_DEP_1)
	s_mul_i32 s6, s6, s4
	s_ashr_i32 s7, s5, 31
	s_mul_hi_u32 s6, s4, s6
	s_ashr_i32 s8, s17, 31
	s_abs_i32 s5, s5
	s_add_i32 s4, s4, s6
	s_bitcmp1_b32 s16, 0
	s_mul_hi_u32 s4, s5, s4
	s_cselect_b32 s6, -1, 0
	s_xor_b32 s7, s7, s8
	v_cndmask_b32_e64 v7, 0, 1, s6
	s_xor_b32 s12, s6, -1
	s_mul_i32 s6, s4, s2
	s_mov_b32 s24, s15
	s_sub_i32 s5, s5, s6
	s_add_i32 s6, s4, 1
	s_sub_i32 s8, s5, s2
	s_cmp_ge_u32 s5, s2
	s_clause 0x1
	s_load_b128 s[20:23], s[0:1], 0x50
	s_load_b64 s[40:41], s[0:1], 0x40
	s_cselect_b32 s4, s6, s4
	s_cselect_b32 s5, s8, s5
	s_add_i32 s6, s4, 1
	s_cmp_ge_u32 s5, s2
	s_load_b128 s[44:47], s[0:1], 0x10
	s_cselect_b32 s2, s6, s4
	s_lshl_b32 s27, s17, 1
	s_xor_b32 s2, s2, s7
	v_and_b32_e32 v1, 0x3ff, v0
	s_sub_i32 s15, s2, s7
	s_load_b256 s[4:11], s[0:1], 0x20
	s_add_i32 s16, s15, 1
	v_bfe_u32 v0, v0, 10, 10
	s_lshr_b32 s2, s16, 31
	v_mov_b32_e32 v3, 0
	s_add_i32 s2, s16, s2
	s_mov_b32 s19, 0
	s_and_b32 s0, s2, -2
	s_waitcnt lgkmcnt(0)
	s_lshr_b32 s26, s23, 16
	s_sub_i32 s0, s16, s0
	s_and_b32 s23, s23, 0xffff
	s_add_i32 s0, s0, s16
	v_mad_u32_u24 v8, v0, s23, v1
	s_lshr_b32 s1, s0, 31
	s_mov_b32 s42, s46
	s_add_i32 s0, s0, s1
	s_mul_i32 s1, s27, s17
	s_ashr_i32 s28, s0, 1
	s_lshl_b32 s0, s1, 3
	s_mul_i32 s2, s1, 3
	s_add_i32 s29, s0, 0
	s_mov_b64 s[0:1], src_shared_base
	s_cmpk_lt_u32 s2, 0x2001
	s_mov_b32 s30, s1
	s_mul_i32 s1, s17, s17
	s_cselect_b32 s31, -1, 0
	s_ashr_i32 s43, s46, 31
	s_lshl_b32 s33, s1, 2
	s_cmp_lt_u32 s13, s28
	s_mul_i32 s0, s15, s17
	s_cselect_b32 s34, -1, 0
	s_sub_i32 s35, s18, s0
	s_cmp_lt_u32 s14, s16
	v_lshlrev_b32_e32 v2, 3, v8
	s_cselect_b32 s37, -1, 0
	s_ashr_i32 s38, s47, 31
	s_add_u32 s39, s40, 4
	s_addc_u32 s40, s41, 0
	s_lshl_b64 s[42:43], s[42:43], 3
	v_cmp_gt_u32_e64 s0, s33, v8
	s_add_u32 s41, s44, s42
	s_addc_u32 s42, s45, s43
	s_lshl_b32 s1, s1, 4
	v_lshlrev_b32_e32 v10, 3, v0
	v_add3_u32 v9, 0, s1, v2
	s_mul_i32 s36, s26, s23
	s_mov_b32 s43, s47
	s_lshl_b32 s44, s36, 3
	s_lshl_b32 s45, s26, 3
	;; [unrolled: 1-line block ×3, first 2 shown]
	s_branch .LBB93_3
.LBB93_2:                               ;   in Loop: Header=BB93_3 Depth=1
	s_add_i32 s24, s24, s22
	s_delay_alu instid0(SALU_CYCLE_1)
	s_cmp_ge_u32 s24, s3
	s_cbranch_scc1 .LBB93_35
.LBB93_3:                               ; =>This Loop Header: Depth=1
                                        ;     Child Loop BB93_7 Depth 2
                                        ;       Child Loop BB93_11 Depth 3
                                        ;       Child Loop BB93_17 Depth 3
                                        ;         Child Loop BB93_23 Depth 4
                                        ;           Child Loop BB93_25 Depth 5
                                        ;         Child Loop BB93_29 Depth 4
                                        ;           Child Loop BB93_32 Depth 5
                                        ;             Child Loop BB93_34 Depth 6
	s_mov_b32 s25, s19
	s_delay_alu instid0(SALU_CYCLE_1) | instskip(NEXT) | instid1(SALU_CYCLE_1)
	s_lshl_b64 s[48:49], s[24:25], 2
	s_add_u32 s48, s39, s48
	s_addc_u32 s49, s40, s49
	s_load_b32 s1, s[48:49], 0x0
	s_waitcnt lgkmcnt(0)
	s_cmp_lg_u32 s1, 0
	s_cbranch_scc1 .LBB93_2
; %bb.4:                                ;   in Loop: Header=BB93_3 Depth=1
	s_and_not1_b32 vcc_lo, exec_lo, s34
	s_cbranch_vccnz .LBB93_2
; %bb.5:                                ;   in Loop: Header=BB93_3 Depth=1
	s_mul_i32 s1, s24, s5
	s_mul_hi_u32 s2, s24, s4
	s_mul_i32 s48, s24, s4
	s_add_i32 s49, s2, s1
	s_mul_i32 s25, s24, s28
	s_lshl_b64 s[48:49], s[48:49], 3
	s_mov_b32 s18, s13
	s_add_u32 s47, s41, s48
	s_addc_u32 s48, s42, s49
	s_branch .LBB93_7
.LBB93_6:                               ;   in Loop: Header=BB93_7 Depth=2
	s_add_i32 s18, s18, s20
	s_delay_alu instid0(SALU_CYCLE_1)
	s_cmp_lt_u32 s18, s28
	s_cbranch_scc0 .LBB93_2
.LBB93_7:                               ;   Parent Loop BB93_3 Depth=1
                                        ; =>  This Loop Header: Depth=2
                                        ;       Child Loop BB93_11 Depth 3
                                        ;       Child Loop BB93_17 Depth 3
                                        ;         Child Loop BB93_23 Depth 4
                                        ;           Child Loop BB93_25 Depth 5
                                        ;         Child Loop BB93_29 Depth 4
                                        ;           Child Loop BB93_32 Depth 5
                                        ;             Child Loop BB93_34 Depth 6
	s_lshl_b64 s[50:51], s[18:19], 2
	s_delay_alu instid0(SALU_CYCLE_1)
	s_add_u32 s52, s8, s50
	s_addc_u32 s53, s9, s51
	s_add_u32 s50, s10, s50
	s_addc_u32 s51, s11, s51
	s_clause 0x1
	global_load_b32 v2, v3, s[50:51]
	global_load_b32 v4, v3, s[52:53]
	s_waitcnt vmcnt(1)
	v_readfirstlane_b32 s50, v2
	s_waitcnt vmcnt(0)
	v_readfirstlane_b32 s51, v4
	s_delay_alu instid0(VALU_DEP_1) | instskip(NEXT) | instid1(SALU_CYCLE_1)
	s_max_i32 s49, s51, s50
	s_cmp_gt_i32 s49, s15
	s_cbranch_scc1 .LBB93_6
; %bb.8:                                ;   in Loop: Header=BB93_7 Depth=2
	s_add_i32 s1, s18, s25
	s_mov_b32 s53, s19
	s_mul_i32 s52, s33, s1
	s_delay_alu instid0(SALU_CYCLE_1) | instskip(NEXT) | instid1(SALU_CYCLE_1)
	s_lshl_b64 s[52:53], s[52:53], 3
	s_add_u32 s1, s6, s52
	s_addc_u32 s2, s7, s53
	s_and_not1_b32 vcc_lo, exec_lo, s31
	s_cbranch_vccnz .LBB93_13
; %bb.9:                                ;   in Loop: Header=BB93_7 Depth=2
	s_barrier
	buffer_gl0_inv
	s_and_saveexec_b32 s52, s0
	s_cbranch_execz .LBB93_12
; %bb.10:                               ;   in Loop: Header=BB93_7 Depth=2
	v_mov_b32_e32 v4, v9
	v_mov_b32_e32 v2, v8
	s_mov_b32 s53, 0
.LBB93_11:                              ;   Parent Loop BB93_3 Depth=1
                                        ;     Parent Loop BB93_7 Depth=2
                                        ; =>    This Inner Loop Header: Depth=3
	s_delay_alu instid0(VALU_DEP_1) | instskip(SKIP_1) | instid1(VALU_DEP_2)
	v_lshlrev_b64 v[5:6], 3, v[2:3]
	v_add_nc_u32_e32 v2, s36, v2
	v_add_co_u32 v5, vcc_lo, s1, v5
	s_delay_alu instid0(VALU_DEP_3) | instskip(NEXT) | instid1(VALU_DEP_3)
	v_add_co_ci_u32_e32 v6, vcc_lo, s2, v6, vcc_lo
	v_cmp_le_u32_e32 vcc_lo, s33, v2
	global_load_b64 v[5:6], v[5:6], off
	s_or_b32 s53, vcc_lo, s53
	s_waitcnt vmcnt(0)
	ds_store_b64 v4, v[5:6]
	v_add_nc_u32_e32 v4, s44, v4
	s_and_not1_b32 exec_lo, exec_lo, s53
	s_cbranch_execnz .LBB93_11
.LBB93_12:                              ;   in Loop: Header=BB93_7 Depth=2
	s_or_b32 exec_lo, exec_lo, s52
	s_waitcnt lgkmcnt(0)
	s_barrier
	buffer_gl0_inv
.LBB93_13:                              ;   in Loop: Header=BB93_7 Depth=2
	s_and_not1_b32 vcc_lo, exec_lo, s37
	s_cbranch_vccnz .LBB93_6
; %bb.14:                               ;   in Loop: Header=BB93_7 Depth=2
	s_min_i32 s50, s50, s51
	s_mov_b32 s56, s19
	s_cmp_eq_u32 s15, s50
	s_mul_i32 s55, s49, s17
	s_cselect_b32 s51, s35, s17
	s_cmp_eq_u32 s15, s49
	s_mov_b32 s59, s14
	s_cselect_b32 s52, s35, s17
	s_delay_alu instid0(SALU_CYCLE_1)
	s_add_i32 s52, s51, s52
	s_and_b32 s53, s31, exec_lo
	v_mad_u64_u32 v[11:12], null, v0, s52, v[1:2]
	v_mad_u64_u32 v[4:5], null, v10, s52, s[56:57]
	s_cselect_b32 s53, s30, s2
	s_cselect_b32 s54, s29, s1
	v_cmp_gt_u32_e64 s1, s52, v1
	s_sub_i32 s55, s55, s51
	s_delay_alu instid0(VALU_DEP_3)
	v_lshl_add_u32 v11, v11, 3, 0
	s_cmp_gt_i32 s52, 0
	s_mul_i32 s57, s50, s17
	s_cselect_b32 s56, -1, 0
	s_mul_i32 s58, s45, s52
	s_branch .LBB93_17
.LBB93_15:                              ;   in Loop: Header=BB93_17 Depth=3
	s_or_b32 exec_lo, exec_lo, s62
	s_waitcnt_vscnt null, 0x0
	s_barrier
	buffer_gl0_inv
.LBB93_16:                              ;   in Loop: Header=BB93_17 Depth=3
	s_add_i32 s59, s59, s21
	s_delay_alu instid0(SALU_CYCLE_1)
	s_cmp_lt_u32 s59, s16
	s_cbranch_scc0 .LBB93_6
.LBB93_17:                              ;   Parent Loop BB93_3 Depth=1
                                        ;     Parent Loop BB93_7 Depth=2
                                        ; =>    This Loop Header: Depth=3
                                        ;         Child Loop BB93_23 Depth 4
                                        ;           Child Loop BB93_25 Depth 5
                                        ;         Child Loop BB93_29 Depth 4
                                        ;           Child Loop BB93_32 Depth 5
                                        ;             Child Loop BB93_34 Depth 6
	v_cmp_ne_u32_e32 vcc_lo, 1, v7
	s_mov_b32 s2, s12
	s_cbranch_vccz .LBB93_19
; %bb.18:                               ;   in Loop: Header=BB93_17 Depth=3
	s_and_not1_b32 vcc_lo, exec_lo, s2
	s_cbranch_vccnz .LBB93_16
	s_branch .LBB93_20
.LBB93_19:                              ;   in Loop: Header=BB93_17 Depth=3
	s_cmp_lg_u32 s59, s50
	s_cselect_b32 s2, -1, 0
	s_cmp_lg_u32 s59, s49
	s_cselect_b32 s60, -1, 0
	s_delay_alu instid0(SALU_CYCLE_1) | instskip(NEXT) | instid1(SALU_CYCLE_1)
	s_and_b32 s2, s2, s60
	s_and_not1_b32 vcc_lo, exec_lo, s2
	s_cbranch_vccnz .LBB93_16
.LBB93_20:                              ;   in Loop: Header=BB93_17 Depth=3
	s_cmp_eq_u32 s15, s59
	s_mul_i32 s61, s59, s17
	s_cselect_b32 s60, s35, s17
	s_delay_alu instid0(SALU_CYCLE_1)
	v_cmp_gt_u32_e32 vcc_lo, s60, v0
	s_barrier
	buffer_gl0_inv
	s_and_saveexec_b32 s62, vcc_lo
	s_cbranch_execz .LBB93_26
; %bb.21:                               ;   in Loop: Header=BB93_17 Depth=3
	v_dual_mov_b32 v5, v11 :: v_dual_mov_b32 v6, v0
	s_mov_b32 s63, 0
	s_branch .LBB93_23
.LBB93_22:                              ;   in Loop: Header=BB93_23 Depth=4
	s_or_b32 exec_lo, exec_lo, s64
	v_add_nc_u32_e32 v6, s26, v6
	v_add_nc_u32_e32 v5, s58, v5
	s_delay_alu instid0(VALU_DEP_2) | instskip(NEXT) | instid1(VALU_DEP_1)
	v_cmp_le_u32_e64 s2, s60, v6
	s_or_b32 s63, s2, s63
	s_delay_alu instid0(SALU_CYCLE_1)
	s_and_not1_b32 exec_lo, exec_lo, s63
	s_cbranch_execz .LBB93_26
.LBB93_23:                              ;   Parent Loop BB93_3 Depth=1
                                        ;     Parent Loop BB93_7 Depth=2
                                        ;       Parent Loop BB93_17 Depth=3
                                        ; =>      This Loop Header: Depth=4
                                        ;           Child Loop BB93_25 Depth 5
	s_and_saveexec_b32 s64, s1
	s_cbranch_execz .LBB93_22
; %bb.24:                               ;   in Loop: Header=BB93_23 Depth=4
	v_add_nc_u32_e32 v15, s61, v6
	s_mov_b32 s65, 0
	s_delay_alu instid0(VALU_DEP_1) | instskip(NEXT) | instid1(VALU_DEP_1)
	v_mad_u64_u32 v[12:13], null, v15, s43, 0
	v_mov_b32_e32 v2, v13
	s_delay_alu instid0(VALU_DEP_1) | instskip(SKIP_1) | instid1(VALU_DEP_2)
	v_mad_u64_u32 v[13:14], null, v15, s38, v[2:3]
	v_mov_b32_e32 v15, v1
	v_lshlrev_b64 v[13:14], 3, v[12:13]
	v_mov_b32_e32 v12, v5
	s_delay_alu instid0(VALU_DEP_2) | instskip(NEXT) | instid1(VALU_DEP_1)
	v_add_co_u32 v13, s2, s47, v13
	v_add_co_ci_u32_e64 v14, s2, s48, v14, s2
	.p2align	6
.LBB93_25:                              ;   Parent Loop BB93_3 Depth=1
                                        ;     Parent Loop BB93_7 Depth=2
                                        ;       Parent Loop BB93_17 Depth=3
                                        ;         Parent Loop BB93_23 Depth=4
                                        ; =>        This Inner Loop Header: Depth=5
	v_mov_b32_e32 v2, s57
	v_cmp_gt_u32_e64 s2, s51, v15
	s_delay_alu instid0(VALU_DEP_1) | instskip(NEXT) | instid1(VALU_DEP_1)
	v_cndmask_b32_e64 v2, s55, v2, s2
	v_add_nc_u32_e32 v2, v2, v15
	v_add_nc_u32_e32 v15, s23, v15
	s_delay_alu instid0(VALU_DEP_2) | instskip(NEXT) | instid1(VALU_DEP_1)
	v_lshlrev_b64 v[16:17], 3, v[2:3]
	v_add_co_u32 v16, s2, v13, v16
	s_delay_alu instid0(VALU_DEP_1) | instskip(NEXT) | instid1(VALU_DEP_4)
	v_add_co_ci_u32_e64 v17, s2, v14, v17, s2
	v_cmp_le_u32_e64 s2, s52, v15
	global_load_b64 v[16:17], v[16:17], off
	s_or_b32 s65, s2, s65
	s_waitcnt vmcnt(0)
	ds_store_2addr_b32 v12, v16, v17 offset1:1
	v_add_nc_u32_e32 v12, s46, v12
	s_and_not1_b32 exec_lo, exec_lo, s65
	s_cbranch_execnz .LBB93_25
	s_branch .LBB93_22
.LBB93_26:                              ;   in Loop: Header=BB93_17 Depth=3
	s_or_b32 exec_lo, exec_lo, s62
	s_waitcnt lgkmcnt(0)
	s_barrier
	buffer_gl0_inv
	s_and_saveexec_b32 s62, vcc_lo
	s_cbranch_execz .LBB93_15
; %bb.27:                               ;   in Loop: Header=BB93_17 Depth=3
	v_mov_b32_e32 v12, v4
	v_mov_b32_e32 v13, v0
	s_mov_b32 s63, 0
	s_branch .LBB93_29
.LBB93_28:                              ;   in Loop: Header=BB93_29 Depth=4
	s_set_inst_prefetch_distance 0x2
	s_or_b32 exec_lo, exec_lo, s64
	v_add_nc_u32_e32 v13, s26, v13
	v_add_nc_u32_e32 v12, s58, v12
	s_delay_alu instid0(VALU_DEP_2) | instskip(SKIP_1) | instid1(SALU_CYCLE_1)
	v_cmp_le_u32_e32 vcc_lo, s60, v13
	s_or_b32 s63, vcc_lo, s63
	s_and_not1_b32 exec_lo, exec_lo, s63
	s_cbranch_execz .LBB93_15
.LBB93_29:                              ;   Parent Loop BB93_3 Depth=1
                                        ;     Parent Loop BB93_7 Depth=2
                                        ;       Parent Loop BB93_17 Depth=3
                                        ; =>      This Loop Header: Depth=4
                                        ;           Child Loop BB93_32 Depth 5
                                        ;             Child Loop BB93_34 Depth 6
	s_and_saveexec_b32 s64, s1
	s_cbranch_execz .LBB93_28
; %bb.30:                               ;   in Loop: Header=BB93_29 Depth=4
	v_add_nc_u32_e32 v16, s61, v13
	s_mov_b32 s65, 0
	s_delay_alu instid0(VALU_DEP_1) | instskip(NEXT) | instid1(VALU_DEP_1)
	v_mad_u64_u32 v[5:6], null, v16, s43, 0
	v_mov_b32_e32 v2, v6
	s_delay_alu instid0(VALU_DEP_1) | instskip(SKIP_1) | instid1(VALU_DEP_2)
	v_mad_u64_u32 v[14:15], null, v16, s38, v[2:3]
	v_mov_b32_e32 v16, v1
	v_mov_b32_e32 v6, v14
	s_delay_alu instid0(VALU_DEP_1) | instskip(NEXT) | instid1(VALU_DEP_1)
	v_lshlrev_b64 v[5:6], 3, v[5:6]
	v_add_co_u32 v14, vcc_lo, s47, v5
	s_delay_alu instid0(VALU_DEP_2)
	v_add_co_ci_u32_e32 v15, vcc_lo, s48, v6, vcc_lo
	s_set_inst_prefetch_distance 0x1
	s_branch .LBB93_32
	.p2align	6
.LBB93_31:                              ;   in Loop: Header=BB93_32 Depth=5
	v_mov_b32_e32 v2, s57
	v_cmp_gt_u32_e32 vcc_lo, s51, v16
	s_delay_alu instid0(VALU_DEP_2) | instskip(NEXT) | instid1(VALU_DEP_1)
	v_cndmask_b32_e32 v2, s55, v2, vcc_lo
	v_add_nc_u32_e32 v2, v16, v2
	v_add_nc_u32_e32 v16, s23, v16
	s_delay_alu instid0(VALU_DEP_2) | instskip(NEXT) | instid1(VALU_DEP_2)
	v_lshlrev_b64 v[17:18], 3, v[2:3]
	v_cmp_le_u32_e32 vcc_lo, s52, v16
	s_or_b32 s65, vcc_lo, s65
	s_delay_alu instid0(VALU_DEP_2) | instskip(NEXT) | instid1(VALU_DEP_1)
	v_add_co_u32 v17, s2, v14, v17
	v_add_co_ci_u32_e64 v18, s2, v15, v18, s2
	global_store_b64 v[17:18], v[5:6], off
	s_and_not1_b32 exec_lo, exec_lo, s65
	s_cbranch_execz .LBB93_28
.LBB93_32:                              ;   Parent Loop BB93_3 Depth=1
                                        ;     Parent Loop BB93_7 Depth=2
                                        ;       Parent Loop BB93_17 Depth=3
                                        ;         Parent Loop BB93_29 Depth=4
                                        ; =>        This Loop Header: Depth=5
                                        ;             Child Loop BB93_34 Depth 6
	v_dual_mov_b32 v6, 0 :: v_dual_mov_b32 v5, 0
	s_and_not1_b32 vcc_lo, exec_lo, s56
	s_cbranch_vccnz .LBB93_31
; %bb.33:                               ;   in Loop: Header=BB93_32 Depth=5
	v_dual_mov_b32 v6, 0 :: v_dual_mov_b32 v17, v12
	v_mov_b32_e32 v2, v16
	s_mov_b32 s2, s52
	s_delay_alu instid0(VALU_DEP_2)
	v_mov_b32_e32 v5, v6
	.p2align	6
.LBB93_34:                              ;   Parent Loop BB93_3 Depth=1
                                        ;     Parent Loop BB93_7 Depth=2
                                        ;       Parent Loop BB93_17 Depth=3
                                        ;         Parent Loop BB93_29 Depth=4
                                        ;           Parent Loop BB93_32 Depth=5
                                        ; =>          This Inner Loop Header: Depth=6
	s_delay_alu instid0(VALU_DEP_2)
	v_lshlrev_b64 v[18:19], 3, v[2:3]
	ds_load_2addr_b32 v[20:21], v17 offset1:1
	s_add_i32 s2, s2, -1
	v_add_nc_u32_e32 v2, s27, v2
	s_cmp_eq_u32 s2, 0
	v_add_nc_u32_e32 v17, 8, v17
	v_add_co_u32 v18, vcc_lo, s54, v18
	v_add_co_ci_u32_e32 v19, vcc_lo, s53, v19, vcc_lo
	flat_load_b64 v[18:19], v[18:19]
	s_waitcnt vmcnt(0) lgkmcnt(0)
	v_mul_f32_e32 v22, v19, v21
	v_mul_f32_e32 v19, v19, v20
	s_delay_alu instid0(VALU_DEP_2) | instskip(NEXT) | instid1(VALU_DEP_2)
	v_fmac_f32_e32 v22, v18, v20
	v_fma_f32 v18, v18, v21, -v19
	s_delay_alu instid0(VALU_DEP_2) | instskip(NEXT) | instid1(VALU_DEP_2)
	v_add_f32_e32 v5, v5, v22
	v_add_f32_e32 v6, v6, v18
	s_cbranch_scc0 .LBB93_34
	s_branch .LBB93_31
.LBB93_35:
	s_endpgm
	.section	.rodata,"a",@progbits
	.p2align	6, 0x0
	.amdhsa_kernel _ZN9rocsolver6v33100L17syevj_offd_rotateILb1E19rocblas_complex_numIfEfPS3_EEvbiiT2_iilPT0_PiS8_S8_i
		.amdhsa_group_segment_fixed_size 0
		.amdhsa_private_segment_fixed_size 0
		.amdhsa_kernarg_size 336
		.amdhsa_user_sgpr_count 13
		.amdhsa_user_sgpr_dispatch_ptr 0
		.amdhsa_user_sgpr_queue_ptr 0
		.amdhsa_user_sgpr_kernarg_segment_ptr 1
		.amdhsa_user_sgpr_dispatch_id 0
		.amdhsa_user_sgpr_private_segment_size 0
		.amdhsa_wavefront_size32 1
		.amdhsa_uses_dynamic_stack 0
		.amdhsa_enable_private_segment 0
		.amdhsa_system_sgpr_workgroup_id_x 1
		.amdhsa_system_sgpr_workgroup_id_y 1
		.amdhsa_system_sgpr_workgroup_id_z 1
		.amdhsa_system_sgpr_workgroup_info 0
		.amdhsa_system_vgpr_workitem_id 1
		.amdhsa_next_free_vgpr 23
		.amdhsa_next_free_sgpr 66
		.amdhsa_reserve_vcc 1
		.amdhsa_float_round_mode_32 0
		.amdhsa_float_round_mode_16_64 0
		.amdhsa_float_denorm_mode_32 3
		.amdhsa_float_denorm_mode_16_64 3
		.amdhsa_dx10_clamp 1
		.amdhsa_ieee_mode 1
		.amdhsa_fp16_overflow 0
		.amdhsa_workgroup_processor_mode 1
		.amdhsa_memory_ordered 1
		.amdhsa_forward_progress 0
		.amdhsa_shared_vgpr_count 0
		.amdhsa_exception_fp_ieee_invalid_op 0
		.amdhsa_exception_fp_denorm_src 0
		.amdhsa_exception_fp_ieee_div_zero 0
		.amdhsa_exception_fp_ieee_overflow 0
		.amdhsa_exception_fp_ieee_underflow 0
		.amdhsa_exception_fp_ieee_inexact 0
		.amdhsa_exception_int_div_zero 0
	.end_amdhsa_kernel
	.section	.text._ZN9rocsolver6v33100L17syevj_offd_rotateILb1E19rocblas_complex_numIfEfPS3_EEvbiiT2_iilPT0_PiS8_S8_i,"axG",@progbits,_ZN9rocsolver6v33100L17syevj_offd_rotateILb1E19rocblas_complex_numIfEfPS3_EEvbiiT2_iilPT0_PiS8_S8_i,comdat
.Lfunc_end93:
	.size	_ZN9rocsolver6v33100L17syevj_offd_rotateILb1E19rocblas_complex_numIfEfPS3_EEvbiiT2_iilPT0_PiS8_S8_i, .Lfunc_end93-_ZN9rocsolver6v33100L17syevj_offd_rotateILb1E19rocblas_complex_numIfEfPS3_EEvbiiT2_iilPT0_PiS8_S8_i
                                        ; -- End function
	.section	.AMDGPU.csdata,"",@progbits
; Kernel info:
; codeLenInByte = 1712
; NumSgprs: 68
; NumVgprs: 23
; ScratchSize: 0
; MemoryBound: 0
; FloatMode: 240
; IeeeMode: 1
; LDSByteSize: 0 bytes/workgroup (compile time only)
; SGPRBlocks: 8
; VGPRBlocks: 2
; NumSGPRsForWavesPerEU: 68
; NumVGPRsForWavesPerEU: 23
; Occupancy: 16
; WaveLimiterHint : 1
; COMPUTE_PGM_RSRC2:SCRATCH_EN: 0
; COMPUTE_PGM_RSRC2:USER_SGPR: 13
; COMPUTE_PGM_RSRC2:TRAP_HANDLER: 0
; COMPUTE_PGM_RSRC2:TGID_X_EN: 1
; COMPUTE_PGM_RSRC2:TGID_Y_EN: 1
; COMPUTE_PGM_RSRC2:TGID_Z_EN: 1
; COMPUTE_PGM_RSRC2:TIDIG_COMP_CNT: 1
	.section	.text._ZN9rocsolver6v33100L17syevj_cycle_pairsI19rocblas_complex_numIfEEEviPiS4_,"axG",@progbits,_ZN9rocsolver6v33100L17syevj_cycle_pairsI19rocblas_complex_numIfEEEviPiS4_,comdat
	.globl	_ZN9rocsolver6v33100L17syevj_cycle_pairsI19rocblas_complex_numIfEEEviPiS4_ ; -- Begin function _ZN9rocsolver6v33100L17syevj_cycle_pairsI19rocblas_complex_numIfEEEviPiS4_
	.p2align	8
	.type	_ZN9rocsolver6v33100L17syevj_cycle_pairsI19rocblas_complex_numIfEEEviPiS4_,@function
_ZN9rocsolver6v33100L17syevj_cycle_pairsI19rocblas_complex_numIfEEEviPiS4_: ; @_ZN9rocsolver6v33100L17syevj_cycle_pairsI19rocblas_complex_numIfEEEviPiS4_
; %bb.0:
	s_clause 0x2
	s_load_b32 s2, s[0:1], 0x0
	s_load_b128 s[4:7], s[0:1], 0x8
	s_load_b32 s0, s[0:1], 0x24
	s_mov_b32 s8, -1
	s_mov_b32 s3, exec_lo
	s_waitcnt lgkmcnt(0)
	s_add_i32 s1, s2, -1
	v_cmpx_eq_u32_e32 0, v0
	s_cbranch_execz .LBB94_6
; %bb.1:
	s_lshl_b32 s9, s1, 1
	s_bfe_i32 s11, s1, 0x1001e
	s_or_b32 s10, s9, 1
	s_delay_alu instid0(SALU_CYCLE_1) | instskip(NEXT) | instid1(SALU_CYCLE_1)
	s_add_i32 s12, s10, s11
	s_xor_b32 s11, s12, s11
	s_load_b32 s12, s[6:7], 0x0
	v_cvt_f32_u32_e32 v1, s11
	s_sub_i32 s14, 0, s11
	s_delay_alu instid0(VALU_DEP_1) | instskip(SKIP_4) | instid1(VALU_DEP_1)
	v_rcp_iflag_f32_e32 v1, v1
	s_waitcnt_depctr 0xfff
	v_mul_f32_e32 v1, 0x4f7ffffe, v1
	s_waitcnt lgkmcnt(0)
	s_add_i32 s12, s12, -1
	v_cvt_u32_f32_e32 v1, v1
	s_abs_i32 s15, s12
	s_ashr_i32 s12, s12, 31
	s_delay_alu instid0(VALU_DEP_1) | instskip(NEXT) | instid1(VALU_DEP_1)
	v_readfirstlane_b32 s13, v1
	s_mul_i32 s14, s14, s13
	s_delay_alu instid0(SALU_CYCLE_1) | instskip(NEXT) | instid1(SALU_CYCLE_1)
	s_mul_hi_u32 s14, s13, s14
	s_add_i32 s13, s13, s14
	s_delay_alu instid0(SALU_CYCLE_1) | instskip(NEXT) | instid1(SALU_CYCLE_1)
	s_mul_hi_u32 s13, s15, s13
	s_mul_i32 s13, s13, s11
	s_delay_alu instid0(SALU_CYCLE_1) | instskip(NEXT) | instid1(SALU_CYCLE_1)
	s_sub_i32 s13, s15, s13
	s_sub_i32 s14, s13, s11
	s_cmp_ge_u32 s13, s11
	s_cselect_b32 s13, s14, s13
	s_delay_alu instid0(SALU_CYCLE_1) | instskip(SKIP_2) | instid1(SALU_CYCLE_1)
	s_sub_i32 s14, s13, s11
	s_cmp_ge_u32 s13, s11
	s_cselect_b32 s11, s14, s13
	s_xor_b32 s11, s11, s12
	s_delay_alu instid0(SALU_CYCLE_1) | instskip(NEXT) | instid1(SALU_CYCLE_1)
	s_sub_i32 s11, s11, s12
                                        ; implicit-def: $sgpr12
	s_bitcmp0_b32 s11, 0
	s_cbranch_scc1 .LBB94_3
; %bb.2:
	s_add_i32 s8, s11, 3
	s_delay_alu instid0(SALU_CYCLE_1)
	s_cmp_gt_i32 s8, s9
	s_cselect_b32 s12, s10, s8
	s_mov_b32 s8, 0
.LBB94_3:
	s_delay_alu instid0(SALU_CYCLE_1)
	s_and_not1_b32 vcc_lo, exec_lo, s8
	s_cbranch_vccnz .LBB94_5
; %bb.4:
	s_add_i32 s8, s11, -1
	s_cmp_gt_i32 s11, 1
	s_cselect_b32 s12, s8, 2
.LBB94_5:
	s_delay_alu instid0(SALU_CYCLE_1)
	v_dual_mov_b32 v1, 0 :: v_dual_mov_b32 v2, s12
	global_store_b32 v1, v2, s[6:7]
.LBB94_6:
	s_or_b32 exec_lo, exec_lo, s3
	v_add_nc_u32_e32 v4, 1, v0
	s_mov_b32 s3, exec_lo
	s_delay_alu instid0(VALU_DEP_1)
	v_cmpx_gt_i32_e64 s2, v4
	s_cbranch_execz .LBB94_17
; %bb.7:
	s_lshl_b32 s1, s1, 1
	s_mov_b32 s9, 0
	s_or_b32 s3, s1, 1
	v_lshlrev_b32_e32 v0, 2, v0
	v_cvt_f32_u32_e32 v1, s3
	s_sub_i32 s8, 0, s3
	s_delay_alu instid0(VALU_DEP_1) | instskip(SKIP_2) | instid1(VALU_DEP_1)
	v_rcp_iflag_f32_e32 v1, v1
	s_waitcnt_depctr 0xfff
	v_mul_f32_e32 v1, 0x4f7ffffe, v1
	v_cvt_u32_f32_e32 v1, v1
	s_delay_alu instid0(VALU_DEP_1) | instskip(SKIP_1) | instid1(VALU_DEP_1)
	v_mul_lo_u32 v2, s8, v1
	v_add_co_u32 v6, s8, v0, 4
	v_add_co_ci_u32_e64 v7, null, 0, 0, s8
	s_and_b32 s8, 0xffff, s0
	s_delay_alu instid0(SALU_CYCLE_1) | instskip(NEXT) | instid1(VALU_DEP_3)
	s_lshl_b32 s10, s8, 2
	v_mul_hi_u32 v2, v1, v2
	s_delay_alu instid0(VALU_DEP_1)
	v_add_nc_u32_e32 v5, v1, v2
	s_branch .LBB94_9
.LBB94_8:                               ;   in Loop: Header=BB94_9 Depth=1
	s_or_b32 exec_lo, exec_lo, s0
	v_add_nc_u32_e32 v4, s8, v4
	v_add_co_u32 v6, s0, v6, s10
	s_delay_alu instid0(VALU_DEP_1) | instskip(NEXT) | instid1(VALU_DEP_3)
	v_add_co_ci_u32_e64 v7, s0, 0, v7, s0
	v_cmp_le_i32_e32 vcc_lo, s2, v4
	global_store_b32 v[0:1], v2, off
	s_or_b32 s9, vcc_lo, s9
	s_delay_alu instid0(SALU_CYCLE_1)
	s_and_not1_b32 exec_lo, exec_lo, s9
	s_cbranch_execz .LBB94_17
.LBB94_9:                               ; =>This Inner Loop Header: Depth=1
	v_add_co_u32 v2, vcc_lo, s4, v6
	v_add_co_ci_u32_e32 v3, vcc_lo, s5, v7, vcc_lo
	s_mov_b32 s0, exec_lo
	global_load_b32 v0, v[2:3], off
	s_waitcnt vmcnt(0)
	v_add_nc_u32_e32 v0, -1, v0
	s_delay_alu instid0(VALU_DEP_1) | instskip(NEXT) | instid1(VALU_DEP_1)
	v_sub_nc_u32_e32 v1, 0, v0
	v_max_i32_e32 v1, v0, v1
	v_ashrrev_i32_e32 v0, 31, v0
	s_delay_alu instid0(VALU_DEP_2) | instskip(NEXT) | instid1(VALU_DEP_1)
	v_mul_hi_u32 v8, v1, v5
	v_mul_lo_u32 v8, v8, s3
	s_delay_alu instid0(VALU_DEP_1) | instskip(NEXT) | instid1(VALU_DEP_1)
	v_sub_nc_u32_e32 v1, v1, v8
	v_subrev_nc_u32_e32 v8, s3, v1
	v_cmp_le_u32_e32 vcc_lo, s3, v1
	s_delay_alu instid0(VALU_DEP_2) | instskip(NEXT) | instid1(VALU_DEP_1)
	v_cndmask_b32_e32 v1, v1, v8, vcc_lo
	v_subrev_nc_u32_e32 v8, s3, v1
	v_cmp_le_u32_e32 vcc_lo, s3, v1
	s_delay_alu instid0(VALU_DEP_2) | instskip(NEXT) | instid1(VALU_DEP_1)
	v_cndmask_b32_e32 v1, v1, v8, vcc_lo
                                        ; implicit-def: $vgpr8
	v_xor_b32_e32 v1, v1, v0
	s_delay_alu instid0(VALU_DEP_1) | instskip(NEXT) | instid1(VALU_DEP_1)
	v_sub_nc_u32_e32 v0, v1, v0
	v_and_b32_e32 v1, 1, v0
	s_delay_alu instid0(VALU_DEP_1)
	v_cmpx_eq_u32_e32 1, v1
	s_xor_b32 s0, exec_lo, s0
; %bb.10:                               ;   in Loop: Header=BB94_9 Depth=1
	v_add_nc_u32_e32 v0, 3, v0
	s_delay_alu instid0(VALU_DEP_1)
	v_cmp_lt_i32_e32 vcc_lo, s1, v0
	v_cndmask_b32_e64 v8, v0, s3, vcc_lo
                                        ; implicit-def: $vgpr0
; %bb.11:                               ;   in Loop: Header=BB94_9 Depth=1
	s_and_not1_saveexec_b32 s0, s0
; %bb.12:                               ;   in Loop: Header=BB94_9 Depth=1
	v_add_nc_u32_e32 v1, -1, v0
	v_cmp_lt_i32_e32 vcc_lo, 1, v0
	s_delay_alu instid0(VALU_DEP_2)
	v_cndmask_b32_e32 v8, 2, v1, vcc_lo
; %bb.13:                               ;   in Loop: Header=BB94_9 Depth=1
	s_or_b32 exec_lo, exec_lo, s0
	v_add_co_u32 v0, vcc_lo, s6, v6
	v_add_co_ci_u32_e32 v1, vcc_lo, s7, v7, vcc_lo
	global_store_b32 v[2:3], v8, off
	global_load_b32 v2, v[0:1], off
	s_waitcnt vmcnt(0)
	v_add_nc_u32_e32 v2, -1, v2
	s_delay_alu instid0(VALU_DEP_1) | instskip(NEXT) | instid1(VALU_DEP_1)
	v_sub_nc_u32_e32 v3, 0, v2
	v_max_i32_e32 v3, v2, v3
	s_delay_alu instid0(VALU_DEP_1) | instskip(NEXT) | instid1(VALU_DEP_1)
	v_mul_hi_u32 v8, v3, v5
	v_mul_lo_u32 v8, v8, s3
	s_delay_alu instid0(VALU_DEP_1) | instskip(NEXT) | instid1(VALU_DEP_1)
	v_sub_nc_u32_e32 v3, v3, v8
	v_subrev_nc_u32_e32 v8, s3, v3
	v_cmp_le_u32_e32 vcc_lo, s3, v3
	s_delay_alu instid0(VALU_DEP_2) | instskip(SKIP_1) | instid1(VALU_DEP_2)
	v_cndmask_b32_e32 v3, v3, v8, vcc_lo
	v_ashrrev_i32_e32 v2, 31, v2
	v_subrev_nc_u32_e32 v8, s3, v3
	v_cmp_le_u32_e32 vcc_lo, s3, v3
	s_delay_alu instid0(VALU_DEP_2) | instskip(NEXT) | instid1(VALU_DEP_1)
	v_cndmask_b32_e32 v3, v3, v8, vcc_lo
	v_xor_b32_e32 v3, v3, v2
	s_delay_alu instid0(VALU_DEP_1) | instskip(NEXT) | instid1(VALU_DEP_1)
	v_sub_nc_u32_e32 v3, v3, v2
	v_and_b32_e32 v2, 1, v3
	s_delay_alu instid0(VALU_DEP_1) | instskip(SKIP_1) | instid1(SALU_CYCLE_1)
	v_cmp_eq_u32_e32 vcc_lo, 1, v2
                                        ; implicit-def: $vgpr2
	s_and_saveexec_b32 s0, vcc_lo
	s_xor_b32 s0, exec_lo, s0
; %bb.14:                               ;   in Loop: Header=BB94_9 Depth=1
	v_add_nc_u32_e32 v2, 3, v3
                                        ; implicit-def: $vgpr3
	s_delay_alu instid0(VALU_DEP_1)
	v_cmp_lt_i32_e32 vcc_lo, s1, v2
	v_cndmask_b32_e64 v2, v2, s3, vcc_lo
; %bb.15:                               ;   in Loop: Header=BB94_9 Depth=1
	s_and_not1_saveexec_b32 s0, s0
	s_cbranch_execz .LBB94_8
; %bb.16:                               ;   in Loop: Header=BB94_9 Depth=1
	v_add_nc_u32_e32 v2, -1, v3
	v_cmp_lt_i32_e32 vcc_lo, 1, v3
	s_delay_alu instid0(VALU_DEP_2)
	v_cndmask_b32_e32 v2, 2, v2, vcc_lo
	s_branch .LBB94_8
.LBB94_17:
	s_nop 0
	s_sendmsg sendmsg(MSG_DEALLOC_VGPRS)
	s_endpgm
	.section	.rodata,"a",@progbits
	.p2align	6, 0x0
	.amdhsa_kernel _ZN9rocsolver6v33100L17syevj_cycle_pairsI19rocblas_complex_numIfEEEviPiS4_
		.amdhsa_group_segment_fixed_size 0
		.amdhsa_private_segment_fixed_size 0
		.amdhsa_kernarg_size 280
		.amdhsa_user_sgpr_count 15
		.amdhsa_user_sgpr_dispatch_ptr 0
		.amdhsa_user_sgpr_queue_ptr 0
		.amdhsa_user_sgpr_kernarg_segment_ptr 1
		.amdhsa_user_sgpr_dispatch_id 0
		.amdhsa_user_sgpr_private_segment_size 0
		.amdhsa_wavefront_size32 1
		.amdhsa_uses_dynamic_stack 0
		.amdhsa_enable_private_segment 0
		.amdhsa_system_sgpr_workgroup_id_x 1
		.amdhsa_system_sgpr_workgroup_id_y 0
		.amdhsa_system_sgpr_workgroup_id_z 0
		.amdhsa_system_sgpr_workgroup_info 0
		.amdhsa_system_vgpr_workitem_id 0
		.amdhsa_next_free_vgpr 9
		.amdhsa_next_free_sgpr 16
		.amdhsa_reserve_vcc 1
		.amdhsa_float_round_mode_32 0
		.amdhsa_float_round_mode_16_64 0
		.amdhsa_float_denorm_mode_32 3
		.amdhsa_float_denorm_mode_16_64 3
		.amdhsa_dx10_clamp 1
		.amdhsa_ieee_mode 1
		.amdhsa_fp16_overflow 0
		.amdhsa_workgroup_processor_mode 1
		.amdhsa_memory_ordered 1
		.amdhsa_forward_progress 0
		.amdhsa_shared_vgpr_count 0
		.amdhsa_exception_fp_ieee_invalid_op 0
		.amdhsa_exception_fp_denorm_src 0
		.amdhsa_exception_fp_ieee_div_zero 0
		.amdhsa_exception_fp_ieee_overflow 0
		.amdhsa_exception_fp_ieee_underflow 0
		.amdhsa_exception_fp_ieee_inexact 0
		.amdhsa_exception_int_div_zero 0
	.end_amdhsa_kernel
	.section	.text._ZN9rocsolver6v33100L17syevj_cycle_pairsI19rocblas_complex_numIfEEEviPiS4_,"axG",@progbits,_ZN9rocsolver6v33100L17syevj_cycle_pairsI19rocblas_complex_numIfEEEviPiS4_,comdat
.Lfunc_end94:
	.size	_ZN9rocsolver6v33100L17syevj_cycle_pairsI19rocblas_complex_numIfEEEviPiS4_, .Lfunc_end94-_ZN9rocsolver6v33100L17syevj_cycle_pairsI19rocblas_complex_numIfEEEviPiS4_
                                        ; -- End function
	.section	.AMDGPU.csdata,"",@progbits
; Kernel info:
; codeLenInByte = 872
; NumSgprs: 18
; NumVgprs: 9
; ScratchSize: 0
; MemoryBound: 0
; FloatMode: 240
; IeeeMode: 1
; LDSByteSize: 0 bytes/workgroup (compile time only)
; SGPRBlocks: 2
; VGPRBlocks: 1
; NumSGPRsForWavesPerEU: 18
; NumVGPRsForWavesPerEU: 9
; Occupancy: 16
; WaveLimiterHint : 0
; COMPUTE_PGM_RSRC2:SCRATCH_EN: 0
; COMPUTE_PGM_RSRC2:USER_SGPR: 15
; COMPUTE_PGM_RSRC2:TRAP_HANDLER: 0
; COMPUTE_PGM_RSRC2:TGID_X_EN: 1
; COMPUTE_PGM_RSRC2:TGID_Y_EN: 0
; COMPUTE_PGM_RSRC2:TGID_Z_EN: 0
; COMPUTE_PGM_RSRC2:TIDIG_COMP_CNT: 0
	.section	.text._ZN9rocsolver6v33100L15syevj_calc_normI19rocblas_complex_numIfEfEEviiPT0_PT_S5_Pi,"axG",@progbits,_ZN9rocsolver6v33100L15syevj_calc_normI19rocblas_complex_numIfEfEEviiPT0_PT_S5_Pi,comdat
	.globl	_ZN9rocsolver6v33100L15syevj_calc_normI19rocblas_complex_numIfEfEEviiPT0_PT_S5_Pi ; -- Begin function _ZN9rocsolver6v33100L15syevj_calc_normI19rocblas_complex_numIfEfEEviiPT0_PT_S5_Pi
	.p2align	8
	.type	_ZN9rocsolver6v33100L15syevj_calc_normI19rocblas_complex_numIfEfEEviiPT0_PT_S5_Pi,@function
_ZN9rocsolver6v33100L15syevj_calc_normI19rocblas_complex_numIfEfEEviiPT0_PT_S5_Pi: ; @_ZN9rocsolver6v33100L15syevj_calc_normI19rocblas_complex_numIfEfEEviiPT0_PT_S5_Pi
; %bb.0:
	s_load_b256 s[4:11], s[0:1], 0x8
	s_mov_b32 s16, s15
	s_ashr_i32 s17, s15, 31
	s_delay_alu instid0(SALU_CYCLE_1)
	s_lshl_b64 s[14:15], s[16:17], 2
	s_waitcnt lgkmcnt(0)
	s_add_u32 s2, s10, s14
	s_addc_u32 s3, s11, s15
	s_load_b32 s12, s[2:3], 0x4
	s_waitcnt lgkmcnt(0)
	s_cmp_lg_u32 s12, 0
	s_cbranch_scc0 .LBB95_2
.LBB95_1:
	s_nop 0
	s_sendmsg sendmsg(MSG_DEALLOC_VGPRS)
	s_endpgm
.LBB95_2:
	s_clause 0x1
	s_load_b64 s[12:13], s[0:1], 0x0
	s_load_b32 s0, s[0:1], 0x34
	v_mov_b32_e32 v5, 0
	s_mov_b32 s17, exec_lo
	s_waitcnt lgkmcnt(0)
	s_and_b32 s1, s0, 0xffff
	v_cmpx_gt_i32_e64 s12, v0
	s_cbranch_execz .LBB95_10
; %bb.3:
	s_mul_i32 s0, s16, s12
	v_dual_mov_b32 v6, v0 :: v_dual_lshlrev_b32 v1, 3, v0
	s_mul_i32 s18, s0, s12
	v_mov_b32_e32 v5, 0
	s_ashr_i32 s19, s18, 31
	s_mov_b32 s16, 0
	s_lshl_b64 s[18:19], s[18:19], 3
	s_delay_alu instid0(SALU_CYCLE_1) | instskip(SKIP_2) | instid1(VALU_DEP_1)
	s_add_u32 s0, s6, s18
	s_addc_u32 s6, s7, s19
	v_add_co_u32 v1, s0, s0, v1
	v_add_co_ci_u32_e64 v2, null, s6, 0, s0
	s_ashr_i32 s7, s12, 31
	s_delay_alu instid0(VALU_DEP_2) | instskip(NEXT) | instid1(VALU_DEP_2)
	v_add_co_u32 v1, vcc_lo, v1, 4
	v_add_co_ci_u32_e32 v2, vcc_lo, 0, v2, vcc_lo
	s_mov_b32 s6, s12
	s_lshl_b32 s18, s1, 3
	s_lshl_b64 s[6:7], s[6:7], 3
	s_set_inst_prefetch_distance 0x1
	s_branch .LBB95_6
	.p2align	6
.LBB95_4:                               ;   in Loop: Header=BB95_6 Depth=1
	s_or_b32 exec_lo, exec_lo, s20
.LBB95_5:                               ;   in Loop: Header=BB95_6 Depth=1
	s_delay_alu instid0(SALU_CYCLE_1) | instskip(SKIP_2) | instid1(VALU_DEP_1)
	s_or_b32 exec_lo, exec_lo, s19
	v_add_nc_u32_e32 v6, s1, v6
	v_add_co_u32 v1, s0, v1, s18
	v_add_co_ci_u32_e64 v2, s0, 0, v2, s0
	s_delay_alu instid0(VALU_DEP_3) | instskip(SKIP_1) | instid1(SALU_CYCLE_1)
	v_cmp_le_i32_e32 vcc_lo, s12, v6
	s_or_b32 s16, vcc_lo, s16
	s_and_not1_b32 exec_lo, exec_lo, s16
	s_cbranch_execz .LBB95_9
.LBB95_6:                               ; =>This Loop Header: Depth=1
                                        ;     Child Loop BB95_8 Depth 2
	s_mov_b32 s19, exec_lo
	v_cmpx_ne_u32_e32 0, v6
	s_cbranch_execz .LBB95_5
; %bb.7:                                ;   in Loop: Header=BB95_6 Depth=1
	v_dual_mov_b32 v4, v2 :: v_dual_mov_b32 v3, v1
	s_mov_b32 s20, 0
	s_mov_b32 s21, 0
.LBB95_8:                               ;   Parent Loop BB95_6 Depth=1
                                        ; =>  This Inner Loop Header: Depth=2
	global_load_b64 v[7:8], v[3:4], off offset:-4
	s_add_i32 s21, s21, 1
	v_add_co_u32 v3, vcc_lo, v3, s6
	v_cmp_ge_u32_e64 s0, s21, v6
	v_add_co_ci_u32_e32 v4, vcc_lo, s7, v4, vcc_lo
	s_delay_alu instid0(VALU_DEP_2) | instskip(SKIP_2) | instid1(VALU_DEP_1)
	s_or_b32 s20, s0, s20
	s_waitcnt vmcnt(0)
	v_mul_f32_e32 v8, v8, v8
	v_fmac_f32_e32 v8, v7, v7
	s_delay_alu instid0(VALU_DEP_1)
	v_fmac_f32_e32 v5, 2.0, v8
	s_and_not1_b32 exec_lo, exec_lo, s20
	s_cbranch_execnz .LBB95_8
	s_branch .LBB95_4
.LBB95_9:
	s_set_inst_prefetch_distance 0x2
	s_or_b32 exec_lo, exec_lo, s16
.LBB95_10:
	s_delay_alu instid0(SALU_CYCLE_1)
	s_or_b32 exec_lo, exec_lo, s17
	v_lshl_add_u32 v1, v0, 2, 0
	s_mov_b32 s0, exec_lo
	ds_store_b32 v1, v5
	s_waitcnt lgkmcnt(0)
	s_barrier
	buffer_gl0_inv
	v_cmpx_eq_u32_e32 0, v0
	s_cbranch_execz .LBB95_1
; %bb.11:
	s_min_i32 s0, s1, s12
	s_delay_alu instid0(SALU_CYCLE_1)
	s_cmp_lt_i32 s0, 2
	s_cbranch_scc1 .LBB95_20
; %bb.12:
	s_add_i32 s1, s0, -2
	s_add_i32 s0, s0, -1
	s_cmp_lt_u32 s1, 7
	s_cbranch_scc1 .LBB95_16
; %bb.13:
	s_mov_b32 s6, 0
	s_add_i32 s1, 0, 4
	s_and_b32 s7, s0, -8
	.p2align	6
.LBB95_14:                              ; =>This Inner Loop Header: Depth=1
	v_mov_b32_e32 v4, s1
	s_mov_b32 s12, s6
	s_add_i32 s6, s6, 8
	s_add_i32 s1, s1, 32
	s_cmp_lg_u32 s7, s6
	ds_load_2addr_b32 v[0:1], v4 offset1:1
	ds_load_2addr_b32 v[2:3], v4 offset0:2 offset1:3
	ds_load_2addr_b32 v[6:7], v4 offset0:4 offset1:5
	;; [unrolled: 1-line block ×3, first 2 shown]
	s_waitcnt lgkmcnt(3)
	v_add_f32_e32 v0, v5, v0
	s_delay_alu instid0(VALU_DEP_1) | instskip(SKIP_1) | instid1(VALU_DEP_1)
	v_add_f32_e32 v0, v0, v1
	s_waitcnt lgkmcnt(2)
	v_add_f32_e32 v0, v0, v2
	s_delay_alu instid0(VALU_DEP_1) | instskip(SKIP_1) | instid1(VALU_DEP_1)
	v_add_f32_e32 v0, v0, v3
	;; [unrolled: 4-line block ×3, first 2 shown]
	s_waitcnt lgkmcnt(0)
	v_add_f32_e32 v0, v0, v8
	s_delay_alu instid0(VALU_DEP_1)
	v_add_f32_e32 v5, v0, v9
	s_cbranch_scc1 .LBB95_14
; %bb.15:
	s_add_i32 s1, s12, 9
	s_branch .LBB95_17
.LBB95_16:
	s_mov_b32 s1, 1
.LBB95_17:
	s_and_b32 s0, s0, 7
	s_delay_alu instid0(SALU_CYCLE_1)
	s_cmp_eq_u32 s0, 0
	s_cbranch_scc1 .LBB95_20
; %bb.18:
	s_lshl_b32 s1, s1, 2
	s_delay_alu instid0(SALU_CYCLE_1)
	s_add_i32 s1, s1, 0
.LBB95_19:                              ; =>This Inner Loop Header: Depth=1
	s_delay_alu instid0(SALU_CYCLE_1)
	v_mov_b32_e32 v0, s1
	s_add_i32 s0, s0, -1
	s_add_i32 s1, s1, 4
	s_cmp_lg_u32 s0, 0
	ds_load_b32 v0, v0
	s_waitcnt lgkmcnt(0)
	v_add_f32_e32 v5, v5, v0
	s_cbranch_scc1 .LBB95_19
.LBB95_20:
	v_mov_b32_e32 v0, 0
	s_add_u32 s0, s4, s14
	s_addc_u32 s1, s5, s15
	s_add_u32 s4, s8, s14
	s_addc_u32 s5, s9, s15
	global_store_b32 v0, v5, s[0:1]
	global_load_b32 v1, v0, s[4:5]
	s_waitcnt vmcnt(0)
	v_cmp_lt_f32_e32 vcc_lo, v5, v1
	s_and_b32 exec_lo, exec_lo, vcc_lo
	s_cbranch_execz .LBB95_1
; %bb.21:
	s_mov_b32 s0, exec_lo
	s_add_i32 s1, s13, 1
	v_mbcnt_lo_u32_b32 v1, s0, 0
	v_mov_b32_e32 v2, s1
	s_delay_alu instid0(VALU_DEP_2) | instskip(SKIP_2) | instid1(SALU_CYCLE_1)
	v_cmp_eq_u32_e32 vcc_lo, 0, v1
	global_store_b32 v0, v2, s[2:3] offset:4
	s_and_b32 s1, exec_lo, vcc_lo
	s_mov_b32 exec_lo, s1
	s_cbranch_execz .LBB95_1
; %bb.22:
	s_bcnt1_i32_b32 s0, s0
	s_delay_alu instid0(SALU_CYCLE_1)
	v_dual_mov_b32 v0, 0 :: v_dual_mov_b32 v1, s0
	global_atomic_add_u32 v0, v1, s[10:11]
	s_nop 0
	s_sendmsg sendmsg(MSG_DEALLOC_VGPRS)
	s_endpgm
	.section	.rodata,"a",@progbits
	.p2align	6, 0x0
	.amdhsa_kernel _ZN9rocsolver6v33100L15syevj_calc_normI19rocblas_complex_numIfEfEEviiPT0_PT_S5_Pi
		.amdhsa_group_segment_fixed_size 0
		.amdhsa_private_segment_fixed_size 0
		.amdhsa_kernarg_size 296
		.amdhsa_user_sgpr_count 14
		.amdhsa_user_sgpr_dispatch_ptr 0
		.amdhsa_user_sgpr_queue_ptr 0
		.amdhsa_user_sgpr_kernarg_segment_ptr 1
		.amdhsa_user_sgpr_dispatch_id 0
		.amdhsa_user_sgpr_private_segment_size 0
		.amdhsa_wavefront_size32 1
		.amdhsa_uses_dynamic_stack 0
		.amdhsa_enable_private_segment 0
		.amdhsa_system_sgpr_workgroup_id_x 1
		.amdhsa_system_sgpr_workgroup_id_y 1
		.amdhsa_system_sgpr_workgroup_id_z 0
		.amdhsa_system_sgpr_workgroup_info 0
		.amdhsa_system_vgpr_workitem_id 0
		.amdhsa_next_free_vgpr 10
		.amdhsa_next_free_sgpr 22
		.amdhsa_reserve_vcc 1
		.amdhsa_float_round_mode_32 0
		.amdhsa_float_round_mode_16_64 0
		.amdhsa_float_denorm_mode_32 3
		.amdhsa_float_denorm_mode_16_64 3
		.amdhsa_dx10_clamp 1
		.amdhsa_ieee_mode 1
		.amdhsa_fp16_overflow 0
		.amdhsa_workgroup_processor_mode 1
		.amdhsa_memory_ordered 1
		.amdhsa_forward_progress 0
		.amdhsa_shared_vgpr_count 0
		.amdhsa_exception_fp_ieee_invalid_op 0
		.amdhsa_exception_fp_denorm_src 0
		.amdhsa_exception_fp_ieee_div_zero 0
		.amdhsa_exception_fp_ieee_overflow 0
		.amdhsa_exception_fp_ieee_underflow 0
		.amdhsa_exception_fp_ieee_inexact 0
		.amdhsa_exception_int_div_zero 0
	.end_amdhsa_kernel
	.section	.text._ZN9rocsolver6v33100L15syevj_calc_normI19rocblas_complex_numIfEfEEviiPT0_PT_S5_Pi,"axG",@progbits,_ZN9rocsolver6v33100L15syevj_calc_normI19rocblas_complex_numIfEfEEviiPT0_PT_S5_Pi,comdat
.Lfunc_end95:
	.size	_ZN9rocsolver6v33100L15syevj_calc_normI19rocblas_complex_numIfEfEEviiPT0_PT_S5_Pi, .Lfunc_end95-_ZN9rocsolver6v33100L15syevj_calc_normI19rocblas_complex_numIfEfEEviiPT0_PT_S5_Pi
                                        ; -- End function
	.section	.AMDGPU.csdata,"",@progbits
; Kernel info:
; codeLenInByte = 812
; NumSgprs: 24
; NumVgprs: 10
; ScratchSize: 0
; MemoryBound: 0
; FloatMode: 240
; IeeeMode: 1
; LDSByteSize: 0 bytes/workgroup (compile time only)
; SGPRBlocks: 2
; VGPRBlocks: 1
; NumSGPRsForWavesPerEU: 24
; NumVGPRsForWavesPerEU: 10
; Occupancy: 16
; WaveLimiterHint : 0
; COMPUTE_PGM_RSRC2:SCRATCH_EN: 0
; COMPUTE_PGM_RSRC2:USER_SGPR: 14
; COMPUTE_PGM_RSRC2:TRAP_HANDLER: 0
; COMPUTE_PGM_RSRC2:TGID_X_EN: 1
; COMPUTE_PGM_RSRC2:TGID_Y_EN: 1
; COMPUTE_PGM_RSRC2:TGID_Z_EN: 0
; COMPUTE_PGM_RSRC2:TIDIG_COMP_CNT: 0
	.section	.text._ZN9rocsolver6v33100L14syevj_finalizeI19rocblas_complex_numIfEfPS3_EEv14rocblas_esort_14rocblas_evect_iT1_iilPT0_iPiS9_lSA_PT_SA_,"axG",@progbits,_ZN9rocsolver6v33100L14syevj_finalizeI19rocblas_complex_numIfEfPS3_EEv14rocblas_esort_14rocblas_evect_iT1_iilPT0_iPiS9_lSA_PT_SA_,comdat
	.globl	_ZN9rocsolver6v33100L14syevj_finalizeI19rocblas_complex_numIfEfPS3_EEv14rocblas_esort_14rocblas_evect_iT1_iilPT0_iPiS9_lSA_PT_SA_ ; -- Begin function _ZN9rocsolver6v33100L14syevj_finalizeI19rocblas_complex_numIfEfPS3_EEv14rocblas_esort_14rocblas_evect_iT1_iilPT0_iPiS9_lSA_PT_SA_
	.p2align	8
	.type	_ZN9rocsolver6v33100L14syevj_finalizeI19rocblas_complex_numIfEfPS3_EEv14rocblas_esort_14rocblas_evect_iT1_iilPT0_iPiS9_lSA_PT_SA_,@function
_ZN9rocsolver6v33100L14syevj_finalizeI19rocblas_complex_numIfEfPS3_EEv14rocblas_esort_14rocblas_evect_iT1_iilPT0_iPiS9_lSA_PT_SA_: ; @_ZN9rocsolver6v33100L14syevj_finalizeI19rocblas_complex_numIfEfPS3_EEv14rocblas_esort_14rocblas_evect_iT1_iilPT0_iPiS9_lSA_PT_SA_
; %bb.0:
	s_clause 0x2
	s_load_b128 s[16:19], s[0:1], 0x20
	s_load_b256 s[4:11], s[0:1], 0x38
	s_load_b128 s[20:23], s[0:1], 0x58
	v_cmp_eq_u32_e64 s2, 0, v0
	s_mov_b32 s24, s15
	s_ashr_i32 s25, s15, 31
	s_delay_alu instid0(VALU_DEP_1)
	s_and_saveexec_b32 s12, s2
	s_cbranch_execz .LBB96_2
; %bb.1:
	s_lshl_b64 s[14:15], s[24:25], 2
	s_waitcnt lgkmcnt(0)
	s_add_u32 s22, s22, s14
	s_addc_u32 s23, s23, s15
	s_add_u32 s18, s18, s14
	s_addc_u32 s19, s19, s15
	s_load_b32 s13, s[22:23], 0x4
	s_load_b32 s3, s[18:19], 0x0
	;; [unrolled: 1-line block ×3, first 2 shown]
	s_waitcnt lgkmcnt(0)
	v_mul_f32_e64 v1, 0x4f800000, s3
	v_cmp_gt_f32_e64 vcc_lo, 0xf800000, s3
	s_delay_alu instid0(VALU_DEP_2) | instskip(NEXT) | instid1(VALU_DEP_1)
	v_cndmask_b32_e32 v1, s3, v1, vcc_lo
	v_sqrt_f32_e32 v2, v1
	s_waitcnt_depctr 0xfff
	v_add_nc_u32_e32 v4, 1, v2
	v_add_nc_u32_e32 v3, -1, v2
	s_delay_alu instid0(VALU_DEP_2) | instskip(NEXT) | instid1(VALU_DEP_2)
	v_fma_f32 v6, -v4, v2, v1
	v_fma_f32 v5, -v3, v2, v1
	s_delay_alu instid0(VALU_DEP_1) | instskip(NEXT) | instid1(VALU_DEP_1)
	v_cmp_ge_f32_e64 s3, 0, v5
	v_cndmask_b32_e64 v2, v2, v3, s3
	s_delay_alu instid0(VALU_DEP_4) | instskip(NEXT) | instid1(VALU_DEP_1)
	v_cmp_lt_f32_e64 s3, 0, v6
	v_cndmask_b32_e64 v2, v2, v4, s3
	v_mov_b32_e32 v4, 0
	s_add_i32 s3, s13, -1
	s_cmp_lt_i32 s13, 1
	s_cselect_b32 s13, -1, 0
	s_delay_alu instid0(SALU_CYCLE_1)
	v_cndmask_b32_e64 v5, 0, 1, s13
	s_and_b32 s13, s13, exec_lo
	s_cselect_b32 s3, s22, s3
	v_mul_f32_e32 v3, 0x37800000, v2
	s_add_u32 s4, s4, s14
	s_addc_u32 s5, s5, s15
	s_add_u32 s10, s10, s14
	s_addc_u32 s11, s11, s15
	v_cndmask_b32_e32 v2, v2, v3, vcc_lo
	v_cmp_class_f32_e64 vcc_lo, v1, 0x260
	s_delay_alu instid0(VALU_DEP_2)
	v_dual_cndmask_b32 v1, v2, v1 :: v_dual_mov_b32 v2, s3
	s_clause 0x2
	global_store_b32 v4, v1, s[18:19]
	global_store_b32 v4, v2, s[4:5]
	global_store_b32 v4, v5, s[10:11]
.LBB96_2:
	s_or_b32 exec_lo, exec_lo, s12
	s_load_b128 s[12:15], s[0:1], 0x0
	s_waitcnt lgkmcnt(0)
	s_mul_i32 s3, s24, s9
	s_mul_hi_u32 s4, s24, s8
	s_delay_alu instid0(SALU_CYCLE_1) | instskip(SKIP_1) | instid1(SALU_CYCLE_1)
	s_add_i32 s3, s4, s3
	s_mul_i32 s4, s25, s8
	s_add_i32 s5, s3, s4
	s_mul_i32 s4, s24, s8
	s_delay_alu instid0(SALU_CYCLE_1) | instskip(NEXT) | instid1(SALU_CYCLE_1)
	s_lshl_b64 s[18:19], s[4:5], 2
	s_add_u32 s15, s6, s18
	s_addc_u32 s22, s7, s19
	v_cmp_gt_i32_e64 s3, s14, v0
	s_delay_alu instid0(VALU_DEP_1)
	s_and_saveexec_b32 s5, s3
	s_cbranch_execz .LBB96_5
; %bb.3:
	s_load_b32 s4, s[0:1], 0x74
	s_mul_i32 s8, s24, s14
	v_mad_u64_u32 v[1:2], null, v0, s14, v[0:1]
	s_mul_i32 s8, s8, s14
	v_mov_b32_e32 v3, v0
	s_ashr_i32 s9, s8, 31
	s_delay_alu instid0(SALU_CYCLE_1) | instskip(NEXT) | instid1(SALU_CYCLE_1)
	s_lshl_b64 s[8:9], s[8:9], 3
	s_add_u32 s8, s20, s8
	s_addc_u32 s9, s21, s9
	s_add_i32 s11, s14, 1
	s_mov_b32 s20, 0
	s_waitcnt lgkmcnt(0)
	s_and_b32 s10, s4, 0xffff
	s_delay_alu instid0(SALU_CYCLE_1)
	s_mul_i32 s11, s11, s10
	.p2align	6
.LBB96_4:                               ; =>This Inner Loop Header: Depth=1
	v_ashrrev_i32_e32 v2, 31, v1
	s_delay_alu instid0(VALU_DEP_1) | instskip(SKIP_1) | instid1(VALU_DEP_2)
	v_lshlrev_b64 v[4:5], 3, v[1:2]
	v_add_nc_u32_e32 v1, s11, v1
	v_add_co_u32 v4, vcc_lo, s8, v4
	s_delay_alu instid0(VALU_DEP_3) | instskip(SKIP_2) | instid1(VALU_DEP_1)
	v_add_co_ci_u32_e32 v5, vcc_lo, s9, v5, vcc_lo
	global_load_b32 v2, v[4:5], off
	v_ashrrev_i32_e32 v4, 31, v3
	v_lshlrev_b64 v[4:5], 2, v[3:4]
	v_add_nc_u32_e32 v3, s10, v3
	s_delay_alu instid0(VALU_DEP_1) | instskip(NEXT) | instid1(VALU_DEP_3)
	v_cmp_le_i32_e32 vcc_lo, s14, v3
	v_add_co_u32 v4, s4, s15, v4
	s_delay_alu instid0(VALU_DEP_1)
	v_add_co_ci_u32_e64 v5, s4, s22, v5, s4
	s_or_b32 s20, vcc_lo, s20
	s_waitcnt vmcnt(0)
	global_store_b32 v[4:5], v2, off
	s_and_not1_b32 exec_lo, exec_lo, s20
	s_cbranch_execnz .LBB96_4
.LBB96_5:
	s_or_b32 exec_lo, exec_lo, s5
	v_cmp_eq_u32_e32 vcc_lo, 0, v0
	s_cmpk_lg_i32 s13, 0xd5
	s_waitcnt_vscnt null, 0x0
	s_cselect_b32 s20, -1, 0
	s_barrier
	s_or_b32 s4, vcc_lo, s20
	s_cmpk_lg_i32 s12, 0xfb
	buffer_gl0_inv
	s_cselect_b32 s5, -1, 0
	s_delay_alu instid0(SALU_CYCLE_1) | instskip(SKIP_3) | instid1(SALU_CYCLE_1)
	s_and_b32 s4, s5, s4
	s_cmp_gt_i32 s14, 1
	s_mov_b32 s5, 0
	s_cselect_b32 s8, -1, 0
	s_and_b32 s4, s8, s4
	s_delay_alu instid0(SALU_CYCLE_1)
	s_and_saveexec_b32 s8, s4
	s_cbranch_execz .LBB96_18
; %bb.6:
	s_load_b128 s[8:11], s[0:1], 0x10
	s_mul_i32 s4, s24, s17
	s_mul_hi_u32 s13, s24, s16
	s_mul_i32 s17, s25, s16
	s_add_i32 s4, s13, s4
	s_mul_i32 s12, s24, s16
	s_add_i32 s13, s4, s17
	v_mov_b32_e32 v1, 0
	s_lshl_b64 s[12:13], s[12:13], 3
	s_waitcnt lgkmcnt(0)
	s_ashr_i32 s17, s10, 31
	s_mov_b32 s16, s10
	s_add_u32 s4, s8, s12
	s_addc_u32 s12, s9, s13
	s_lshl_b64 s[8:9], s[16:17], 3
	s_mov_b32 s10, 0
	s_add_u32 s21, s4, s8
	s_addc_u32 s23, s12, s9
	s_add_u32 s0, s0, 0x68
	s_addc_u32 s1, s1, 0
	s_add_i32 s24, s14, -2
	s_add_u32 s4, s18, s6
	s_addc_u32 s7, s19, s7
	s_add_u32 s6, s4, 4
	s_addc_u32 s7, s7, 0
	s_mov_b32 s18, 0
	s_branch .LBB96_9
.LBB96_7:                               ;   in Loop: Header=BB96_9 Depth=1
	s_or_b32 exec_lo, exec_lo, s9
	s_waitcnt_vscnt null, 0x0
	s_barrier
	buffer_gl0_inv
.LBB96_8:                               ;   in Loop: Header=BB96_9 Depth=1
	s_add_u32 s6, s6, 4
	s_addc_u32 s7, s7, 0
	s_add_i32 s10, s10, s11
	s_cmp_lg_u32 s4, s24
	s_cbranch_scc0 .LBB96_18
.LBB96_9:                               ; =>This Loop Header: Depth=1
                                        ;     Child Loop BB96_10 Depth 2
                                        ;     Child Loop BB96_17 Depth 2
	s_mov_b32 s4, s18
	s_mov_b64 s[16:17], s[6:7]
	s_lshl_b64 s[8:9], s[4:5], 2
	s_delay_alu instid0(SALU_CYCLE_1)
	s_add_u32 s12, s15, s8
	s_addc_u32 s13, s22, s9
	s_add_i32 s18, s18, 1
	global_load_b32 v2, v1, s[12:13]
	s_mov_b32 s9, s18
	s_mov_b32 s8, s4
.LBB96_10:                              ;   Parent Loop BB96_9 Depth=1
                                        ; =>  This Inner Loop Header: Depth=2
	global_load_b32 v3, v1, s[16:17]
	s_waitcnt vmcnt(0)
	v_cmp_lt_f32_e32 vcc_lo, v3, v2
	s_and_b32 s19, vcc_lo, exec_lo
	v_cndmask_b32_e32 v2, v2, v3, vcc_lo
	s_cselect_b32 s8, s9, s8
	s_add_i32 s9, s9, 1
	s_add_u32 s16, s16, 4
	s_addc_u32 s17, s17, 0
	s_cmp_lt_i32 s9, s14
	s_cbranch_scc1 .LBB96_10
; %bb.11:                               ;   in Loop: Header=BB96_9 Depth=1
	s_cmp_eq_u32 s8, s4
	s_waitcnt_vscnt null, 0x0
	s_barrier
	buffer_gl0_inv
	s_cbranch_scc1 .LBB96_8
; %bb.12:                               ;   in Loop: Header=BB96_9 Depth=1
	s_and_saveexec_b32 s16, s2
	s_cbranch_execz .LBB96_14
; %bb.13:                               ;   in Loop: Header=BB96_9 Depth=1
	global_load_b32 v3, v1, s[12:13]
	s_ashr_i32 s9, s8, 31
	s_delay_alu instid0(SALU_CYCLE_1) | instskip(NEXT) | instid1(SALU_CYCLE_1)
	s_lshl_b64 s[26:27], s[8:9], 2
	s_add_u32 s26, s15, s26
	s_addc_u32 s27, s22, s27
	s_waitcnt vmcnt(0)
	s_clause 0x1
	global_store_b32 v1, v3, s[26:27]
	global_store_b32 v1, v2, s[12:13]
.LBB96_14:                              ;   in Loop: Header=BB96_9 Depth=1
	s_or_b32 exec_lo, exec_lo, s16
	s_delay_alu instid0(SALU_CYCLE_1)
	s_and_not1_b32 vcc_lo, exec_lo, s20
	s_cbranch_vccnz .LBB96_8
; %bb.15:                               ;   in Loop: Header=BB96_9 Depth=1
	s_and_saveexec_b32 s9, s3
	s_cbranch_execz .LBB96_7
; %bb.16:                               ;   in Loop: Header=BB96_9 Depth=1
	s_load_b32 s12, s[0:1], 0xc
	v_mov_b32_e32 v2, v0
	s_mul_i32 s8, s8, s11
	s_mov_b32 s13, 0
	s_waitcnt lgkmcnt(0)
	s_and_b32 s12, s12, 0xffff
	.p2align	6
.LBB96_17:                              ;   Parent Loop BB96_9 Depth=1
                                        ; =>  This Inner Loop Header: Depth=2
	v_add_nc_u32_e32 v3, s10, v2
	v_add_nc_u32_e32 v5, s8, v2
	;; [unrolled: 1-line block ×3, first 2 shown]
	s_delay_alu instid0(VALU_DEP_3) | instskip(NEXT) | instid1(VALU_DEP_3)
	v_ashrrev_i32_e32 v4, 31, v3
	v_ashrrev_i32_e32 v6, 31, v5
	s_delay_alu instid0(VALU_DEP_2) | instskip(NEXT) | instid1(VALU_DEP_2)
	v_lshlrev_b64 v[3:4], 3, v[3:4]
	v_lshlrev_b64 v[5:6], 3, v[5:6]
	s_delay_alu instid0(VALU_DEP_2) | instskip(NEXT) | instid1(VALU_DEP_3)
	v_add_co_u32 v3, vcc_lo, s21, v3
	v_add_co_ci_u32_e32 v4, vcc_lo, s23, v4, vcc_lo
	s_delay_alu instid0(VALU_DEP_3) | instskip(NEXT) | instid1(VALU_DEP_4)
	v_add_co_u32 v5, vcc_lo, s21, v5
	v_add_co_ci_u32_e32 v6, vcc_lo, s23, v6, vcc_lo
	v_cmp_le_i32_e32 vcc_lo, s14, v2
	s_clause 0x1
	global_load_b64 v[7:8], v[3:4], off
	global_load_b64 v[9:10], v[5:6], off
	s_waitcnt vmcnt(1)
	global_store_b64 v[5:6], v[7:8], off
	s_waitcnt vmcnt(0)
	global_store_b64 v[3:4], v[9:10], off
	s_or_b32 s13, vcc_lo, s13
	s_delay_alu instid0(SALU_CYCLE_1)
	s_and_not1_b32 exec_lo, exec_lo, s13
	s_cbranch_execnz .LBB96_17
	s_branch .LBB96_7
.LBB96_18:
	s_nop 0
	s_sendmsg sendmsg(MSG_DEALLOC_VGPRS)
	s_endpgm
	.section	.rodata,"a",@progbits
	.p2align	6, 0x0
	.amdhsa_kernel _ZN9rocsolver6v33100L14syevj_finalizeI19rocblas_complex_numIfEfPS3_EEv14rocblas_esort_14rocblas_evect_iT1_iilPT0_iPiS9_lSA_PT_SA_
		.amdhsa_group_segment_fixed_size 0
		.amdhsa_private_segment_fixed_size 0
		.amdhsa_kernarg_size 360
		.amdhsa_user_sgpr_count 14
		.amdhsa_user_sgpr_dispatch_ptr 0
		.amdhsa_user_sgpr_queue_ptr 0
		.amdhsa_user_sgpr_kernarg_segment_ptr 1
		.amdhsa_user_sgpr_dispatch_id 0
		.amdhsa_user_sgpr_private_segment_size 0
		.amdhsa_wavefront_size32 1
		.amdhsa_uses_dynamic_stack 0
		.amdhsa_enable_private_segment 0
		.amdhsa_system_sgpr_workgroup_id_x 1
		.amdhsa_system_sgpr_workgroup_id_y 1
		.amdhsa_system_sgpr_workgroup_id_z 0
		.amdhsa_system_sgpr_workgroup_info 0
		.amdhsa_system_vgpr_workitem_id 0
		.amdhsa_next_free_vgpr 11
		.amdhsa_next_free_sgpr 28
		.amdhsa_reserve_vcc 1
		.amdhsa_float_round_mode_32 0
		.amdhsa_float_round_mode_16_64 0
		.amdhsa_float_denorm_mode_32 3
		.amdhsa_float_denorm_mode_16_64 3
		.amdhsa_dx10_clamp 1
		.amdhsa_ieee_mode 1
		.amdhsa_fp16_overflow 0
		.amdhsa_workgroup_processor_mode 1
		.amdhsa_memory_ordered 1
		.amdhsa_forward_progress 0
		.amdhsa_shared_vgpr_count 0
		.amdhsa_exception_fp_ieee_invalid_op 0
		.amdhsa_exception_fp_denorm_src 0
		.amdhsa_exception_fp_ieee_div_zero 0
		.amdhsa_exception_fp_ieee_overflow 0
		.amdhsa_exception_fp_ieee_underflow 0
		.amdhsa_exception_fp_ieee_inexact 0
		.amdhsa_exception_int_div_zero 0
	.end_amdhsa_kernel
	.section	.text._ZN9rocsolver6v33100L14syevj_finalizeI19rocblas_complex_numIfEfPS3_EEv14rocblas_esort_14rocblas_evect_iT1_iilPT0_iPiS9_lSA_PT_SA_,"axG",@progbits,_ZN9rocsolver6v33100L14syevj_finalizeI19rocblas_complex_numIfEfPS3_EEv14rocblas_esort_14rocblas_evect_iT1_iilPT0_iPiS9_lSA_PT_SA_,comdat
.Lfunc_end96:
	.size	_ZN9rocsolver6v33100L14syevj_finalizeI19rocblas_complex_numIfEfPS3_EEv14rocblas_esort_14rocblas_evect_iT1_iilPT0_iPiS9_lSA_PT_SA_, .Lfunc_end96-_ZN9rocsolver6v33100L14syevj_finalizeI19rocblas_complex_numIfEfPS3_EEv14rocblas_esort_14rocblas_evect_iT1_iilPT0_iPiS9_lSA_PT_SA_
                                        ; -- End function
	.section	.AMDGPU.csdata,"",@progbits
; Kernel info:
; codeLenInByte = 1224
; NumSgprs: 30
; NumVgprs: 11
; ScratchSize: 0
; MemoryBound: 0
; FloatMode: 240
; IeeeMode: 1
; LDSByteSize: 0 bytes/workgroup (compile time only)
; SGPRBlocks: 3
; VGPRBlocks: 1
; NumSGPRsForWavesPerEU: 30
; NumVGPRsForWavesPerEU: 11
; Occupancy: 16
; WaveLimiterHint : 0
; COMPUTE_PGM_RSRC2:SCRATCH_EN: 0
; COMPUTE_PGM_RSRC2:USER_SGPR: 14
; COMPUTE_PGM_RSRC2:TRAP_HANDLER: 0
; COMPUTE_PGM_RSRC2:TGID_X_EN: 1
; COMPUTE_PGM_RSRC2:TGID_Y_EN: 1
; COMPUTE_PGM_RSRC2:TGID_Z_EN: 0
; COMPUTE_PGM_RSRC2:TIDIG_COMP_CNT: 0
	.section	.text._ZN9rocsolver6v33100L18geqr2_kernel_smallILi256E19rocblas_complex_numIfEifPS3_EEvT1_S5_T3_lS5_lPT2_lPT0_l,"axG",@progbits,_ZN9rocsolver6v33100L18geqr2_kernel_smallILi256E19rocblas_complex_numIfEifPS3_EEvT1_S5_T3_lS5_lPT2_lPT0_l,comdat
	.globl	_ZN9rocsolver6v33100L18geqr2_kernel_smallILi256E19rocblas_complex_numIfEifPS3_EEvT1_S5_T3_lS5_lPT2_lPT0_l ; -- Begin function _ZN9rocsolver6v33100L18geqr2_kernel_smallILi256E19rocblas_complex_numIfEifPS3_EEvT1_S5_T3_lS5_lPT2_lPT0_l
	.p2align	8
	.type	_ZN9rocsolver6v33100L18geqr2_kernel_smallILi256E19rocblas_complex_numIfEifPS3_EEvT1_S5_T3_lS5_lPT2_lPT0_l,@function
_ZN9rocsolver6v33100L18geqr2_kernel_smallILi256E19rocblas_complex_numIfEifPS3_EEvT1_S5_T3_lS5_lPT2_lPT0_l: ; @_ZN9rocsolver6v33100L18geqr2_kernel_smallILi256E19rocblas_complex_numIfEifPS3_EEvT1_S5_T3_lS5_lPT2_lPT0_l
; %bb.0:
	s_clause 0x4
	s_load_b256 s[4:11], s[0:1], 0x20
	s_load_b64 s[12:13], s[0:1], 0x0
	s_load_b128 s[24:27], s[0:1], 0x8
	s_load_b32 s17, s[0:1], 0x18
	s_load_b64 s[2:3], s[0:1], 0x40
	s_ashr_i32 s21, s15, 31
	v_and_b32_e32 v1, 0x7f, v0
	v_lshrrev_b32_e32 v5, 7, v0
	s_delay_alu instid0(VALU_DEP_2)
	v_lshlrev_b32_e32 v6, 3, v1
	s_waitcnt lgkmcnt(0)
	s_mul_i32 s0, s15, s5
	s_mul_hi_u32 s1, s15, s4
	s_mul_i32 s5, s21, s4
	s_add_i32 s1, s1, s0
	s_mul_i32 s0, s15, s4
	s_add_i32 s1, s1, s5
	s_delay_alu instid0(SALU_CYCLE_1) | instskip(SKIP_4) | instid1(SALU_CYCLE_1)
	s_lshl_b64 s[4:5], s[0:1], 3
	v_cmp_gt_i32_e64 s0, s12, v1
	s_add_u32 s1, s24, s4
	s_addc_u32 s16, s25, s5
	s_lshl_b64 s[4:5], s[26:27], 3
	s_add_u32 s14, s1, s4
	s_addc_u32 s16, s16, s5
	s_and_saveexec_b32 s4, s0
	s_cbranch_execz .LBB97_6
; %bb.1:
	v_lshrrev_b32_e32 v7, 7, v0
	s_mov_b32 s5, 0
	s_lshl_b32 s18, s12, 4
	s_lshl_b32 s19, s17, 1
	v_mov_b32_e32 v9, v1
	v_mul_lo_u32 v2, s12, v7
	v_cmp_gt_i32_e32 vcc_lo, s13, v7
	s_delay_alu instid0(VALU_DEP_2) | instskip(SKIP_1) | instid1(VALU_DEP_2)
	v_lshlrev_b32_e32 v4, 3, v2
	v_mad_u64_u32 v[2:3], null, s17, v7, v[1:2]
	v_add3_u32 v8, v4, v6, 0
	s_set_inst_prefetch_distance 0x1
	s_branch .LBB97_3
	.p2align	6
.LBB97_2:                               ;   in Loop: Header=BB97_3 Depth=1
	s_or_b32 exec_lo, exec_lo, s20
	v_add_nc_u32_e32 v9, 0x80, v9
	v_add_nc_u32_e32 v8, 0x400, v8
	;; [unrolled: 1-line block ×3, first 2 shown]
	s_delay_alu instid0(VALU_DEP_3) | instskip(NEXT) | instid1(VALU_DEP_1)
	v_cmp_le_i32_e64 s1, s12, v9
	s_or_b32 s5, s1, s5
	s_delay_alu instid0(SALU_CYCLE_1)
	s_and_not1_b32 exec_lo, exec_lo, s5
	s_cbranch_execz .LBB97_6
.LBB97_3:                               ; =>This Loop Header: Depth=1
                                        ;     Child Loop BB97_5 Depth 2
	s_and_saveexec_b32 s20, vcc_lo
	s_cbranch_execz .LBB97_2
; %bb.4:                                ;   in Loop: Header=BB97_3 Depth=1
	s_delay_alu instid0(VALU_DEP_2)
	v_dual_mov_b32 v3, v2 :: v_dual_mov_b32 v10, v8
	v_mov_b32_e32 v11, v7
	s_mov_b32 s22, 0
	.p2align	6
.LBB97_5:                               ;   Parent Loop BB97_3 Depth=1
                                        ; =>  This Inner Loop Header: Depth=2
	s_delay_alu instid0(VALU_DEP_2) | instskip(NEXT) | instid1(VALU_DEP_2)
	v_ashrrev_i32_e32 v4, 31, v3
	v_add_nc_u32_e32 v11, 2, v11
	s_delay_alu instid0(VALU_DEP_2) | instskip(SKIP_1) | instid1(VALU_DEP_2)
	v_lshlrev_b64 v[12:13], 3, v[3:4]
	v_add_nc_u32_e32 v3, s19, v3
	v_add_co_u32 v12, s1, s14, v12
	s_delay_alu instid0(VALU_DEP_1)
	v_add_co_ci_u32_e64 v13, s1, s16, v13, s1
	v_cmp_le_i32_e64 s1, s13, v11
	global_load_b64 v[12:13], v[12:13], off
	s_or_b32 s22, s1, s22
	s_waitcnt vmcnt(0)
	ds_store_b64 v10, v[12:13]
	v_add_nc_u32_e32 v10, s18, v10
	s_and_not1_b32 exec_lo, exec_lo, s22
	s_cbranch_execnz .LBB97_5
	s_branch .LBB97_2
.LBB97_6:
	s_set_inst_prefetch_distance 0x2
	s_or_b32 exec_lo, exec_lo, s4
	s_min_i32 s18, s13, s12
	s_waitcnt lgkmcnt(0)
	s_cmp_lt_i32 s18, 1
	s_barrier
	buffer_gl0_inv
	s_cbranch_scc1 .LBB97_44
; %bb.7:
	v_mbcnt_lo_u32_b32 v2, -1, 0
	s_mul_i32 s1, s15, s9
	s_mul_hi_u32 s4, s15, s8
	s_mul_i32 s5, s21, s8
	s_add_i32 s1, s4, s1
	v_cmp_ne_u32_e32 vcc_lo, 31, v2
	s_mul_i32 s4, s15, s8
	s_add_i32 s5, s1, s5
	s_mul_i32 s1, s15, s3
	s_lshl_b64 s[4:5], s[4:5], 2
	v_add_co_ci_u32_e32 v3, vcc_lo, 0, v2, vcc_lo
	v_cmp_gt_u32_e32 vcc_lo, 30, v2
	s_mul_hi_u32 s3, s15, s2
	s_add_u32 s19, s6, s4
	s_addc_u32 s20, s7, s5
	s_add_i32 s1, s3, s1
	v_cndmask_b32_e64 v4, 0, 1, vcc_lo
	v_cmp_gt_u32_e32 vcc_lo, 28, v2
	s_mul_i32 s3, s21, s2
	s_mul_i32 s2, s15, s2
	s_add_i32 s3, s1, s3
	v_lshlrev_b32_e32 v7, 2, v3
	v_cndmask_b32_e64 v8, 0, 1, vcc_lo
	v_cmp_gt_u32_e32 vcc_lo, 24, v2
	v_dual_mov_b32 v16, 1.0 :: v_dual_lshlrev_b32 v3, 1, v4
	s_lshl_b64 s[2:3], s[2:3], 3
	s_delay_alu instid0(VALU_DEP_3)
	v_lshlrev_b32_e32 v4, 2, v8
	v_cndmask_b32_e64 v9, 0, 1, vcc_lo
	v_cmp_gt_u32_e32 vcc_lo, 16, v2
	s_mul_i32 s1, s13, s12
	s_add_u32 s15, s10, s2
	s_addc_u32 s21, s11, s3
	v_lshlrev_b32_e32 v11, 3, v9
	v_cndmask_b32_e64 v10, 0, 1, vcc_lo
	s_lshl_b32 s1, s1, 3
	v_add_lshl_u32 v8, v3, v2, 2
	v_add_lshl_u32 v9, v4, v2, 2
	s_add_i32 s22, s1, 0
	v_lshlrev_b32_e32 v12, 4, v10
	v_add_lshl_u32 v10, v11, v2, 2
	s_lshl_b32 s1, s13, 3
	v_and_b32_e32 v13, 31, v0
	s_add_i32 s23, s22, s1
	v_add_lshl_u32 v11, v12, v2, 2
	v_mad_u64_u32 v[2:3], null, s12, v0, s[12:13]
	v_lshrrev_b32_e32 v4, 2, v0
	v_lshlrev_b32_e32 v3, 3, v0
	s_cmp_lg_u64 s[6:7], 0
	v_cmp_eq_u32_e64 s1, 0, v13
	s_cselect_b32 s7, -1, 0
	s_lshl_b32 s24, s12, 3
	v_cmp_eq_u32_e64 s2, 0, v0
	v_add3_u32 v12, v3, 0, 8
	v_lshl_add_u32 v13, v2, 3, 0
	v_add3_u32 v14, 0, s24, v3
	v_dual_mov_b32 v2, 0 :: v_dual_add_nc_u32 v15, s23, v4
	s_mov_b32 s9, 0
	s_add_i32 s25, s24, 8
	s_lshl_b32 s26, s12, 11
	s_mov_b32 s27, 0
	s_mov_b32 s8, s9
	s_branch .LBB97_9
.LBB97_8:                               ;   in Loop: Header=BB97_9 Depth=1
	s_set_inst_prefetch_distance 0x2
	s_or_b32 exec_lo, exec_lo, s4
	v_add_nc_u32_e32 v12, s25, v12
	v_add_nc_u32_e32 v13, s25, v13
	;; [unrolled: 1-line block ×3, first 2 shown]
	s_add_i32 s8, s8, 1
	s_add_i32 s27, s27, s25
	s_cmp_eq_u32 s8, s18
	s_waitcnt lgkmcnt(0)
	s_barrier
	buffer_gl0_inv
	s_cbranch_scc1 .LBB97_44
.LBB97_9:                               ; =>This Loop Header: Depth=1
                                        ;     Child Loop BB97_11 Depth 2
                                        ;     Child Loop BB97_30 Depth 2
                                        ;     Child Loop BB97_34 Depth 2
                                        ;       Child Loop BB97_36 Depth 3
                                        ;     Child Loop BB97_40 Depth 2
                                        ;       Child Loop BB97_42 Depth 3
	s_sub_i32 s28, s12, s8
	v_dual_mov_b32 v3, 0 :: v_dual_mov_b32 v4, 0
	s_add_i32 s30, s28, -1
	s_delay_alu instid0(SALU_CYCLE_1) | instskip(NEXT) | instid1(VALU_DEP_1)
	v_cmp_gt_i32_e64 s3, s30, v0
	s_and_saveexec_b32 s4, s3
	s_cbranch_execz .LBB97_13
; %bb.10:                               ;   in Loop: Header=BB97_9 Depth=1
	v_dual_mov_b32 v3, 0 :: v_dual_mov_b32 v18, v0
	v_dual_mov_b32 v17, v12 :: v_dual_mov_b32 v4, 0
	s_mov_b32 s5, 0
	.p2align	6
.LBB97_11:                              ;   Parent Loop BB97_9 Depth=1
                                        ; =>  This Inner Loop Header: Depth=2
	ds_load_b64 v[19:20], v17
	v_add_nc_u32_e32 v18, 0x100, v18
	v_add_nc_u32_e32 v17, 0x800, v17
	s_delay_alu instid0(VALU_DEP_2) | instskip(SKIP_4) | instid1(VALU_DEP_2)
	v_cmp_le_i32_e32 vcc_lo, s30, v18
	s_or_b32 s5, vcc_lo, s5
	s_waitcnt lgkmcnt(0)
	v_mul_f32_e32 v21, v20, v20
	v_mul_f32_e32 v22, v20, v19
	v_fmac_f32_e32 v21, v19, v19
	s_delay_alu instid0(VALU_DEP_2) | instskip(NEXT) | instid1(VALU_DEP_1)
	v_fma_f32 v19, v19, v20, -v22
	v_dual_add_f32 v4, v4, v21 :: v_dual_add_f32 v3, v3, v19
	s_and_not1_b32 exec_lo, exec_lo, s5
	s_cbranch_execnz .LBB97_11
; %bb.12:                               ;   in Loop: Header=BB97_9 Depth=1
	s_or_b32 exec_lo, exec_lo, s5
.LBB97_13:                              ;   in Loop: Header=BB97_9 Depth=1
	s_delay_alu instid0(SALU_CYCLE_1)
	s_or_b32 exec_lo, exec_lo, s4
	ds_bpermute_b32 v17, v7, v4
	ds_bpermute_b32 v18, v7, v3
	s_waitcnt lgkmcnt(0)
	v_dual_add_f32 v4, v4, v17 :: v_dual_add_f32 v3, v3, v18
	ds_bpermute_b32 v17, v8, v4
	ds_bpermute_b32 v18, v8, v3
	s_waitcnt lgkmcnt(0)
	v_dual_add_f32 v4, v4, v17 :: v_dual_add_f32 v3, v3, v18
	;; [unrolled: 4-line block ×4, first 2 shown]
	ds_bpermute_b32 v3, v11, v19
	ds_bpermute_b32 v17, v11, v4
	s_waitcnt lgkmcnt(1)
	v_add_f32_e32 v3, v19, v3
	s_and_saveexec_b32 s4, s1
	s_cbranch_execz .LBB97_15
; %bb.14:                               ;   in Loop: Header=BB97_9 Depth=1
	s_waitcnt lgkmcnt(0)
	v_add_f32_e32 v4, v4, v17
	ds_store_2addr_b32 v15, v3, v4 offset0:2 offset1:3
.LBB97_15:                              ;   in Loop: Header=BB97_9 Depth=1
	s_or_b32 exec_lo, exec_lo, s4
	s_lshl_b32 s4, s8, 3
	s_mul_i32 s5, s8, s12
	s_add_i32 s29, s4, 0
	s_lshl_b32 s4, s5, 3
	s_waitcnt lgkmcnt(0)
	s_add_i32 s29, s29, s4
	s_barrier
	buffer_gl0_inv
	s_and_saveexec_b32 s31, s2
	s_cbranch_execz .LBB97_28
; %bb.16:                               ;   in Loop: Header=BB97_9 Depth=1
	v_mov_b32_e32 v4, s23
	s_lshl_b64 s[4:5], s[8:9], 2
	s_mov_b32 s34, 0
	s_add_u32 s10, s19, s4
	s_addc_u32 s11, s20, s5
	ds_load_2addr_b32 v[17:18], v4 offset0:4 offset1:6
	ds_load_2addr_b32 v[19:20], v4 offset0:8 offset1:10
	s_mov_b32 s6, exec_lo
                                        ; implicit-def: $sgpr4
                                        ; implicit-def: $sgpr5
                                        ; implicit-def: $sgpr33
                                        ; implicit-def: $sgpr35
	s_waitcnt lgkmcnt(1)
	v_add_f32_e32 v3, v3, v17
	ds_load_2addr_b32 v[21:22], v4 offset0:12 offset1:14
	v_add_f32_e32 v3, v3, v18
	s_waitcnt lgkmcnt(1)
	s_delay_alu instid0(VALU_DEP_1) | instskip(SKIP_4) | instid1(VALU_DEP_1)
	v_dual_mov_b32 v17, s29 :: v_dual_add_f32 v18, v3, v19
	ds_load_b32 v4, v4 offset:64
	ds_load_b32 v3, v17 offset:4
	v_add_f32_e32 v17, v18, v20
	s_waitcnt lgkmcnt(2)
	v_add_f32_e32 v17, v17, v21
	s_delay_alu instid0(VALU_DEP_1) | instskip(SKIP_1) | instid1(VALU_DEP_1)
	v_add_f32_e32 v17, v17, v22
	s_waitcnt lgkmcnt(0)
	v_dual_add_f32 v17, v17, v4 :: v_dual_mul_f32 v4, v3, v3
	s_delay_alu instid0(VALU_DEP_1) | instskip(NEXT) | instid1(VALU_DEP_1)
	v_max_f32_e32 v18, v17, v4
	v_cmpx_nlt_f32_e32 0, v18
	s_xor_b32 s6, exec_lo, s6
	s_cbranch_execz .LBB97_20
; %bb.17:                               ;   in Loop: Header=BB97_9 Depth=1
	v_dual_mov_b32 v3, v2 :: v_dual_mov_b32 v4, s23
	s_mov_b32 s33, 0
	s_and_b32 vcc_lo, exec_lo, s7
                                        ; implicit-def: $sgpr4
                                        ; implicit-def: $sgpr5
	ds_store_b64 v4, v[2:3]
	s_cbranch_vccz .LBB97_19
; %bb.18:                               ;   in Loop: Header=BB97_9 Depth=1
	v_mov_b32_e32 v3, s29
	s_mov_b32 s34, -1
	s_mov_b32 s5, 1.0
	s_mov_b32 s4, 0
	ds_load_b32 v4, v3
	ds_store_b32 v3, v16
	s_waitcnt lgkmcnt(1)
	global_store_b32 v2, v4, s[10:11]
.LBB97_19:                              ;   in Loop: Header=BB97_9 Depth=1
	s_mov_b32 s35, 1.0
	s_and_b32 s34, s34, exec_lo
                                        ; implicit-def: $vgpr4
                                        ; implicit-def: $vgpr17
                                        ; implicit-def: $vgpr3
.LBB97_20:                              ;   in Loop: Header=BB97_9 Depth=1
	s_or_saveexec_b32 s36, s6
	v_dual_mov_b32 v18, s4 :: v_dual_mov_b32 v19, s5
	s_xor_b32 exec_lo, exec_lo, s36
	s_cbranch_execz .LBB97_25
; %bb.21:                               ;   in Loop: Header=BB97_9 Depth=1
	v_mov_b32_e32 v18, s29
	ds_load_b32 v18, v18
	s_waitcnt lgkmcnt(0)
	v_fma_f32 v19, v18, v18, v4
	s_delay_alu instid0(VALU_DEP_1) | instskip(NEXT) | instid1(VALU_DEP_1)
	v_add_f32_e32 v17, v17, v19
	v_mul_f32_e32 v19, 0x4f800000, v17
	v_cmp_gt_f32_e32 vcc_lo, 0xf800000, v17
	s_delay_alu instid0(VALU_DEP_2) | instskip(NEXT) | instid1(VALU_DEP_1)
	v_cndmask_b32_e32 v17, v17, v19, vcc_lo
	v_sqrt_f32_e32 v19, v17
	s_waitcnt_depctr 0xfff
	v_add_nc_u32_e32 v20, -1, v19
	v_add_nc_u32_e32 v21, 1, v19
	s_delay_alu instid0(VALU_DEP_2) | instskip(NEXT) | instid1(VALU_DEP_2)
	v_fma_f32 v22, -v20, v19, v17
	v_fma_f32 v23, -v21, v19, v17
	s_delay_alu instid0(VALU_DEP_2) | instskip(NEXT) | instid1(VALU_DEP_1)
	v_cmp_ge_f32_e64 s4, 0, v22
	v_cndmask_b32_e64 v19, v19, v20, s4
	s_delay_alu instid0(VALU_DEP_3) | instskip(NEXT) | instid1(VALU_DEP_1)
	v_cmp_lt_f32_e64 s4, 0, v23
	v_cndmask_b32_e64 v19, v19, v21, s4
	s_delay_alu instid0(VALU_DEP_1) | instskip(NEXT) | instid1(VALU_DEP_1)
	v_mul_f32_e32 v20, 0x37800000, v19
	v_cndmask_b32_e32 v19, v19, v20, vcc_lo
	v_cmp_class_f32_e64 vcc_lo, v17, 0x260
	s_delay_alu instid0(VALU_DEP_2) | instskip(SKIP_1) | instid1(VALU_DEP_2)
	v_cndmask_b32_e32 v17, v19, v17, vcc_lo
	v_cmp_le_f32_e32 vcc_lo, 0, v18
	v_cndmask_b32_e64 v17, v17, -v17, vcc_lo
	s_delay_alu instid0(VALU_DEP_1) | instskip(SKIP_2) | instid1(VALU_DEP_3)
	v_dual_sub_f32 v19, v18, v17 :: v_dual_sub_f32 v18, v17, v18
	v_div_scale_f32 v20, null, v17, v17, -v3
	v_div_scale_f32 v28, s4, -v3, v17, -v3
	v_div_scale_f32 v21, null, v17, v17, v18
	s_delay_alu instid0(VALU_DEP_3) | instskip(SKIP_1) | instid1(VALU_DEP_2)
	v_rcp_f32_e32 v24, v20
	v_div_scale_f32 v29, s5, v18, v17, v18
	v_rcp_f32_e32 v25, v21
	s_waitcnt_depctr 0xfff
	v_fma_f32 v31, -v20, v24, 1.0
	v_fma_f32 v32, -v21, v25, 1.0
	v_fmac_f32_e32 v4, v19, v19
	s_delay_alu instid0(VALU_DEP_2) | instskip(NEXT) | instid1(VALU_DEP_2)
	v_dual_fmac_f32 v24, v31, v24 :: v_dual_fmac_f32 v25, v32, v25
	v_div_scale_f32 v22, null, v4, v4, v19
	v_div_scale_f32 v23, null, v4, v4, -v3
	v_div_scale_f32 v30, vcc_lo, v19, v4, v19
	s_delay_alu instid0(VALU_DEP_3) | instskip(NEXT) | instid1(VALU_DEP_2)
	v_rcp_f32_e32 v26, v22
	v_rcp_f32_e32 v27, v23
	v_div_scale_f32 v35, s6, -v3, v4, -v3
	s_waitcnt_depctr 0xfff
	v_fma_f32 v33, -v22, v26, 1.0
	v_fma_f32 v34, -v23, v27, 1.0
	s_delay_alu instid0(VALU_DEP_2) | instskip(NEXT) | instid1(VALU_DEP_1)
	v_fmac_f32_e32 v26, v33, v26
	v_mul_f32_e32 v32, v30, v26
	s_delay_alu instid0(VALU_DEP_1) | instskip(NEXT) | instid1(VALU_DEP_1)
	v_fma_f32 v37, -v22, v32, v30
	v_dual_fmac_f32 v27, v34, v27 :: v_dual_fmac_f32 v32, v37, v26
	s_delay_alu instid0(VALU_DEP_1) | instskip(NEXT) | instid1(VALU_DEP_2)
	v_dual_mul_f32 v31, v28, v24 :: v_dual_mul_f32 v34, v35, v27
	v_fma_f32 v22, -v22, v32, v30
	s_delay_alu instid0(VALU_DEP_2) | instskip(NEXT) | instid1(VALU_DEP_3)
	v_fma_f32 v36, -v20, v31, v28
	v_fma_f32 v39, -v23, v34, v35
	v_mul_f32_e32 v33, v29, v25
	s_delay_alu instid0(VALU_DEP_4) | instskip(NEXT) | instid1(VALU_DEP_3)
	v_div_fmas_f32 v22, v22, v26, v32
	v_dual_fmac_f32 v31, v36, v24 :: v_dual_fmac_f32 v34, v39, v27
	s_delay_alu instid0(VALU_DEP_3) | instskip(SKIP_1) | instid1(VALU_DEP_3)
	v_fma_f32 v38, -v21, v33, v29
	s_mov_b32 vcc_lo, s6
	v_div_fixup_f32 v19, v22, v4, v19
	s_delay_alu instid0(VALU_DEP_3) | instskip(SKIP_2) | instid1(VALU_DEP_2)
	v_fma_f32 v20, -v20, v31, v28
	v_fma_f32 v23, -v23, v34, v35
	v_fmac_f32_e32 v33, v38, v25
	v_div_fmas_f32 v23, v23, v27, v34
	s_delay_alu instid0(VALU_DEP_2) | instskip(SKIP_1) | instid1(VALU_DEP_1)
	v_fma_f32 v21, -v21, v33, v29
	s_mov_b32 vcc_lo, s5
	v_div_fmas_f32 v21, v21, v25, v33
	s_mov_b32 vcc_lo, s4
	v_mov_b32_e32 v25, s23
	v_div_fmas_f32 v24, v20, v24, v31
	s_and_b32 vcc_lo, exec_lo, s7
	v_div_fixup_f32 v20, v21, v17, v18
	v_div_fixup_f32 v18, v23, v4, -v3
	s_delay_alu instid0(VALU_DEP_3)
	v_div_fixup_f32 v21, v24, v17, -v3
	ds_store_b64 v25, v[20:21]
	s_cbranch_vccz .LBB97_43
; %bb.22:                               ;   in Loop: Header=BB97_9 Depth=1
	v_mov_b32_e32 v3, s29
	global_store_b32 v2, v17, s[10:11]
	ds_store_b32 v3, v16
	s_cbranch_execnz .LBB97_24
.LBB97_23:                              ;   in Loop: Header=BB97_9 Depth=1
	v_mov_b32_e32 v3, s29
	ds_store_b32 v3, v17
.LBB97_24:                              ;   in Loop: Header=BB97_9 Depth=1
	s_or_b32 s34, s34, exec_lo
.LBB97_25:                              ;   in Loop: Header=BB97_9 Depth=1
	s_or_b32 exec_lo, exec_lo, s36
	v_dual_mov_b32 v3, s35 :: v_dual_mov_b32 v4, s33
	s_and_saveexec_b32 s4, s34
	s_cbranch_execz .LBB97_27
; %bb.26:                               ;   in Loop: Header=BB97_9 Depth=1
	v_dual_mov_b32 v17, s29 :: v_dual_mov_b32 v4, v18
	v_mov_b32_e32 v3, v19
	ds_store_b32 v17, v2 offset:4
.LBB97_27:                              ;   in Loop: Header=BB97_9 Depth=1
	s_or_b32 exec_lo, exec_lo, s4
	v_mov_b32_e32 v19, s23
	s_lshl_b64 s[4:5], s[8:9], 3
	s_delay_alu instid0(SALU_CYCLE_1)
	s_add_u32 s4, s15, s4
	s_addc_u32 s5, s21, s5
	ds_load_b64 v[17:18], v19
	s_waitcnt lgkmcnt(0)
	global_store_b64 v2, v[17:18], s[4:5]
	v_xor_b32_e32 v18, 0x80000000, v18
	ds_store_2addr_b64 v19, v[17:18], v[3:4] offset1:1
.LBB97_28:                              ;   in Loop: Header=BB97_9 Depth=1
	s_or_b32 exec_lo, exec_lo, s31
	s_waitcnt lgkmcnt(0)
	s_waitcnt_vscnt null, 0x0
	s_barrier
	buffer_gl0_inv
	s_and_saveexec_b32 s4, s3
	s_cbranch_execz .LBB97_31
; %bb.29:                               ;   in Loop: Header=BB97_9 Depth=1
	v_mov_b32_e32 v3, v0
	s_mov_b32 s3, 0
	s_mov_b32 s5, 0
	.p2align	6
.LBB97_30:                              ;   Parent Loop BB97_9 Depth=1
                                        ; =>  This Inner Loop Header: Depth=2
	s_delay_alu instid0(VALU_DEP_1)
	v_dual_mov_b32 v4, s23 :: v_dual_add_nc_u32 v3, 0x100, v3
	v_add_nc_u32_e32 v22, s5, v12
	s_addk_i32 s5, 0x800
	ds_load_b64 v[17:18], v4 offset:8
	ds_load_b64 v[19:20], v22
	v_cmp_le_i32_e32 vcc_lo, s30, v3
	s_or_b32 s3, vcc_lo, s3
	s_waitcnt lgkmcnt(0)
	v_mul_f32_e32 v4, v18, v20
	v_mul_f32_e32 v21, v17, v20
	s_delay_alu instid0(VALU_DEP_2) | instskip(NEXT) | instid1(VALU_DEP_2)
	v_fma_f32 v20, v17, v19, -v4
	v_fmac_f32_e32 v21, v18, v19
	ds_store_b64 v22, v[20:21]
	s_and_not1_b32 exec_lo, exec_lo, s3
	s_cbranch_execnz .LBB97_30
.LBB97_31:                              ;   in Loop: Header=BB97_9 Depth=1
	s_or_b32 exec_lo, exec_lo, s4
	s_not_b32 s3, s8
	s_mov_b32 s4, exec_lo
	s_add_i32 s3, s3, s13
	s_waitcnt lgkmcnt(0)
	s_barrier
	buffer_gl0_inv
	v_cmpx_gt_i32_e64 s3, v0
	s_cbranch_execz .LBB97_37
; %bb.32:                               ;   in Loop: Header=BB97_9 Depth=1
	v_dual_mov_b32 v3, v13 :: v_dual_mov_b32 v4, v0
	s_cmp_gt_i32 s28, 0
	s_mov_b32 s5, 0
	s_cselect_b32 s6, -1, 0
	s_set_inst_prefetch_distance 0x1
	s_branch .LBB97_34
	.p2align	6
.LBB97_33:                              ;   in Loop: Header=BB97_34 Depth=2
	v_mov_b32_e32 v19, s23
	v_lshl_add_u32 v22, v4, 3, s22
	v_add_nc_u32_e32 v4, 0x100, v4
	v_add_nc_u32_e32 v3, s26, v3
	ds_load_b64 v[19:20], v19
	v_cmp_le_i32_e32 vcc_lo, s3, v4
	s_or_b32 s5, vcc_lo, s5
	s_waitcnt lgkmcnt(0)
	v_mul_f32_e32 v23, v17, v20
	v_mul_f32_e32 v21, v18, v20
	s_delay_alu instid0(VALU_DEP_2) | instskip(NEXT) | instid1(VALU_DEP_2)
	v_fma_f32 v20, v18, v19, -v23
	v_fmac_f32_e32 v21, v17, v19
	ds_store_b64 v22, v[20:21]
	s_and_not1_b32 exec_lo, exec_lo, s5
	s_cbranch_execz .LBB97_37
.LBB97_34:                              ;   Parent Loop BB97_9 Depth=1
                                        ; =>  This Loop Header: Depth=2
                                        ;       Child Loop BB97_36 Depth 3
	v_dual_mov_b32 v17, 0 :: v_dual_mov_b32 v18, 0
	s_and_not1_b32 vcc_lo, exec_lo, s6
	s_cbranch_vccnz .LBB97_33
; %bb.35:                               ;   in Loop: Header=BB97_34 Depth=2
	v_dual_mov_b32 v17, 0 :: v_dual_mov_b32 v18, 0
	v_mov_b32_e32 v19, v3
	s_mov_b32 s10, 0
	s_mov_b32 s11, s27
	.p2align	6
.LBB97_36:                              ;   Parent Loop BB97_9 Depth=1
                                        ;     Parent Loop BB97_34 Depth=2
                                        ; =>    This Inner Loop Header: Depth=3
	s_delay_alu instid0(SALU_CYCLE_1)
	v_mov_b32_e32 v22, s11
	s_add_i32 s10, s10, 1
	s_add_i32 s11, s11, 8
	s_cmp_ge_i32 s10, s28
	ds_load_b64 v[20:21], v19
	ds_load_b64 v[22:23], v22
	s_waitcnt lgkmcnt(0)
	v_dual_mul_f32 v24, v23, v21 :: v_dual_add_nc_u32 v19, 8, v19
	v_mul_f32_e32 v23, v23, v20
	s_delay_alu instid0(VALU_DEP_2) | instskip(NEXT) | instid1(VALU_DEP_2)
	v_fmac_f32_e32 v24, v22, v20
	v_fma_f32 v20, v22, v21, -v23
	s_delay_alu instid0(VALU_DEP_2) | instskip(NEXT) | instid1(VALU_DEP_2)
	v_add_f32_e32 v18, v18, v24
	v_add_f32_e32 v17, v17, v20
	s_cbranch_scc0 .LBB97_36
	s_branch .LBB97_33
.LBB97_37:                              ;   in Loop: Header=BB97_9 Depth=1
	s_set_inst_prefetch_distance 0x2
	s_or_b32 exec_lo, exec_lo, s4
	s_delay_alu instid0(SALU_CYCLE_1)
	s_mov_b32 s4, exec_lo
	s_waitcnt lgkmcnt(0)
	s_barrier
	buffer_gl0_inv
	v_cmpx_gt_i32_e64 s28, v0
	s_cbranch_execz .LBB97_8
; %bb.38:                               ;   in Loop: Header=BB97_9 Depth=1
	v_dual_mov_b32 v3, v14 :: v_dual_mov_b32 v4, v0
	s_cmp_gt_i32 s3, 0
	s_mov_b32 s5, 0
	s_cselect_b32 s6, -1, 0
	s_set_inst_prefetch_distance 0x1
	s_branch .LBB97_40
	.p2align	6
.LBB97_39:                              ;   in Loop: Header=BB97_40 Depth=2
	v_add_nc_u32_e32 v4, 0x100, v4
	v_add_nc_u32_e32 v3, 0x800, v3
	s_delay_alu instid0(VALU_DEP_2) | instskip(SKIP_1) | instid1(SALU_CYCLE_1)
	v_cmp_le_i32_e32 vcc_lo, s28, v4
	s_or_b32 s5, vcc_lo, s5
	s_and_not1_b32 exec_lo, exec_lo, s5
	s_cbranch_execz .LBB97_8
.LBB97_40:                              ;   Parent Loop BB97_9 Depth=1
                                        ; =>  This Loop Header: Depth=2
                                        ;       Child Loop BB97_42 Depth 3
	s_and_not1_b32 vcc_lo, exec_lo, s6
	s_cbranch_vccnz .LBB97_39
; %bb.41:                               ;   in Loop: Header=BB97_40 Depth=2
	v_lshl_add_u32 v17, v4, 3, s29
	v_mov_b32_e32 v18, v3
	s_mov_b32 s10, 0
	s_mov_b32 s11, s22
	.p2align	6
.LBB97_42:                              ;   Parent Loop BB97_9 Depth=1
                                        ;     Parent Loop BB97_40 Depth=2
                                        ; =>    This Inner Loop Header: Depth=3
	s_delay_alu instid0(SALU_CYCLE_1)
	v_mov_b32_e32 v21, s11
	s_add_i32 s10, s10, 1
	s_add_i32 s11, s11, 8
	s_cmp_ge_i32 s10, s3
	ds_load_b64 v[19:20], v17
	ds_load_b64 v[21:22], v21
	;; [unrolled: 1-line block ×3, first 2 shown]
	s_waitcnt lgkmcnt(1)
	v_mul_f32_e32 v25, v22, v20
	v_mul_f32_e32 v20, v21, v20
	s_delay_alu instid0(VALU_DEP_2) | instskip(SKIP_1) | instid1(VALU_DEP_1)
	v_fma_f32 v21, v21, v19, -v25
	s_waitcnt lgkmcnt(0)
	v_dual_fmac_f32 v20, v22, v19 :: v_dual_sub_f32 v19, v23, v21
	s_delay_alu instid0(VALU_DEP_1)
	v_sub_f32_e32 v20, v24, v20
	ds_store_b64 v18, v[19:20]
	v_add_nc_u32_e32 v18, s24, v18
	s_cbranch_scc0 .LBB97_42
	s_branch .LBB97_39
.LBB97_43:                              ;   in Loop: Header=BB97_9 Depth=1
	s_branch .LBB97_23
.LBB97_44:
	s_and_saveexec_b32 s1, s0
	s_cbranch_execz .LBB97_50
; %bb.45:
	v_mul_lo_u32 v0, s12, v5
	v_mad_u64_u32 v[2:3], null, s17, v5, v[1:2]
	v_cmp_gt_i32_e32 vcc_lo, s13, v5
	s_lshl_b32 s2, s17, 1
	s_mov_b32 s3, 0
	s_lshl_b32 s4, s12, 4
	s_delay_alu instid0(VALU_DEP_3) | instskip(NEXT) | instid1(VALU_DEP_1)
	v_lshlrev_b32_e32 v0, 3, v0
	v_add3_u32 v0, v0, v6, 0
	s_set_inst_prefetch_distance 0x1
	s_branch .LBB97_47
	.p2align	6
.LBB97_46:                              ;   in Loop: Header=BB97_47 Depth=1
	s_or_b32 exec_lo, exec_lo, s5
	v_add_nc_u32_e32 v1, 0x80, v1
	v_add_nc_u32_e32 v2, 0x80, v2
	;; [unrolled: 1-line block ×3, first 2 shown]
	s_delay_alu instid0(VALU_DEP_3) | instskip(NEXT) | instid1(VALU_DEP_1)
	v_cmp_le_i32_e64 s0, s12, v1
	s_or_b32 s3, s0, s3
	s_delay_alu instid0(SALU_CYCLE_1)
	s_and_not1_b32 exec_lo, exec_lo, s3
	s_cbranch_execz .LBB97_50
.LBB97_47:                              ; =>This Loop Header: Depth=1
                                        ;     Child Loop BB97_49 Depth 2
	s_and_saveexec_b32 s5, vcc_lo
	s_cbranch_execz .LBB97_46
; %bb.48:                               ;   in Loop: Header=BB97_47 Depth=1
	v_dual_mov_b32 v6, v0 :: v_dual_mov_b32 v3, v2
	v_mov_b32_e32 v7, v5
	s_mov_b32 s6, 0
	.p2align	6
.LBB97_49:                              ;   Parent Loop BB97_47 Depth=1
                                        ; =>  This Inner Loop Header: Depth=2
	ds_load_b64 v[8:9], v6
	v_ashrrev_i32_e32 v4, 31, v3
	v_add_nc_u32_e32 v7, 2, v7
	v_add_nc_u32_e32 v6, s4, v6
	s_delay_alu instid0(VALU_DEP_3) | instskip(NEXT) | instid1(VALU_DEP_3)
	v_lshlrev_b64 v[10:11], 3, v[3:4]
	v_cmp_le_i32_e64 s0, s13, v7
	v_add_nc_u32_e32 v3, s2, v3
	s_delay_alu instid0(VALU_DEP_2) | instskip(NEXT) | instid1(VALU_DEP_3)
	s_or_b32 s6, s0, s6
	v_add_co_u32 v10, s1, s14, v10
	s_delay_alu instid0(VALU_DEP_1)
	v_add_co_ci_u32_e64 v11, s1, s16, v11, s1
	s_waitcnt lgkmcnt(0)
	global_store_b64 v[10:11], v[8:9], off
	s_and_not1_b32 exec_lo, exec_lo, s6
	s_cbranch_execnz .LBB97_49
	s_branch .LBB97_46
.LBB97_50:
	s_set_inst_prefetch_distance 0x2
	s_nop 0
	s_sendmsg sendmsg(MSG_DEALLOC_VGPRS)
	s_endpgm
	.section	.rodata,"a",@progbits
	.p2align	6, 0x0
	.amdhsa_kernel _ZN9rocsolver6v33100L18geqr2_kernel_smallILi256E19rocblas_complex_numIfEifPS3_EEvT1_S5_T3_lS5_lPT2_lPT0_l
		.amdhsa_group_segment_fixed_size 0
		.amdhsa_private_segment_fixed_size 0
		.amdhsa_kernarg_size 72
		.amdhsa_user_sgpr_count 14
		.amdhsa_user_sgpr_dispatch_ptr 0
		.amdhsa_user_sgpr_queue_ptr 0
		.amdhsa_user_sgpr_kernarg_segment_ptr 1
		.amdhsa_user_sgpr_dispatch_id 0
		.amdhsa_user_sgpr_private_segment_size 0
		.amdhsa_wavefront_size32 1
		.amdhsa_uses_dynamic_stack 0
		.amdhsa_enable_private_segment 0
		.amdhsa_system_sgpr_workgroup_id_x 1
		.amdhsa_system_sgpr_workgroup_id_y 0
		.amdhsa_system_sgpr_workgroup_id_z 1
		.amdhsa_system_sgpr_workgroup_info 0
		.amdhsa_system_vgpr_workitem_id 0
		.amdhsa_next_free_vgpr 40
		.amdhsa_next_free_sgpr 37
		.amdhsa_reserve_vcc 1
		.amdhsa_float_round_mode_32 0
		.amdhsa_float_round_mode_16_64 0
		.amdhsa_float_denorm_mode_32 3
		.amdhsa_float_denorm_mode_16_64 3
		.amdhsa_dx10_clamp 1
		.amdhsa_ieee_mode 1
		.amdhsa_fp16_overflow 0
		.amdhsa_workgroup_processor_mode 1
		.amdhsa_memory_ordered 1
		.amdhsa_forward_progress 0
		.amdhsa_shared_vgpr_count 0
		.amdhsa_exception_fp_ieee_invalid_op 0
		.amdhsa_exception_fp_denorm_src 0
		.amdhsa_exception_fp_ieee_div_zero 0
		.amdhsa_exception_fp_ieee_overflow 0
		.amdhsa_exception_fp_ieee_underflow 0
		.amdhsa_exception_fp_ieee_inexact 0
		.amdhsa_exception_int_div_zero 0
	.end_amdhsa_kernel
	.section	.text._ZN9rocsolver6v33100L18geqr2_kernel_smallILi256E19rocblas_complex_numIfEifPS3_EEvT1_S5_T3_lS5_lPT2_lPT0_l,"axG",@progbits,_ZN9rocsolver6v33100L18geqr2_kernel_smallILi256E19rocblas_complex_numIfEifPS3_EEvT1_S5_T3_lS5_lPT2_lPT0_l,comdat
.Lfunc_end97:
	.size	_ZN9rocsolver6v33100L18geqr2_kernel_smallILi256E19rocblas_complex_numIfEifPS3_EEvT1_S5_T3_lS5_lPT2_lPT0_l, .Lfunc_end97-_ZN9rocsolver6v33100L18geqr2_kernel_smallILi256E19rocblas_complex_numIfEifPS3_EEvT1_S5_T3_lS5_lPT2_lPT0_l
                                        ; -- End function
	.section	.AMDGPU.csdata,"",@progbits
; Kernel info:
; codeLenInByte = 3024
; NumSgprs: 39
; NumVgprs: 40
; ScratchSize: 0
; MemoryBound: 0
; FloatMode: 240
; IeeeMode: 1
; LDSByteSize: 0 bytes/workgroup (compile time only)
; SGPRBlocks: 4
; VGPRBlocks: 4
; NumSGPRsForWavesPerEU: 39
; NumVGPRsForWavesPerEU: 40
; Occupancy: 16
; WaveLimiterHint : 0
; COMPUTE_PGM_RSRC2:SCRATCH_EN: 0
; COMPUTE_PGM_RSRC2:USER_SGPR: 14
; COMPUTE_PGM_RSRC2:TRAP_HANDLER: 0
; COMPUTE_PGM_RSRC2:TGID_X_EN: 1
; COMPUTE_PGM_RSRC2:TGID_Y_EN: 0
; COMPUTE_PGM_RSRC2:TGID_Z_EN: 1
; COMPUTE_PGM_RSRC2:TIDIG_COMP_CNT: 0
	.section	.text._ZN9rocsolver6v33100L16reset_batch_infoI19rocblas_complex_numIfEiiPS3_EEvT2_lT0_T1_,"axG",@progbits,_ZN9rocsolver6v33100L16reset_batch_infoI19rocblas_complex_numIfEiiPS3_EEvT2_lT0_T1_,comdat
	.globl	_ZN9rocsolver6v33100L16reset_batch_infoI19rocblas_complex_numIfEiiPS3_EEvT2_lT0_T1_ ; -- Begin function _ZN9rocsolver6v33100L16reset_batch_infoI19rocblas_complex_numIfEiiPS3_EEvT2_lT0_T1_
	.p2align	8
	.type	_ZN9rocsolver6v33100L16reset_batch_infoI19rocblas_complex_numIfEiiPS3_EEvT2_lT0_T1_,@function
_ZN9rocsolver6v33100L16reset_batch_infoI19rocblas_complex_numIfEiiPS3_EEvT2_lT0_T1_: ; @_ZN9rocsolver6v33100L16reset_batch_infoI19rocblas_complex_numIfEiiPS3_EEvT2_lT0_T1_
; %bb.0:
	s_clause 0x1
	s_load_b32 s4, s[0:1], 0x24
	s_load_b64 s[2:3], s[0:1], 0x10
	s_waitcnt lgkmcnt(0)
	s_and_b32 s4, s4, 0xffff
	s_delay_alu instid0(SALU_CYCLE_1) | instskip(NEXT) | instid1(VALU_DEP_1)
	v_mad_u64_u32 v[1:2], null, s14, s4, v[0:1]
	v_cmp_gt_i32_e32 vcc_lo, s2, v1
	s_and_saveexec_b32 s2, vcc_lo
	s_cbranch_execz .LBB98_2
; %bb.1:
	s_load_b128 s[4:7], s[0:1], 0x0
	v_ashrrev_i32_e32 v2, 31, v1
	s_ashr_i32 s0, s15, 31
	v_mov_b32_e32 v3, 0
	s_delay_alu instid0(VALU_DEP_2)
	v_lshlrev_b64 v[0:1], 3, v[1:2]
	v_cvt_f32_i32_e32 v2, s3
	s_waitcnt lgkmcnt(0)
	s_mul_i32 s1, s15, s7
	s_mul_hi_u32 s2, s15, s6
	s_mul_i32 s7, s0, s6
	s_add_i32 s1, s2, s1
	s_mul_i32 s0, s15, s6
	s_add_i32 s1, s1, s7
	s_delay_alu instid0(SALU_CYCLE_1) | instskip(NEXT) | instid1(SALU_CYCLE_1)
	s_lshl_b64 s[0:1], s[0:1], 3
	s_add_u32 s0, s4, s0
	s_addc_u32 s1, s5, s1
	v_add_co_u32 v0, vcc_lo, s0, v0
	v_add_co_ci_u32_e32 v1, vcc_lo, s1, v1, vcc_lo
	global_store_b64 v[0:1], v[2:3], off
.LBB98_2:
	s_nop 0
	s_sendmsg sendmsg(MSG_DEALLOC_VGPRS)
	s_endpgm
	.section	.rodata,"a",@progbits
	.p2align	6, 0x0
	.amdhsa_kernel _ZN9rocsolver6v33100L16reset_batch_infoI19rocblas_complex_numIfEiiPS3_EEvT2_lT0_T1_
		.amdhsa_group_segment_fixed_size 0
		.amdhsa_private_segment_fixed_size 0
		.amdhsa_kernarg_size 280
		.amdhsa_user_sgpr_count 14
		.amdhsa_user_sgpr_dispatch_ptr 0
		.amdhsa_user_sgpr_queue_ptr 0
		.amdhsa_user_sgpr_kernarg_segment_ptr 1
		.amdhsa_user_sgpr_dispatch_id 0
		.amdhsa_user_sgpr_private_segment_size 0
		.amdhsa_wavefront_size32 1
		.amdhsa_uses_dynamic_stack 0
		.amdhsa_enable_private_segment 0
		.amdhsa_system_sgpr_workgroup_id_x 1
		.amdhsa_system_sgpr_workgroup_id_y 1
		.amdhsa_system_sgpr_workgroup_id_z 0
		.amdhsa_system_sgpr_workgroup_info 0
		.amdhsa_system_vgpr_workitem_id 0
		.amdhsa_next_free_vgpr 4
		.amdhsa_next_free_sgpr 16
		.amdhsa_reserve_vcc 1
		.amdhsa_float_round_mode_32 0
		.amdhsa_float_round_mode_16_64 0
		.amdhsa_float_denorm_mode_32 3
		.amdhsa_float_denorm_mode_16_64 3
		.amdhsa_dx10_clamp 1
		.amdhsa_ieee_mode 1
		.amdhsa_fp16_overflow 0
		.amdhsa_workgroup_processor_mode 1
		.amdhsa_memory_ordered 1
		.amdhsa_forward_progress 0
		.amdhsa_shared_vgpr_count 0
		.amdhsa_exception_fp_ieee_invalid_op 0
		.amdhsa_exception_fp_denorm_src 0
		.amdhsa_exception_fp_ieee_div_zero 0
		.amdhsa_exception_fp_ieee_overflow 0
		.amdhsa_exception_fp_ieee_underflow 0
		.amdhsa_exception_fp_ieee_inexact 0
		.amdhsa_exception_int_div_zero 0
	.end_amdhsa_kernel
	.section	.text._ZN9rocsolver6v33100L16reset_batch_infoI19rocblas_complex_numIfEiiPS3_EEvT2_lT0_T1_,"axG",@progbits,_ZN9rocsolver6v33100L16reset_batch_infoI19rocblas_complex_numIfEiiPS3_EEvT2_lT0_T1_,comdat
.Lfunc_end98:
	.size	_ZN9rocsolver6v33100L16reset_batch_infoI19rocblas_complex_numIfEiiPS3_EEvT2_lT0_T1_, .Lfunc_end98-_ZN9rocsolver6v33100L16reset_batch_infoI19rocblas_complex_numIfEiiPS3_EEvT2_lT0_T1_
                                        ; -- End function
	.section	.AMDGPU.csdata,"",@progbits
; Kernel info:
; codeLenInByte = 168
; NumSgprs: 18
; NumVgprs: 4
; ScratchSize: 0
; MemoryBound: 0
; FloatMode: 240
; IeeeMode: 1
; LDSByteSize: 0 bytes/workgroup (compile time only)
; SGPRBlocks: 2
; VGPRBlocks: 0
; NumSGPRsForWavesPerEU: 18
; NumVGPRsForWavesPerEU: 4
; Occupancy: 16
; WaveLimiterHint : 0
; COMPUTE_PGM_RSRC2:SCRATCH_EN: 0
; COMPUTE_PGM_RSRC2:USER_SGPR: 14
; COMPUTE_PGM_RSRC2:TRAP_HANDLER: 0
; COMPUTE_PGM_RSRC2:TGID_X_EN: 1
; COMPUTE_PGM_RSRC2:TGID_Y_EN: 1
; COMPUTE_PGM_RSRC2:TGID_Z_EN: 0
; COMPUTE_PGM_RSRC2:TIDIG_COMP_CNT: 0
	.section	.text._ZN9rocsolver6v33100L8set_diagI19rocblas_complex_numIfEifPS3_TnNSt9enable_ifIXaa18rocblas_is_complexIT_Ent18rocblas_is_complexIT1_EEiE4typeELi0EEEvPS7_llT2_lT0_lSC_b,"axG",@progbits,_ZN9rocsolver6v33100L8set_diagI19rocblas_complex_numIfEifPS3_TnNSt9enable_ifIXaa18rocblas_is_complexIT_Ent18rocblas_is_complexIT1_EEiE4typeELi0EEEvPS7_llT2_lT0_lSC_b,comdat
	.globl	_ZN9rocsolver6v33100L8set_diagI19rocblas_complex_numIfEifPS3_TnNSt9enable_ifIXaa18rocblas_is_complexIT_Ent18rocblas_is_complexIT1_EEiE4typeELi0EEEvPS7_llT2_lT0_lSC_b ; -- Begin function _ZN9rocsolver6v33100L8set_diagI19rocblas_complex_numIfEifPS3_TnNSt9enable_ifIXaa18rocblas_is_complexIT_Ent18rocblas_is_complexIT1_EEiE4typeELi0EEEvPS7_llT2_lT0_lSC_b
	.p2align	8
	.type	_ZN9rocsolver6v33100L8set_diagI19rocblas_complex_numIfEifPS3_TnNSt9enable_ifIXaa18rocblas_is_complexIT_Ent18rocblas_is_complexIT1_EEiE4typeELi0EEEvPS7_llT2_lT0_lSC_b,@function
_ZN9rocsolver6v33100L8set_diagI19rocblas_complex_numIfEifPS3_TnNSt9enable_ifIXaa18rocblas_is_complexIT_Ent18rocblas_is_complexIT1_EEiE4typeELi0EEEvPS7_llT2_lT0_lSC_b: ; @_ZN9rocsolver6v33100L8set_diagI19rocblas_complex_numIfEifPS3_TnNSt9enable_ifIXaa18rocblas_is_complexIT_Ent18rocblas_is_complexIT1_EEiE4typeELi0EEEvPS7_llT2_lT0_lSC_b
; %bb.0:
	s_clause 0x1
	s_load_b32 s4, s[0:1], 0x4c
	s_load_b64 s[2:3], s[0:1], 0x38
	v_bfe_u32 v2, v0, 10, 10
	s_waitcnt lgkmcnt(0)
	s_lshr_b32 s4, s4, 16
	s_delay_alu instid0(VALU_DEP_1) | instid1(SALU_CYCLE_1)
	v_mad_u64_u32 v[0:1], null, s15, s4, v[2:3]
	s_delay_alu instid0(VALU_DEP_1)
	v_cmp_gt_i32_e32 vcc_lo, s2, v0
	s_and_saveexec_b32 s2, vcc_lo
	s_cbranch_execz .LBB99_5
; %bb.1:
	s_clause 0x3
	s_load_b32 s2, s[0:1], 0x28
	s_load_b64 s[12:13], s[0:1], 0x30
	s_load_b256 s[4:11], s[0:1], 0x0
	s_load_b64 s[0:1], s[0:1], 0x20
	s_bitcmp1_b32 s3, 0
	s_cselect_b32 s15, -1, 0
	s_ashr_i32 s16, s14, 31
	s_waitcnt lgkmcnt(0)
	v_mad_u64_u32 v[1:2], null, v0, s2, v[0:1]
	s_mul_i32 s2, s14, s13
	s_mul_hi_u32 s3, s14, s12
	s_mul_i32 s13, s16, s12
	s_add_i32 s3, s3, s2
	s_mul_i32 s2, s14, s12
	s_add_i32 s3, s3, s13
	s_delay_alu instid0(VALU_DEP_1)
	v_ashrrev_i32_e32 v2, 31, v1
	s_lshl_b64 s[2:3], s[2:3], 3
	s_mul_i32 s16, s16, s8
	s_add_u32 s2, s10, s2
	s_addc_u32 s3, s11, s3
	v_lshlrev_b64 v[2:3], 3, v[1:2]
	s_lshl_b64 s[0:1], s[0:1], 3
	v_ashrrev_i32_e32 v1, 31, v0
	s_add_u32 s0, s2, s0
	s_addc_u32 s1, s3, s1
	s_delay_alu instid0(VALU_DEP_2)
	v_add_co_u32 v2, vcc_lo, s0, v2
	v_add_co_ci_u32_e32 v3, vcc_lo, s1, v3, vcc_lo
	s_mul_i32 s0, s14, s9
	s_mul_hi_u32 s1, s14, s8
	v_lshlrev_b64 v[0:1], 2, v[0:1]
	global_load_b32 v4, v[2:3], off
	s_add_i32 s1, s1, s0
	s_mul_i32 s0, s14, s8
	s_add_i32 s1, s1, s16
	s_delay_alu instid0(SALU_CYCLE_1) | instskip(NEXT) | instid1(SALU_CYCLE_1)
	s_lshl_b64 s[0:1], s[0:1], 2
	s_add_u32 s2, s4, s0
	s_addc_u32 s3, s5, s1
	s_lshl_b64 s[0:1], s[6:7], 2
	s_delay_alu instid0(SALU_CYCLE_1)
	s_add_u32 s0, s2, s0
	s_addc_u32 s1, s3, s1
	v_add_co_u32 v0, vcc_lo, s0, v0
	v_add_co_ci_u32_e32 v1, vcc_lo, s1, v1, vcc_lo
	s_and_b32 vcc_lo, exec_lo, s15
	s_waitcnt vmcnt(0)
	global_store_b32 v[0:1], v4, off
	s_cbranch_vccnz .LBB99_3
; %bb.2:
	global_load_b32 v5, v[2:3], off offset:4
	s_branch .LBB99_4
.LBB99_3:
	v_dual_mov_b32 v5, 0 :: v_dual_mov_b32 v4, 1.0
.LBB99_4:
	s_waitcnt vmcnt(0)
	global_store_b64 v[2:3], v[4:5], off
.LBB99_5:
	s_nop 0
	s_sendmsg sendmsg(MSG_DEALLOC_VGPRS)
	s_endpgm
	.section	.rodata,"a",@progbits
	.p2align	6, 0x0
	.amdhsa_kernel _ZN9rocsolver6v33100L8set_diagI19rocblas_complex_numIfEifPS3_TnNSt9enable_ifIXaa18rocblas_is_complexIT_Ent18rocblas_is_complexIT1_EEiE4typeELi0EEEvPS7_llT2_lT0_lSC_b
		.amdhsa_group_segment_fixed_size 0
		.amdhsa_private_segment_fixed_size 0
		.amdhsa_kernarg_size 320
		.amdhsa_user_sgpr_count 14
		.amdhsa_user_sgpr_dispatch_ptr 0
		.amdhsa_user_sgpr_queue_ptr 0
		.amdhsa_user_sgpr_kernarg_segment_ptr 1
		.amdhsa_user_sgpr_dispatch_id 0
		.amdhsa_user_sgpr_private_segment_size 0
		.amdhsa_wavefront_size32 1
		.amdhsa_uses_dynamic_stack 0
		.amdhsa_enable_private_segment 0
		.amdhsa_system_sgpr_workgroup_id_x 1
		.amdhsa_system_sgpr_workgroup_id_y 1
		.amdhsa_system_sgpr_workgroup_id_z 0
		.amdhsa_system_sgpr_workgroup_info 0
		.amdhsa_system_vgpr_workitem_id 1
		.amdhsa_next_free_vgpr 6
		.amdhsa_next_free_sgpr 17
		.amdhsa_reserve_vcc 1
		.amdhsa_float_round_mode_32 0
		.amdhsa_float_round_mode_16_64 0
		.amdhsa_float_denorm_mode_32 3
		.amdhsa_float_denorm_mode_16_64 3
		.amdhsa_dx10_clamp 1
		.amdhsa_ieee_mode 1
		.amdhsa_fp16_overflow 0
		.amdhsa_workgroup_processor_mode 1
		.amdhsa_memory_ordered 1
		.amdhsa_forward_progress 0
		.amdhsa_shared_vgpr_count 0
		.amdhsa_exception_fp_ieee_invalid_op 0
		.amdhsa_exception_fp_denorm_src 0
		.amdhsa_exception_fp_ieee_div_zero 0
		.amdhsa_exception_fp_ieee_overflow 0
		.amdhsa_exception_fp_ieee_underflow 0
		.amdhsa_exception_fp_ieee_inexact 0
		.amdhsa_exception_int_div_zero 0
	.end_amdhsa_kernel
	.section	.text._ZN9rocsolver6v33100L8set_diagI19rocblas_complex_numIfEifPS3_TnNSt9enable_ifIXaa18rocblas_is_complexIT_Ent18rocblas_is_complexIT1_EEiE4typeELi0EEEvPS7_llT2_lT0_lSC_b,"axG",@progbits,_ZN9rocsolver6v33100L8set_diagI19rocblas_complex_numIfEifPS3_TnNSt9enable_ifIXaa18rocblas_is_complexIT_Ent18rocblas_is_complexIT1_EEiE4typeELi0EEEvPS7_llT2_lT0_lSC_b,comdat
.Lfunc_end99:
	.size	_ZN9rocsolver6v33100L8set_diagI19rocblas_complex_numIfEifPS3_TnNSt9enable_ifIXaa18rocblas_is_complexIT_Ent18rocblas_is_complexIT1_EEiE4typeELi0EEEvPS7_llT2_lT0_lSC_b, .Lfunc_end99-_ZN9rocsolver6v33100L8set_diagI19rocblas_complex_numIfEifPS3_TnNSt9enable_ifIXaa18rocblas_is_complexIT_Ent18rocblas_is_complexIT1_EEiE4typeELi0EEEvPS7_llT2_lT0_lSC_b
                                        ; -- End function
	.section	.AMDGPU.csdata,"",@progbits
; Kernel info:
; codeLenInByte = 356
; NumSgprs: 19
; NumVgprs: 6
; ScratchSize: 0
; MemoryBound: 0
; FloatMode: 240
; IeeeMode: 1
; LDSByteSize: 0 bytes/workgroup (compile time only)
; SGPRBlocks: 2
; VGPRBlocks: 0
; NumSGPRsForWavesPerEU: 19
; NumVGPRsForWavesPerEU: 6
; Occupancy: 16
; WaveLimiterHint : 0
; COMPUTE_PGM_RSRC2:SCRATCH_EN: 0
; COMPUTE_PGM_RSRC2:USER_SGPR: 14
; COMPUTE_PGM_RSRC2:TRAP_HANDLER: 0
; COMPUTE_PGM_RSRC2:TGID_X_EN: 1
; COMPUTE_PGM_RSRC2:TGID_Y_EN: 1
; COMPUTE_PGM_RSRC2:TGID_Z_EN: 0
; COMPUTE_PGM_RSRC2:TIDIG_COMP_CNT: 1
	.section	.text._ZN9rocsolver6v33100L11set_taubetaI19rocblas_complex_numIfEifPS3_EEvPT_lS6_T2_llPT1_ll,"axG",@progbits,_ZN9rocsolver6v33100L11set_taubetaI19rocblas_complex_numIfEifPS3_EEvPT_lS6_T2_llPT1_ll,comdat
	.globl	_ZN9rocsolver6v33100L11set_taubetaI19rocblas_complex_numIfEifPS3_EEvPT_lS6_T2_llPT1_ll ; -- Begin function _ZN9rocsolver6v33100L11set_taubetaI19rocblas_complex_numIfEifPS3_EEvPT_lS6_T2_llPT1_ll
	.p2align	8
	.type	_ZN9rocsolver6v33100L11set_taubetaI19rocblas_complex_numIfEifPS3_EEvPT_lS6_T2_llPT1_ll,@function
_ZN9rocsolver6v33100L11set_taubetaI19rocblas_complex_numIfEifPS3_EEvPT_lS6_T2_llPT1_ll: ; @_ZN9rocsolver6v33100L11set_taubetaI19rocblas_complex_numIfEifPS3_EEvPT_lS6_T2_llPT1_ll
; %bb.0:
	s_mov_b32 s2, s15
	s_load_b512 s[4:19], s[0:1], 0x0
	s_ashr_i32 s3, s2, 31
	s_mov_b64 s[20:21], 0
	s_waitcnt lgkmcnt(0)
	s_cmp_eq_u64 s[16:17], 0
	s_cbranch_scc1 .LBB100_2
; %bb.1:
	s_load_b64 s[0:1], s[0:1], 0x40
	s_waitcnt lgkmcnt(0)
	s_mul_i32 s1, s2, s1
	s_mul_hi_u32 s20, s2, s0
	s_mul_i32 s21, s3, s0
	s_add_i32 s1, s20, s1
	s_mul_i32 s0, s2, s0
	s_add_i32 s1, s1, s21
	s_delay_alu instid0(SALU_CYCLE_1) | instskip(NEXT) | instid1(SALU_CYCLE_1)
	s_lshl_b64 s[0:1], s[0:1], 2
	s_add_u32 s16, s16, s0
	s_addc_u32 s17, s17, s1
	s_lshl_b64 s[0:1], s[18:19], 2
	s_delay_alu instid0(SALU_CYCLE_1)
	s_add_u32 s20, s16, s0
	s_addc_u32 s21, s17, s1
.LBB100_2:
	s_mul_i32 s0, s2, s15
	s_mul_hi_u32 s1, s2, s14
	s_mul_i32 s15, s3, s14
	s_add_i32 s1, s1, s0
	s_mul_i32 s0, s2, s14
	s_add_i32 s1, s1, s15
	s_mul_i32 s7, s2, s7
	s_lshl_b64 s[0:1], s[0:1], 3
	s_delay_alu instid0(SALU_CYCLE_1) | instskip(SKIP_2) | instid1(SALU_CYCLE_1)
	s_add_u32 s10, s10, s0
	s_addc_u32 s11, s11, s1
	s_lshl_b64 s[0:1], s[12:13], 3
	s_add_u32 s10, s10, s0
	s_mul_hi_u32 s0, s2, s6
	s_addc_u32 s11, s11, s1
	s_add_i32 s0, s0, s7
	s_mul_i32 s1, s3, s6
	s_delay_alu instid0(SALU_CYCLE_1) | instskip(SKIP_1) | instid1(SALU_CYCLE_1)
	s_add_i32 s1, s0, s1
	s_mul_i32 s0, s2, s6
	s_lshl_b64 s[0:1], s[0:1], 3
	s_delay_alu instid0(SALU_CYCLE_1)
	s_add_u32 s4, s4, s0
	s_addc_u32 s5, s5, s1
	s_lshl_b64 s[0:1], s[2:3], 3
	s_mov_b32 s2, -1
	s_add_u32 s6, s8, s0
	s_addc_u32 s7, s9, s1
	s_load_b32 s3, s[10:11], 0x4
	s_load_b32 s0, s[6:7], 0x0
	s_cmp_lg_u64 s[20:21], 0
	s_mov_b32 s1, 0
	s_cselect_b32 s8, -1, 0
	s_waitcnt lgkmcnt(0)
	v_mul_f32_e64 v2, s3, s3
	v_max_f32_e64 v0, s0, s0
	s_delay_alu instid0(VALU_DEP_1) | instskip(NEXT) | instid1(VALU_DEP_1)
	v_max_f32_e32 v0, v0, v2
	v_cmp_nlt_f32_e32 vcc_lo, 0, v0
	s_cbranch_vccz .LBB100_5
; %bb.3:
	v_dual_mov_b32 v1, 0 :: v_dual_mov_b32 v0, 1.0
	s_mov_b32 s2, 0
	s_and_b32 vcc_lo, exec_lo, s8
	s_delay_alu instid0(VALU_DEP_1)
	v_mov_b32_e32 v3, v1
	v_mov_b32_e32 v4, v1
	s_clause 0x1
	global_store_b64 v1, v[0:1], s[6:7]
	global_store_b64 v1, v[3:4], s[4:5]
	s_cbranch_vccz .LBB100_5
; %bb.4:
	global_load_b32 v5, v1, s[10:11]
	v_dual_mov_b32 v3, s20 :: v_dual_mov_b32 v4, s21
	s_mov_b32 s1, -1
	s_waitcnt vmcnt(0)
	flat_store_b32 v[3:4], v5
	global_store_b32 v1, v0, s[10:11]
.LBB100_5:
	s_and_b32 vcc_lo, exec_lo, s2
	s_cbranch_vccnz .LBB100_8
; %bb.6:
	s_and_not1_b32 vcc_lo, exec_lo, s1
	s_cbranch_vccz .LBB100_13
; %bb.7:
	s_endpgm
.LBB100_8:
	s_load_b32 s1, s[10:11], 0x0
	s_waitcnt lgkmcnt(0)
	v_fma_f32 v0, s1, s1, v2
	s_delay_alu instid0(VALU_DEP_1) | instskip(NEXT) | instid1(VALU_DEP_1)
	v_add_f32_e32 v0, s0, v0
	v_mul_f32_e32 v1, 0x4f800000, v0
	v_cmp_gt_f32_e32 vcc_lo, 0xf800000, v0
	s_delay_alu instid0(VALU_DEP_2) | instskip(NEXT) | instid1(VALU_DEP_1)
	v_cndmask_b32_e32 v0, v0, v1, vcc_lo
	v_sqrt_f32_e32 v1, v0
	s_waitcnt_depctr 0xfff
	v_add_nc_u32_e32 v3, -1, v1
	v_add_nc_u32_e32 v4, 1, v1
	s_delay_alu instid0(VALU_DEP_2) | instskip(NEXT) | instid1(VALU_DEP_2)
	v_fma_f32 v5, -v3, v1, v0
	v_fma_f32 v6, -v4, v1, v0
	s_delay_alu instid0(VALU_DEP_2) | instskip(NEXT) | instid1(VALU_DEP_1)
	v_cmp_ge_f32_e64 s0, 0, v5
	v_cndmask_b32_e64 v1, v1, v3, s0
	s_delay_alu instid0(VALU_DEP_3) | instskip(NEXT) | instid1(VALU_DEP_1)
	v_cmp_lt_f32_e64 s0, 0, v6
	v_cndmask_b32_e64 v1, v1, v4, s0
	v_cmp_ge_f32_e64 s0, s1, 0
	s_delay_alu instid0(VALU_DEP_2) | instskip(NEXT) | instid1(VALU_DEP_1)
	v_mul_f32_e32 v3, 0x37800000, v1
	v_cndmask_b32_e32 v1, v1, v3, vcc_lo
	v_cmp_class_f32_e64 vcc_lo, v0, 0x260
	s_delay_alu instid0(VALU_DEP_2) | instskip(NEXT) | instid1(VALU_DEP_1)
	v_cndmask_b32_e32 v0, v1, v0, vcc_lo
	v_cndmask_b32_e64 v0, v0, -v0, s0
	s_delay_alu instid0(VALU_DEP_1) | instskip(SKIP_2) | instid1(VALU_DEP_3)
	v_sub_f32_e32 v3, s1, v0
	v_div_scale_f32 v1, null, v0, v0, -s3
	v_div_scale_f32 v12, s0, -s3, v0, -s3
	v_fmac_f32_e32 v2, v3, v3
	s_delay_alu instid0(VALU_DEP_3) | instskip(NEXT) | instid1(VALU_DEP_1)
	v_rcp_f32_e32 v8, v1
	v_div_scale_f32 v6, null, v2, v2, v3
	v_div_scale_f32 v7, null, v2, v2, -s3
	v_div_scale_f32 v14, vcc_lo, v3, v2, v3
	s_delay_alu instid0(VALU_DEP_3) | instskip(NEXT) | instid1(VALU_DEP_2)
	v_rcp_f32_e32 v10, v6
	v_rcp_f32_e32 v11, v7
	s_delay_alu instid0(TRANS32_DEP_3)
	v_fma_f32 v15, -v1, v8, 1.0
	v_div_scale_f32 v19, s2, -s3, v2, -s3
	s_waitcnt_depctr 0xfff
	v_fma_f32 v17, -v6, v10, 1.0
	v_subrev_f32_e32 v5, s1, v0
	v_fma_f32 v18, -v7, v11, 1.0
	s_delay_alu instid0(VALU_DEP_3) | instskip(NEXT) | instid1(VALU_DEP_3)
	v_fmac_f32_e32 v10, v17, v10
	v_div_scale_f32 v4, null, v0, v0, v5
	v_div_scale_f32 v13, s1, v5, v0, v5
	s_delay_alu instid0(VALU_DEP_2) | instskip(SKIP_2) | instid1(VALU_DEP_1)
	v_rcp_f32_e32 v9, v4
	s_waitcnt_depctr 0xfff
	v_fma_f32 v16, -v4, v9, 1.0
	v_dual_fmac_f32 v8, v15, v8 :: v_dual_fmac_f32 v9, v16, v9
	s_delay_alu instid0(VALU_DEP_1) | instskip(NEXT) | instid1(VALU_DEP_1)
	v_dual_mul_f32 v15, v12, v8 :: v_dual_mul_f32 v16, v14, v10
	v_fma_f32 v20, -v1, v15, v12
	s_delay_alu instid0(VALU_DEP_2) | instskip(NEXT) | instid1(VALU_DEP_1)
	v_fma_f32 v21, -v6, v16, v14
	v_dual_fmac_f32 v11, v18, v11 :: v_dual_fmac_f32 v16, v21, v10
	s_delay_alu instid0(VALU_DEP_1) | instskip(NEXT) | instid1(VALU_DEP_2)
	v_dual_mul_f32 v17, v13, v9 :: v_dual_mul_f32 v18, v19, v11
	v_fma_f32 v6, -v6, v16, v14
	s_delay_alu instid0(VALU_DEP_2) | instskip(NEXT) | instid1(VALU_DEP_3)
	v_fma_f32 v22, -v4, v17, v13
	v_fma_f32 v23, -v7, v18, v19
	v_fmac_f32_e32 v15, v20, v8
	s_delay_alu instid0(VALU_DEP_4) | instskip(NEXT) | instid1(VALU_DEP_3)
	v_div_fmas_f32 v6, v6, v10, v16
	v_dual_fmac_f32 v17, v22, v9 :: v_dual_fmac_f32 v18, v23, v11
	s_mov_b32 vcc_lo, s2
	s_delay_alu instid0(VALU_DEP_3) | instskip(NEXT) | instid1(VALU_DEP_3)
	v_fma_f32 v1, -v1, v15, v12
	v_div_fixup_f32 v3, v6, v2, v3
	s_delay_alu instid0(VALU_DEP_3) | instskip(SKIP_1) | instid1(VALU_DEP_1)
	v_fma_f32 v4, -v4, v17, v13
	v_fma_f32 v7, -v7, v18, v19
	v_div_fmas_f32 v7, v7, v11, v18
	s_mov_b32 vcc_lo, s1
	s_delay_alu instid0(VALU_DEP_3) | instskip(SKIP_1) | instid1(VALU_DEP_2)
	v_div_fmas_f32 v9, v4, v9, v17
	s_mov_b32 vcc_lo, s0
	v_div_fixup_f32 v4, v7, v2, -s3
	v_div_fmas_f32 v8, v1, v8, v15
	v_mov_b32_e32 v1, 0
	v_div_fixup_f32 v5, v9, v0, v5
	s_mov_b32 s0, -1
	s_and_b32 vcc_lo, exec_lo, s8
	v_div_fixup_f32 v6, v8, v0, -s3
	s_clause 0x1
	global_store_b64 v1, v[3:4], s[6:7]
	global_store_b64 v1, v[5:6], s[4:5]
	s_cbranch_vccz .LBB100_10
; %bb.9:
	v_dual_mov_b32 v2, s20 :: v_dual_mov_b32 v3, s21
	v_mov_b32_e32 v4, 1.0
	s_mov_b32 s0, 0
	flat_store_b32 v[2:3], v0
	s_waitcnt lgkmcnt(0)
	global_store_b32 v1, v4, s[10:11]
.LBB100_10:
	s_and_not1_b32 vcc_lo, exec_lo, s0
	s_cbranch_vccnz .LBB100_12
; %bb.11:
	v_mov_b32_e32 v1, 0
	global_store_b32 v1, v0, s[10:11]
.LBB100_12:
.LBB100_13:
	v_mov_b32_e32 v0, 0
	global_store_b32 v0, v0, s[10:11] offset:4
	s_endpgm
	.section	.rodata,"a",@progbits
	.p2align	6, 0x0
	.amdhsa_kernel _ZN9rocsolver6v33100L11set_taubetaI19rocblas_complex_numIfEifPS3_EEvPT_lS6_T2_llPT1_ll
		.amdhsa_group_segment_fixed_size 0
		.amdhsa_private_segment_fixed_size 0
		.amdhsa_kernarg_size 72
		.amdhsa_user_sgpr_count 15
		.amdhsa_user_sgpr_dispatch_ptr 0
		.amdhsa_user_sgpr_queue_ptr 0
		.amdhsa_user_sgpr_kernarg_segment_ptr 1
		.amdhsa_user_sgpr_dispatch_id 0
		.amdhsa_user_sgpr_private_segment_size 0
		.amdhsa_wavefront_size32 1
		.amdhsa_uses_dynamic_stack 0
		.amdhsa_enable_private_segment 0
		.amdhsa_system_sgpr_workgroup_id_x 1
		.amdhsa_system_sgpr_workgroup_id_y 0
		.amdhsa_system_sgpr_workgroup_id_z 0
		.amdhsa_system_sgpr_workgroup_info 0
		.amdhsa_system_vgpr_workitem_id 0
		.amdhsa_next_free_vgpr 24
		.amdhsa_next_free_sgpr 22
		.amdhsa_reserve_vcc 1
		.amdhsa_float_round_mode_32 0
		.amdhsa_float_round_mode_16_64 0
		.amdhsa_float_denorm_mode_32 3
		.amdhsa_float_denorm_mode_16_64 3
		.amdhsa_dx10_clamp 1
		.amdhsa_ieee_mode 1
		.amdhsa_fp16_overflow 0
		.amdhsa_workgroup_processor_mode 1
		.amdhsa_memory_ordered 1
		.amdhsa_forward_progress 0
		.amdhsa_shared_vgpr_count 0
		.amdhsa_exception_fp_ieee_invalid_op 0
		.amdhsa_exception_fp_denorm_src 0
		.amdhsa_exception_fp_ieee_div_zero 0
		.amdhsa_exception_fp_ieee_overflow 0
		.amdhsa_exception_fp_ieee_underflow 0
		.amdhsa_exception_fp_ieee_inexact 0
		.amdhsa_exception_int_div_zero 0
	.end_amdhsa_kernel
	.section	.text._ZN9rocsolver6v33100L11set_taubetaI19rocblas_complex_numIfEifPS3_EEvPT_lS6_T2_llPT1_ll,"axG",@progbits,_ZN9rocsolver6v33100L11set_taubetaI19rocblas_complex_numIfEifPS3_EEvPT_lS6_T2_llPT1_ll,comdat
.Lfunc_end100:
	.size	_ZN9rocsolver6v33100L11set_taubetaI19rocblas_complex_numIfEifPS3_EEvPT_lS6_T2_llPT1_ll, .Lfunc_end100-_ZN9rocsolver6v33100L11set_taubetaI19rocblas_complex_numIfEifPS3_EEvPT_lS6_T2_llPT1_ll
                                        ; -- End function
	.section	.AMDGPU.csdata,"",@progbits
; Kernel info:
; codeLenInByte = 1052
; NumSgprs: 24
; NumVgprs: 24
; ScratchSize: 0
; MemoryBound: 0
; FloatMode: 240
; IeeeMode: 1
; LDSByteSize: 0 bytes/workgroup (compile time only)
; SGPRBlocks: 2
; VGPRBlocks: 2
; NumSGPRsForWavesPerEU: 24
; NumVGPRsForWavesPerEU: 24
; Occupancy: 16
; WaveLimiterHint : 0
; COMPUTE_PGM_RSRC2:SCRATCH_EN: 0
; COMPUTE_PGM_RSRC2:USER_SGPR: 15
; COMPUTE_PGM_RSRC2:TRAP_HANDLER: 0
; COMPUTE_PGM_RSRC2:TGID_X_EN: 1
; COMPUTE_PGM_RSRC2:TGID_Y_EN: 0
; COMPUTE_PGM_RSRC2:TGID_Z_EN: 0
; COMPUTE_PGM_RSRC2:TIDIG_COMP_CNT: 0
	.section	.text._ZN9rocsolver6v33100L13conj_in_placeI19rocblas_complex_numIfEiPS3_TnNSt9enable_ifIX18rocblas_is_complexIT_EEiE4typeELi0EEEvT0_S9_T1_lS9_l,"axG",@progbits,_ZN9rocsolver6v33100L13conj_in_placeI19rocblas_complex_numIfEiPS3_TnNSt9enable_ifIX18rocblas_is_complexIT_EEiE4typeELi0EEEvT0_S9_T1_lS9_l,comdat
	.globl	_ZN9rocsolver6v33100L13conj_in_placeI19rocblas_complex_numIfEiPS3_TnNSt9enable_ifIX18rocblas_is_complexIT_EEiE4typeELi0EEEvT0_S9_T1_lS9_l ; -- Begin function _ZN9rocsolver6v33100L13conj_in_placeI19rocblas_complex_numIfEiPS3_TnNSt9enable_ifIX18rocblas_is_complexIT_EEiE4typeELi0EEEvT0_S9_T1_lS9_l
	.p2align	8
	.type	_ZN9rocsolver6v33100L13conj_in_placeI19rocblas_complex_numIfEiPS3_TnNSt9enable_ifIX18rocblas_is_complexIT_EEiE4typeELi0EEEvT0_S9_T1_lS9_l,@function
_ZN9rocsolver6v33100L13conj_in_placeI19rocblas_complex_numIfEiPS3_TnNSt9enable_ifIX18rocblas_is_complexIT_EEiE4typeELi0EEEvT0_S9_T1_lS9_l: ; @_ZN9rocsolver6v33100L13conj_in_placeI19rocblas_complex_numIfEiPS3_TnNSt9enable_ifIX18rocblas_is_complexIT_EEiE4typeELi0EEEvT0_S9_T1_lS9_l
; %bb.0:
	s_clause 0x1
	s_load_b32 s4, s[0:1], 0x34
	s_load_b64 s[2:3], s[0:1], 0x0
	v_and_b32_e32 v2, 0x3ff, v0
	v_bfe_u32 v3, v0, 10, 10
	s_waitcnt lgkmcnt(0)
	s_lshr_b32 s5, s4, 16
	s_and_b32 s4, s4, 0xffff
	s_delay_alu instid0(VALU_DEP_1) | instid1(SALU_CYCLE_1)
	v_mad_u64_u32 v[0:1], null, s13, s4, v[2:3]
	v_mad_u64_u32 v[1:2], null, s14, s5, v[3:4]
	s_delay_alu instid0(VALU_DEP_2) | instskip(NEXT) | instid1(VALU_DEP_2)
	v_cmp_gt_i32_e32 vcc_lo, s2, v0
	v_cmp_gt_i32_e64 s2, s3, v1
	s_delay_alu instid0(VALU_DEP_1) | instskip(NEXT) | instid1(SALU_CYCLE_1)
	s_and_b32 s2, vcc_lo, s2
	s_and_saveexec_b32 s3, s2
	s_cbranch_execz .LBB101_2
; %bb.1:
	s_clause 0x2
	s_load_b64 s[4:5], s[0:1], 0x20
	s_load_b32 s6, s[0:1], 0x18
	s_load_b128 s[0:3], s[0:1], 0x8
	s_ashr_i32 s7, s15, 31
	s_waitcnt lgkmcnt(0)
	s_mul_i32 s5, s15, s5
	v_mad_i64_i32 v[2:3], null, v1, s6, 0
	s_mul_hi_u32 s8, s15, s4
	s_mul_i32 s7, s7, s4
	s_add_i32 s5, s8, s5
	s_mul_i32 s4, s15, s4
	s_add_i32 s5, s5, s7
	v_ashrrev_i32_e32 v1, 31, v0
	s_lshl_b64 s[4:5], s[4:5], 3
	v_lshlrev_b64 v[3:4], 3, v[2:3]
	s_add_u32 s4, s0, s4
	s_addc_u32 s5, s1, s5
	s_lshl_b64 s[0:1], s[2:3], 3
	v_lshlrev_b64 v[5:6], 3, v[0:1]
	s_add_u32 s0, s4, s0
	s_addc_u32 s1, s5, s1
	v_add_co_u32 v1, vcc_lo, s0, v3
	v_add_co_ci_u32_e32 v4, vcc_lo, s1, v4, vcc_lo
	v_add_nc_u32_e32 v0, v2, v0
	s_delay_alu instid0(VALU_DEP_3) | instskip(NEXT) | instid1(VALU_DEP_3)
	v_add_co_u32 v3, vcc_lo, v1, v5
	v_add_co_ci_u32_e32 v4, vcc_lo, v4, v6, vcc_lo
	s_delay_alu instid0(VALU_DEP_3) | instskip(SKIP_2) | instid1(VALU_DEP_1)
	v_ashrrev_i32_e32 v1, 31, v0
	global_load_b64 v[3:4], v[3:4], off
	v_lshlrev_b64 v[0:1], 3, v[0:1]
	v_add_co_u32 v0, vcc_lo, s0, v0
	s_delay_alu instid0(VALU_DEP_2)
	v_add_co_ci_u32_e32 v1, vcc_lo, s1, v1, vcc_lo
	s_waitcnt vmcnt(0)
	v_xor_b32_e32 v4, 0x80000000, v4
	global_store_b64 v[0:1], v[3:4], off
.LBB101_2:
	s_nop 0
	s_sendmsg sendmsg(MSG_DEALLOC_VGPRS)
	s_endpgm
	.section	.rodata,"a",@progbits
	.p2align	6, 0x0
	.amdhsa_kernel _ZN9rocsolver6v33100L13conj_in_placeI19rocblas_complex_numIfEiPS3_TnNSt9enable_ifIX18rocblas_is_complexIT_EEiE4typeELi0EEEvT0_S9_T1_lS9_l
		.amdhsa_group_segment_fixed_size 0
		.amdhsa_private_segment_fixed_size 0
		.amdhsa_kernarg_size 296
		.amdhsa_user_sgpr_count 13
		.amdhsa_user_sgpr_dispatch_ptr 0
		.amdhsa_user_sgpr_queue_ptr 0
		.amdhsa_user_sgpr_kernarg_segment_ptr 1
		.amdhsa_user_sgpr_dispatch_id 0
		.amdhsa_user_sgpr_private_segment_size 0
		.amdhsa_wavefront_size32 1
		.amdhsa_uses_dynamic_stack 0
		.amdhsa_enable_private_segment 0
		.amdhsa_system_sgpr_workgroup_id_x 1
		.amdhsa_system_sgpr_workgroup_id_y 1
		.amdhsa_system_sgpr_workgroup_id_z 1
		.amdhsa_system_sgpr_workgroup_info 0
		.amdhsa_system_vgpr_workitem_id 1
		.amdhsa_next_free_vgpr 7
		.amdhsa_next_free_sgpr 16
		.amdhsa_reserve_vcc 1
		.amdhsa_float_round_mode_32 0
		.amdhsa_float_round_mode_16_64 0
		.amdhsa_float_denorm_mode_32 3
		.amdhsa_float_denorm_mode_16_64 3
		.amdhsa_dx10_clamp 1
		.amdhsa_ieee_mode 1
		.amdhsa_fp16_overflow 0
		.amdhsa_workgroup_processor_mode 1
		.amdhsa_memory_ordered 1
		.amdhsa_forward_progress 0
		.amdhsa_shared_vgpr_count 0
		.amdhsa_exception_fp_ieee_invalid_op 0
		.amdhsa_exception_fp_denorm_src 0
		.amdhsa_exception_fp_ieee_div_zero 0
		.amdhsa_exception_fp_ieee_overflow 0
		.amdhsa_exception_fp_ieee_underflow 0
		.amdhsa_exception_fp_ieee_inexact 0
		.amdhsa_exception_int_div_zero 0
	.end_amdhsa_kernel
	.section	.text._ZN9rocsolver6v33100L13conj_in_placeI19rocblas_complex_numIfEiPS3_TnNSt9enable_ifIX18rocblas_is_complexIT_EEiE4typeELi0EEEvT0_S9_T1_lS9_l,"axG",@progbits,_ZN9rocsolver6v33100L13conj_in_placeI19rocblas_complex_numIfEiPS3_TnNSt9enable_ifIX18rocblas_is_complexIT_EEiE4typeELi0EEEvT0_S9_T1_lS9_l,comdat
.Lfunc_end101:
	.size	_ZN9rocsolver6v33100L13conj_in_placeI19rocblas_complex_numIfEiPS3_TnNSt9enable_ifIX18rocblas_is_complexIT_EEiE4typeELi0EEEvT0_S9_T1_lS9_l, .Lfunc_end101-_ZN9rocsolver6v33100L13conj_in_placeI19rocblas_complex_numIfEiPS3_TnNSt9enable_ifIX18rocblas_is_complexIT_EEiE4typeELi0EEEvT0_S9_T1_lS9_l
                                        ; -- End function
	.section	.AMDGPU.csdata,"",@progbits
; Kernel info:
; codeLenInByte = 320
; NumSgprs: 18
; NumVgprs: 7
; ScratchSize: 0
; MemoryBound: 0
; FloatMode: 240
; IeeeMode: 1
; LDSByteSize: 0 bytes/workgroup (compile time only)
; SGPRBlocks: 2
; VGPRBlocks: 0
; NumSGPRsForWavesPerEU: 18
; NumVGPRsForWavesPerEU: 7
; Occupancy: 16
; WaveLimiterHint : 0
; COMPUTE_PGM_RSRC2:SCRATCH_EN: 0
; COMPUTE_PGM_RSRC2:USER_SGPR: 13
; COMPUTE_PGM_RSRC2:TRAP_HANDLER: 0
; COMPUTE_PGM_RSRC2:TGID_X_EN: 1
; COMPUTE_PGM_RSRC2:TGID_Y_EN: 1
; COMPUTE_PGM_RSRC2:TGID_Z_EN: 1
; COMPUTE_PGM_RSRC2:TIDIG_COMP_CNT: 1
	.section	.text._ZN9rocsolver6v33100L16larf_left_kernelILi1024E19rocblas_complex_numIfEiPS3_EEvT1_S5_T2_lS5_lPKT0_lS6_lS5_l,"axG",@progbits,_ZN9rocsolver6v33100L16larf_left_kernelILi1024E19rocblas_complex_numIfEiPS3_EEvT1_S5_T2_lS5_lPKT0_lS6_lS5_l,comdat
	.globl	_ZN9rocsolver6v33100L16larf_left_kernelILi1024E19rocblas_complex_numIfEiPS3_EEvT1_S5_T2_lS5_lPKT0_lS6_lS5_l ; -- Begin function _ZN9rocsolver6v33100L16larf_left_kernelILi1024E19rocblas_complex_numIfEiPS3_EEvT1_S5_T2_lS5_lPKT0_lS6_lS5_l
	.p2align	8
	.type	_ZN9rocsolver6v33100L16larf_left_kernelILi1024E19rocblas_complex_numIfEiPS3_EEvT1_S5_T2_lS5_lPKT0_lS6_lS5_l,@function
_ZN9rocsolver6v33100L16larf_left_kernelILi1024E19rocblas_complex_numIfEiPS3_EEvT1_S5_T2_lS5_lPKT0_lS6_lS5_l: ; @_ZN9rocsolver6v33100L16larf_left_kernelILi1024E19rocblas_complex_numIfEiPS3_EEvT1_S5_T2_lS5_lPKT0_lS6_lS5_l
; %bb.0:
	s_clause 0x4
	s_load_b32 s20, s[0:1], 0x0
	s_load_b64 s[2:3], s[0:1], 0x50
	s_load_b32 s18, s[0:1], 0x48
	s_load_b64 s[12:13], s[0:1], 0x40
	s_load_b256 s[4:11], s[0:1], 0x20
	v_dual_mov_b32 v5, 0 :: v_dual_mov_b32 v6, 0
	v_lshlrev_b32_e32 v3, 3, v0
	s_ashr_i32 s24, s15, 31
	s_mov_b32 s17, 0
	s_waitcnt lgkmcnt(0)
	v_cmp_gt_i32_e32 vcc_lo, s20, v0
	s_mul_i32 s21, s2, s24
	s_mul_hi_u32 s22, s2, s15
	s_mul_i32 s23, s3, s15
	s_mul_i32 s16, s2, s15
	s_mul_hi_i32 s19, s14, s18
	s_mul_i32 s18, s14, s18
	s_and_saveexec_b32 s14, vcc_lo
	s_cbranch_execz .LBB102_6
; %bb.1:
	s_clause 0x1
	s_load_b32 s26, s[0:1], 0x18
	s_load_b128 s[0:3], s[0:1], 0x8
	s_sub_i32 s25, 1, s20
	s_mul_i32 s29, s4, s24
	s_mul_hi_u32 s30, s4, s15
	s_mul_i32 s5, s5, s15
	s_mul_i32 s4, s4, s15
	v_add3_u32 v4, v3, 0, 0x100
	v_mov_b32_e32 v6, v0
	s_delay_alu instid0(VALU_DEP_2)
	v_mov_b32_e32 v5, v4
	s_waitcnt lgkmcnt(0)
	s_ashr_i32 s27, s26, 31
	v_mad_i64_i32 v[1:2], null, s26, v0, 0
	v_cmp_lt_i64_e64 s28, s[26:27], 1
	s_mul_i32 s25, s25, s26
	s_delay_alu instid0(VALU_DEP_1)
	s_and_b32 s28, s28, exec_lo
	s_cselect_b32 s28, s25, 0
	s_add_i32 s25, s30, s29
	s_ashr_i32 s29, s28, 31
	s_add_i32 s5, s25, s5
	s_lshl_b64 s[28:29], s[28:29], 3
	s_lshl_b64 s[2:3], s[2:3], 3
	s_lshl_b64 s[4:5], s[4:5], 3
	v_lshlrev_b64 v[1:2], 3, v[1:2]
	s_add_u32 s0, s0, s28
	s_addc_u32 s1, s1, s29
	s_add_u32 s0, s0, s2
	s_addc_u32 s1, s1, s3
	;; [unrolled: 2-line block ×3, first 2 shown]
	v_add_co_u32 v1, s0, s0, v1
	s_delay_alu instid0(VALU_DEP_1)
	v_add_co_ci_u32_e64 v2, s0, s1, v2, s0
	s_lshl_b64 s[2:3], s[26:27], 13
	.p2align	6
.LBB102_2:                              ; =>This Inner Loop Header: Depth=1
	global_load_b64 v[7:8], v[1:2], off
	v_add_nc_u32_e32 v6, 0x400, v6
	v_add_co_u32 v1, s0, v1, s2
	s_delay_alu instid0(VALU_DEP_1) | instskip(NEXT) | instid1(VALU_DEP_3)
	v_add_co_ci_u32_e64 v2, s0, s3, v2, s0
	v_cmp_le_i32_e64 s1, s20, v6
	s_delay_alu instid0(VALU_DEP_1)
	s_or_b32 s17, s1, s17
	s_waitcnt vmcnt(0)
	ds_store_b64 v5, v[7:8]
	v_add_nc_u32_e32 v5, 0x2000, v5
	s_and_not1_b32 exec_lo, exec_lo, s17
	s_cbranch_execnz .LBB102_2
; %bb.3:
	s_or_b32 exec_lo, exec_lo, s17
	s_add_i32 s0, s22, s21
	v_dual_mov_b32 v6, 0 :: v_dual_lshlrev_b32 v1, 3, v0
	s_add_i32 s17, s0, s23
	s_lshl_b64 s[0:1], s[18:19], 3
	s_lshl_b64 s[2:3], s[16:17], 3
	v_mov_b32_e32 v5, 0
	s_add_u32 s2, s2, s0
	s_addc_u32 s3, s3, s1
	s_lshl_b64 s[0:1], s[12:13], 3
	v_mov_b32_e32 v7, v0
	s_add_u32 s0, s2, s0
	s_addc_u32 s1, s3, s1
	s_add_u32 s0, s10, s0
	s_addc_u32 s1, s11, s1
	v_add_co_u32 v1, s0, s0, v1
	s_delay_alu instid0(VALU_DEP_1) | instskip(SKIP_1) | instid1(VALU_DEP_2)
	v_add_co_ci_u32_e64 v2, null, s1, 0, s0
	s_mov_b32 s2, 0
	v_add_co_u32 v1, s0, v1, 4
	s_delay_alu instid0(VALU_DEP_1)
	v_add_co_ci_u32_e64 v2, s0, 0, v2, s0
	.p2align	6
.LBB102_4:                              ; =>This Inner Loop Header: Depth=1
	global_load_b64 v[8:9], v[1:2], off offset:-4
	ds_load_b64 v[10:11], v4
	v_add_co_u32 v1, s0, 0x2000, v1
	s_delay_alu instid0(VALU_DEP_1) | instskip(SKIP_4) | instid1(VALU_DEP_2)
	v_add_co_ci_u32_e64 v2, s0, 0, v2, s0
	v_add_nc_u32_e32 v4, 0x2000, v4
	s_waitcnt vmcnt(0) lgkmcnt(0)
	v_mul_f32_e32 v12, v9, v11
	v_mul_f32_e32 v9, v9, v10
	v_dual_fmac_f32 v12, v8, v10 :: v_dual_add_nc_u32 v7, 0x400, v7
	s_delay_alu instid0(VALU_DEP_2) | instskip(NEXT) | instid1(VALU_DEP_2)
	v_fma_f32 v8, v8, v11, -v9
	v_cmp_le_i32_e64 s1, s20, v7
	s_delay_alu instid0(VALU_DEP_3) | instskip(NEXT) | instid1(VALU_DEP_3)
	v_add_f32_e32 v6, v6, v12
	v_add_f32_e32 v5, v5, v8
	s_delay_alu instid0(VALU_DEP_3) | instskip(NEXT) | instid1(SALU_CYCLE_1)
	s_or_b32 s2, s1, s2
	s_and_not1_b32 exec_lo, exec_lo, s2
	s_cbranch_execnz .LBB102_4
; %bb.5:
	s_or_b32 exec_lo, exec_lo, s2
.LBB102_6:
	s_delay_alu instid0(SALU_CYCLE_1) | instskip(SKIP_2) | instid1(VALU_DEP_1)
	s_or_b32 exec_lo, exec_lo, s14
	v_mbcnt_lo_u32_b32 v1, -1, 0
	s_mov_b32 s1, exec_lo
	v_cmp_ne_u32_e64 s0, 31, v1
	s_delay_alu instid0(VALU_DEP_1) | instskip(SKIP_1) | instid1(VALU_DEP_2)
	v_add_co_ci_u32_e64 v2, s0, 0, v1, s0
	v_cmp_gt_u32_e64 s0, 30, v1
	v_lshlrev_b32_e32 v2, 2, v2
	s_delay_alu instid0(VALU_DEP_2)
	v_cndmask_b32_e64 v7, 0, 1, s0
	v_cmp_gt_u32_e64 s0, 28, v1
	ds_bpermute_b32 v4, v2, v6
	ds_bpermute_b32 v2, v2, v5
	s_waitcnt lgkmcnt(1)
	v_dual_add_f32 v4, v6, v4 :: v_dual_lshlrev_b32 v7, 1, v7
	s_delay_alu instid0(VALU_DEP_1)
	v_add_lshl_u32 v7, v7, v1, 2
	s_waitcnt lgkmcnt(0)
	v_add_f32_e32 v2, v5, v2
	ds_bpermute_b32 v5, v7, v4
	ds_bpermute_b32 v6, v7, v2
	v_cndmask_b32_e64 v7, 0, 1, s0
	v_cmp_gt_u32_e64 s0, 24, v1
	s_delay_alu instid0(VALU_DEP_2) | instskip(NEXT) | instid1(VALU_DEP_1)
	v_lshlrev_b32_e32 v7, 2, v7
	v_add_lshl_u32 v7, v7, v1, 2
	s_waitcnt lgkmcnt(1)
	v_add_f32_e32 v4, v4, v5
	s_waitcnt lgkmcnt(0)
	v_add_f32_e32 v2, v2, v6
	ds_bpermute_b32 v5, v7, v4
	ds_bpermute_b32 v6, v7, v2
	v_cndmask_b32_e64 v7, 0, 1, s0
	v_cmp_gt_u32_e64 s0, 16, v1
	s_delay_alu instid0(VALU_DEP_2) | instskip(NEXT) | instid1(VALU_DEP_1)
	v_lshlrev_b32_e32 v7, 3, v7
	v_add_lshl_u32 v7, v7, v1, 2
	s_waitcnt lgkmcnt(0)
	v_add_f32_e32 v2, v2, v6
	ds_bpermute_b32 v6, v7, v2
	v_add_f32_e32 v4, v4, v5
	ds_bpermute_b32 v5, v7, v4
	v_cndmask_b32_e64 v7, 0, 1, s0
	s_delay_alu instid0(VALU_DEP_1) | instskip(NEXT) | instid1(VALU_DEP_1)
	v_lshlrev_b32_e32 v7, 4, v7
	v_add_lshl_u32 v1, v7, v1, 2
	s_waitcnt lgkmcnt(0)
	v_dual_add_f32 v4, v4, v5 :: v_dual_add_f32 v5, v2, v6
	v_and_b32_e32 v6, 31, v0
	ds_bpermute_b32 v2, v1, v4
	ds_bpermute_b32 v1, v1, v5
	s_waitcnt lgkmcnt(0)
	v_dual_add_f32 v2, v4, v2 :: v_dual_add_f32 v1, v5, v1
	v_cmpx_eq_u32_e32 0, v6
	s_cbranch_execz .LBB102_8
; %bb.7:
	v_lshrrev_b32_e32 v4, 2, v0
	s_delay_alu instid0(VALU_DEP_1)
	v_add_nc_u32_e32 v4, 0, v4
	ds_store_2addr_b32 v4, v2, v1 offset1:1
.LBB102_8:
	s_or_b32 exec_lo, exec_lo, s1
	s_delay_alu instid0(SALU_CYCLE_1)
	s_mov_b32 s1, exec_lo
	s_waitcnt lgkmcnt(0)
	s_barrier
	buffer_gl0_inv
	v_cmpx_eq_u32_e32 0, v0
	s_cbranch_execz .LBB102_10
; %bb.9:
	v_mov_b32_e32 v16, 0
	ds_load_2addr_b64 v[4:7], v16 offset0:1 offset1:2
	ds_load_2addr_b64 v[8:11], v16 offset0:3 offset1:4
	s_waitcnt lgkmcnt(1)
	v_dual_add_f32 v1, v1, v5 :: v_dual_add_f32 v2, v2, v4
	ds_load_2addr_b64 v[12:15], v16 offset0:5 offset1:6
	v_dual_add_f32 v1, v1, v7 :: v_dual_add_f32 v2, v2, v6
	ds_load_2addr_b64 v[4:7], v16 offset0:7 offset1:8
	s_waitcnt lgkmcnt(2)
	v_dual_add_f32 v1, v1, v9 :: v_dual_add_f32 v2, v2, v8
	s_delay_alu instid0(VALU_DEP_1) | instskip(SKIP_3) | instid1(VALU_DEP_1)
	v_dual_add_f32 v1, v1, v11 :: v_dual_add_f32 v2, v2, v10
	ds_load_2addr_b64 v[8:11], v16 offset0:9 offset1:10
	s_waitcnt lgkmcnt(2)
	v_dual_add_f32 v1, v1, v13 :: v_dual_add_f32 v2, v2, v12
	v_dual_add_f32 v1, v1, v15 :: v_dual_add_f32 v2, v2, v14
	ds_load_2addr_b64 v[12:15], v16 offset0:11 offset1:12
	s_waitcnt lgkmcnt(2)
	v_dual_add_f32 v1, v1, v5 :: v_dual_add_f32 v2, v2, v4
	s_delay_alu instid0(VALU_DEP_1) | instskip(SKIP_3) | instid1(VALU_DEP_1)
	v_dual_add_f32 v1, v1, v7 :: v_dual_add_f32 v2, v2, v6
	ds_load_2addr_b64 v[4:7], v16 offset0:13 offset1:14
	s_waitcnt lgkmcnt(2)
	v_dual_add_f32 v1, v1, v9 :: v_dual_add_f32 v2, v2, v8
	;; [unrolled: 9-line block ×6, first 2 shown]
	v_dual_add_f32 v5, v1, v7 :: v_dual_add_f32 v4, v2, v6
	ds_load_b64 v[1:2], v16 offset:248
	s_waitcnt lgkmcnt(2)
	v_dual_add_f32 v5, v5, v9 :: v_dual_add_f32 v4, v4, v8
	s_delay_alu instid0(VALU_DEP_1) | instskip(SKIP_1) | instid1(VALU_DEP_1)
	v_dual_add_f32 v5, v5, v11 :: v_dual_add_f32 v4, v4, v10
	s_waitcnt lgkmcnt(1)
	v_dual_add_f32 v5, v5, v13 :: v_dual_add_f32 v4, v4, v12
	s_delay_alu instid0(VALU_DEP_1) | instskip(SKIP_1) | instid1(VALU_DEP_1)
	v_dual_add_f32 v5, v5, v15 :: v_dual_add_f32 v4, v4, v14
	s_waitcnt lgkmcnt(0)
	v_dual_add_f32 v2, v5, v2 :: v_dual_add_f32 v1, v4, v1
	ds_store_b64 v16, v[1:2]
.LBB102_10:
	s_or_b32 exec_lo, exec_lo, s1
	s_waitcnt lgkmcnt(0)
	s_barrier
	buffer_gl0_inv
	s_and_saveexec_b32 s0, vcc_lo
	s_cbranch_execz .LBB102_13
; %bb.11:
	s_mul_i32 s0, s15, s9
	s_mul_hi_u32 s1, s15, s8
	s_mul_i32 s2, s24, s8
	s_add_i32 s0, s1, s0
	v_mov_b32_e32 v1, 0
	s_add_i32 s1, s0, s2
	s_mul_i32 s0, s15, s8
	v_add3_u32 v4, v3, 0, 0x100
	s_lshl_b64 s[0:1], s[0:1], 3
	ds_load_b64 v[1:2], v1
	s_add_u32 s0, s6, s0
	s_addc_u32 s1, s7, s1
	s_add_i32 s2, s22, s21
	s_load_b64 s[0:1], s[0:1], 0x0
	s_add_i32 s17, s2, s23
	s_lshl_b64 s[2:3], s[18:19], 3
	s_lshl_b64 s[4:5], s[16:17], 3
	s_delay_alu instid0(SALU_CYCLE_1) | instskip(SKIP_2) | instid1(SALU_CYCLE_1)
	s_add_u32 s4, s4, s2
	s_addc_u32 s5, s5, s3
	s_lshl_b64 s[2:3], s[12:13], 3
	s_add_u32 s2, s4, s2
	s_addc_u32 s3, s5, s3
	s_add_u32 s2, s10, s2
	s_addc_u32 s3, s11, s3
	s_waitcnt lgkmcnt(0)
	v_dual_mul_f32 v5, s1, v2 :: v_dual_mul_f32 v6, s1, v1
	v_add_co_u32 v7, s1, s2, v3
	s_delay_alu instid0(VALU_DEP_1) | instskip(NEXT) | instid1(VALU_DEP_3)
	v_add_co_ci_u32_e64 v8, null, s3, 0, s1
	v_fma_f32 v3, v1, -s0, -v5
	s_delay_alu instid0(VALU_DEP_3) | instskip(SKIP_1) | instid1(VALU_DEP_4)
	v_add_co_u32 v1, vcc_lo, v7, 4
	v_fma_f32 v5, s0, v2, -v6
	v_add_co_ci_u32_e32 v2, vcc_lo, 0, v8, vcc_lo
	s_mov_b32 s1, 0
	.p2align	6
.LBB102_12:                             ; =>This Inner Loop Header: Depth=1
	global_load_b64 v[6:7], v[1:2], off offset:-4
	ds_load_b64 v[8:9], v4
	v_add_nc_u32_e32 v0, 0x400, v0
	v_add_nc_u32_e32 v4, 0x2000, v4
	s_delay_alu instid0(VALU_DEP_2) | instskip(SKIP_4) | instid1(VALU_DEP_2)
	v_cmp_le_i32_e32 vcc_lo, s20, v0
	s_or_b32 s1, vcc_lo, s1
	s_waitcnt lgkmcnt(0)
	v_mul_f32_e32 v10, v5, v9
	v_mul_f32_e32 v9, v3, v9
	v_fma_f32 v10, v3, v8, -v10
	s_waitcnt vmcnt(0)
	s_delay_alu instid0(VALU_DEP_1) | instskip(NEXT) | instid1(VALU_DEP_1)
	v_dual_fmac_f32 v9, v5, v8 :: v_dual_add_f32 v6, v6, v10
	v_add_f32_e32 v7, v7, v9
	global_store_b64 v[1:2], v[6:7], off offset:-4
	v_add_co_u32 v1, s0, 0x2000, v1
	s_delay_alu instid0(VALU_DEP_1)
	v_add_co_ci_u32_e64 v2, s0, 0, v2, s0
	s_and_not1_b32 exec_lo, exec_lo, s1
	s_cbranch_execnz .LBB102_12
.LBB102_13:
	s_nop 0
	s_sendmsg sendmsg(MSG_DEALLOC_VGPRS)
	s_endpgm
	.section	.rodata,"a",@progbits
	.p2align	6, 0x0
	.amdhsa_kernel _ZN9rocsolver6v33100L16larf_left_kernelILi1024E19rocblas_complex_numIfEiPS3_EEvT1_S5_T2_lS5_lPKT0_lS6_lS5_l
		.amdhsa_group_segment_fixed_size 0
		.amdhsa_private_segment_fixed_size 0
		.amdhsa_kernarg_size 88
		.amdhsa_user_sgpr_count 13
		.amdhsa_user_sgpr_dispatch_ptr 0
		.amdhsa_user_sgpr_queue_ptr 0
		.amdhsa_user_sgpr_kernarg_segment_ptr 1
		.amdhsa_user_sgpr_dispatch_id 0
		.amdhsa_user_sgpr_private_segment_size 0
		.amdhsa_wavefront_size32 1
		.amdhsa_uses_dynamic_stack 0
		.amdhsa_enable_private_segment 0
		.amdhsa_system_sgpr_workgroup_id_x 1
		.amdhsa_system_sgpr_workgroup_id_y 1
		.amdhsa_system_sgpr_workgroup_id_z 1
		.amdhsa_system_sgpr_workgroup_info 0
		.amdhsa_system_vgpr_workitem_id 0
		.amdhsa_next_free_vgpr 17
		.amdhsa_next_free_sgpr 31
		.amdhsa_reserve_vcc 1
		.amdhsa_float_round_mode_32 0
		.amdhsa_float_round_mode_16_64 0
		.amdhsa_float_denorm_mode_32 3
		.amdhsa_float_denorm_mode_16_64 3
		.amdhsa_dx10_clamp 1
		.amdhsa_ieee_mode 1
		.amdhsa_fp16_overflow 0
		.amdhsa_workgroup_processor_mode 1
		.amdhsa_memory_ordered 1
		.amdhsa_forward_progress 0
		.amdhsa_shared_vgpr_count 0
		.amdhsa_exception_fp_ieee_invalid_op 0
		.amdhsa_exception_fp_denorm_src 0
		.amdhsa_exception_fp_ieee_div_zero 0
		.amdhsa_exception_fp_ieee_overflow 0
		.amdhsa_exception_fp_ieee_underflow 0
		.amdhsa_exception_fp_ieee_inexact 0
		.amdhsa_exception_int_div_zero 0
	.end_amdhsa_kernel
	.section	.text._ZN9rocsolver6v33100L16larf_left_kernelILi1024E19rocblas_complex_numIfEiPS3_EEvT1_S5_T2_lS5_lPKT0_lS6_lS5_l,"axG",@progbits,_ZN9rocsolver6v33100L16larf_left_kernelILi1024E19rocblas_complex_numIfEiPS3_EEvT1_S5_T2_lS5_lPKT0_lS6_lS5_l,comdat
.Lfunc_end102:
	.size	_ZN9rocsolver6v33100L16larf_left_kernelILi1024E19rocblas_complex_numIfEiPS3_EEvT1_S5_T2_lS5_lPKT0_lS6_lS5_l, .Lfunc_end102-_ZN9rocsolver6v33100L16larf_left_kernelILi1024E19rocblas_complex_numIfEiPS3_EEvT1_S5_T2_lS5_lPKT0_lS6_lS5_l
                                        ; -- End function
	.section	.AMDGPU.csdata,"",@progbits
; Kernel info:
; codeLenInByte = 1824
; NumSgprs: 33
; NumVgprs: 17
; ScratchSize: 0
; MemoryBound: 0
; FloatMode: 240
; IeeeMode: 1
; LDSByteSize: 0 bytes/workgroup (compile time only)
; SGPRBlocks: 4
; VGPRBlocks: 2
; NumSGPRsForWavesPerEU: 33
; NumVGPRsForWavesPerEU: 17
; Occupancy: 16
; WaveLimiterHint : 0
; COMPUTE_PGM_RSRC2:SCRATCH_EN: 0
; COMPUTE_PGM_RSRC2:USER_SGPR: 13
; COMPUTE_PGM_RSRC2:TRAP_HANDLER: 0
; COMPUTE_PGM_RSRC2:TGID_X_EN: 1
; COMPUTE_PGM_RSRC2:TGID_Y_EN: 1
; COMPUTE_PGM_RSRC2:TGID_Z_EN: 1
; COMPUTE_PGM_RSRC2:TIDIG_COMP_CNT: 0
	.section	.text._ZN9rocsolver6v33100L17larf_right_kernelILi1024E19rocblas_complex_numIfEiPS3_EEvT1_S5_T2_lS5_lPKT0_lS6_lS5_l,"axG",@progbits,_ZN9rocsolver6v33100L17larf_right_kernelILi1024E19rocblas_complex_numIfEiPS3_EEvT1_S5_T2_lS5_lPKT0_lS6_lS5_l,comdat
	.globl	_ZN9rocsolver6v33100L17larf_right_kernelILi1024E19rocblas_complex_numIfEiPS3_EEvT1_S5_T2_lS5_lPKT0_lS6_lS5_l ; -- Begin function _ZN9rocsolver6v33100L17larf_right_kernelILi1024E19rocblas_complex_numIfEiPS3_EEvT1_S5_T2_lS5_lPKT0_lS6_lS5_l
	.p2align	8
	.type	_ZN9rocsolver6v33100L17larf_right_kernelILi1024E19rocblas_complex_numIfEiPS3_EEvT1_S5_T2_lS5_lPKT0_lS6_lS5_l,@function
_ZN9rocsolver6v33100L17larf_right_kernelILi1024E19rocblas_complex_numIfEiPS3_EEvT1_S5_T2_lS5_lPKT0_lS6_lS5_l: ; @_ZN9rocsolver6v33100L17larf_right_kernelILi1024E19rocblas_complex_numIfEiPS3_EEvT1_S5_T2_lS5_lPKT0_lS6_lS5_l
; %bb.0:
	s_clause 0x4
	s_load_b32 s24, s[0:1], 0x4
	s_load_b64 s[16:17], s[0:1], 0x50
	s_load_b64 s[20:21], s[0:1], 0x40
	s_load_b32 s12, s[0:1], 0x48
	s_load_b256 s[4:11], s[0:1], 0x20
	v_dual_mov_b32 v5, 0 :: v_dual_mov_b32 v6, 0
	v_lshlrev_b32_e32 v3, 3, v0
	s_mov_b32 s2, s15
	s_ashr_i32 s27, s15, 31
	s_mov_b32 s13, 0
	s_ashr_i32 s15, s14, 31
	s_waitcnt lgkmcnt(0)
	v_cmp_gt_i32_e32 vcc_lo, s24, v0
	s_mul_i32 s3, s16, s27
	s_mul_hi_u32 s26, s16, s2
	s_mul_i32 s25, s17, s2
	s_mul_i32 s22, s16, s2
	s_and_saveexec_b32 s28, vcc_lo
	s_cbranch_execz .LBB103_6
; %bb.1:
	s_clause 0x1
	s_load_b32 s30, s[0:1], 0x18
	s_load_b128 s[16:19], s[0:1], 0x8
	s_sub_i32 s1, 1, s24
	s_mul_i32 s23, s4, s27
	s_mul_hi_u32 s33, s4, s2
	s_mul_i32 s0, s4, s2
	s_mul_i32 s34, s5, s2
	v_add3_u32 v4, v3, 0, 0x100
	v_mov_b32_e32 v6, v0
	s_delay_alu instid0(VALU_DEP_2)
	v_mov_b32_e32 v5, v4
	s_waitcnt lgkmcnt(0)
	s_ashr_i32 s31, s30, 31
	v_mad_i64_i32 v[1:2], null, s30, v0, 0
	v_cmp_lt_i64_e64 s29, s[30:31], 1
	s_mul_i32 s1, s1, s30
	s_delay_alu instid0(VALU_DEP_1)
	s_and_b32 s4, s29, exec_lo
	s_cselect_b32 s4, s1, 0
	s_add_i32 s1, s33, s23
	s_ashr_i32 s5, s4, 31
	s_add_i32 s1, s1, s34
	s_lshl_b64 s[4:5], s[4:5], 3
	s_lshl_b64 s[18:19], s[18:19], 3
	;; [unrolled: 1-line block ×3, first 2 shown]
	v_lshlrev_b64 v[1:2], 3, v[1:2]
	s_add_u32 s4, s16, s4
	s_addc_u32 s5, s17, s5
	s_add_u32 s4, s4, s18
	s_addc_u32 s5, s5, s19
	;; [unrolled: 2-line block ×3, first 2 shown]
	v_add_co_u32 v1, s0, s0, v1
	s_delay_alu instid0(VALU_DEP_1)
	v_add_co_ci_u32_e64 v2, s0, s1, v2, s0
	s_lshl_b64 s[4:5], s[30:31], 13
	.p2align	6
.LBB103_2:                              ; =>This Inner Loop Header: Depth=1
	global_load_b64 v[7:8], v[1:2], off
	v_add_nc_u32_e32 v6, 0x400, v6
	v_add_co_u32 v1, s0, v1, s4
	s_delay_alu instid0(VALU_DEP_1) | instskip(NEXT) | instid1(VALU_DEP_3)
	v_add_co_ci_u32_e64 v2, s0, s5, v2, s0
	v_cmp_le_i32_e64 s1, s24, v6
	s_delay_alu instid0(VALU_DEP_1)
	s_or_b32 s13, s1, s13
	s_waitcnt vmcnt(0)
	ds_store_b64 v5, v[7:8]
	v_add_nc_u32_e32 v5, 0x2000, v5
	s_and_not1_b32 exec_lo, exec_lo, s13
	s_cbranch_execnz .LBB103_2
; %bb.3:
	s_or_b32 exec_lo, exec_lo, s13
	v_mad_i64_i32 v[1:2], null, s12, v0, 0
	s_add_i32 s4, s26, s3
	s_ashr_i32 s13, s12, 31
	s_add_i32 s23, s4, s25
	s_lshl_b64 s[4:5], s[14:15], 3
	s_lshl_b64 s[0:1], s[20:21], 3
	;; [unrolled: 1-line block ×3, first 2 shown]
	s_delay_alu instid0(VALU_DEP_1)
	v_lshlrev_b64 v[1:2], 3, v[1:2]
	s_add_u32 s4, s10, s4
	s_addc_u32 s5, s11, s5
	s_add_u32 s0, s4, s0
	s_addc_u32 s1, s5, s1
	;; [unrolled: 2-line block ×3, first 2 shown]
	v_add_co_u32 v1, s0, s0, v1
	s_delay_alu instid0(VALU_DEP_1)
	v_add_co_ci_u32_e64 v2, s0, s1, v2, s0
	v_dual_mov_b32 v5, 0 :: v_dual_mov_b32 v6, 0
	v_mov_b32_e32 v7, v0
	s_lshl_b64 s[4:5], s[12:13], 13
	s_mov_b32 s13, 0
	.p2align	6
.LBB103_4:                              ; =>This Inner Loop Header: Depth=1
	global_load_b64 v[8:9], v[1:2], off
	ds_load_b64 v[10:11], v4
	v_add_nc_u32_e32 v7, 0x400, v7
	v_add_co_u32 v1, s0, v1, s4
	s_delay_alu instid0(VALU_DEP_1)
	v_add_co_ci_u32_e64 v2, s0, s5, v2, s0
	v_add_nc_u32_e32 v4, 0x2000, v4
	s_waitcnt vmcnt(0) lgkmcnt(0)
	v_mul_f32_e32 v12, v11, v9
	v_mul_f32_e32 v9, v10, v9
	v_cmp_le_i32_e64 s1, s24, v7
	s_delay_alu instid0(VALU_DEP_3) | instskip(NEXT) | instid1(VALU_DEP_3)
	v_fma_f32 v10, v10, v8, -v12
	v_fmac_f32_e32 v9, v11, v8
	s_delay_alu instid0(VALU_DEP_3) | instskip(NEXT) | instid1(VALU_DEP_1)
	s_or_b32 s13, s1, s13
	v_dual_add_f32 v6, v6, v10 :: v_dual_add_f32 v5, v5, v9
	s_and_not1_b32 exec_lo, exec_lo, s13
	s_cbranch_execnz .LBB103_4
; %bb.5:
	s_or_b32 exec_lo, exec_lo, s13
.LBB103_6:
	s_delay_alu instid0(SALU_CYCLE_1) | instskip(SKIP_2) | instid1(VALU_DEP_1)
	s_or_b32 exec_lo, exec_lo, s28
	v_mbcnt_lo_u32_b32 v1, -1, 0
	s_mov_b32 s1, exec_lo
	v_cmp_ne_u32_e64 s0, 31, v1
	s_delay_alu instid0(VALU_DEP_1) | instskip(SKIP_1) | instid1(VALU_DEP_2)
	v_add_co_ci_u32_e64 v2, s0, 0, v1, s0
	v_cmp_gt_u32_e64 s0, 30, v1
	v_lshlrev_b32_e32 v2, 2, v2
	s_delay_alu instid0(VALU_DEP_2)
	v_cndmask_b32_e64 v7, 0, 1, s0
	v_cmp_gt_u32_e64 s0, 28, v1
	ds_bpermute_b32 v4, v2, v6
	ds_bpermute_b32 v2, v2, v5
	s_waitcnt lgkmcnt(1)
	v_dual_add_f32 v4, v6, v4 :: v_dual_lshlrev_b32 v7, 1, v7
	s_delay_alu instid0(VALU_DEP_1)
	v_add_lshl_u32 v7, v7, v1, 2
	s_waitcnt lgkmcnt(0)
	v_add_f32_e32 v2, v5, v2
	ds_bpermute_b32 v5, v7, v4
	ds_bpermute_b32 v6, v7, v2
	v_cndmask_b32_e64 v7, 0, 1, s0
	v_cmp_gt_u32_e64 s0, 24, v1
	s_delay_alu instid0(VALU_DEP_2) | instskip(NEXT) | instid1(VALU_DEP_1)
	v_lshlrev_b32_e32 v7, 2, v7
	v_add_lshl_u32 v7, v7, v1, 2
	s_waitcnt lgkmcnt(1)
	v_add_f32_e32 v4, v4, v5
	s_waitcnt lgkmcnt(0)
	v_add_f32_e32 v2, v2, v6
	ds_bpermute_b32 v5, v7, v4
	ds_bpermute_b32 v6, v7, v2
	v_cndmask_b32_e64 v7, 0, 1, s0
	v_cmp_gt_u32_e64 s0, 16, v1
	s_delay_alu instid0(VALU_DEP_2) | instskip(NEXT) | instid1(VALU_DEP_1)
	v_lshlrev_b32_e32 v7, 3, v7
	v_add_lshl_u32 v7, v7, v1, 2
	s_waitcnt lgkmcnt(0)
	v_add_f32_e32 v2, v2, v6
	ds_bpermute_b32 v6, v7, v2
	v_add_f32_e32 v4, v4, v5
	ds_bpermute_b32 v5, v7, v4
	v_cndmask_b32_e64 v7, 0, 1, s0
	s_delay_alu instid0(VALU_DEP_1) | instskip(NEXT) | instid1(VALU_DEP_1)
	v_lshlrev_b32_e32 v7, 4, v7
	v_add_lshl_u32 v1, v7, v1, 2
	s_waitcnt lgkmcnt(0)
	v_dual_add_f32 v4, v4, v5 :: v_dual_add_f32 v5, v2, v6
	v_and_b32_e32 v6, 31, v0
	ds_bpermute_b32 v2, v1, v4
	ds_bpermute_b32 v1, v1, v5
	s_waitcnt lgkmcnt(0)
	v_dual_add_f32 v2, v4, v2 :: v_dual_add_f32 v1, v5, v1
	v_cmpx_eq_u32_e32 0, v6
	s_cbranch_execz .LBB103_8
; %bb.7:
	v_lshrrev_b32_e32 v4, 2, v0
	s_delay_alu instid0(VALU_DEP_1)
	v_add_nc_u32_e32 v4, 0, v4
	ds_store_2addr_b32 v4, v2, v1 offset1:1
.LBB103_8:
	s_or_b32 exec_lo, exec_lo, s1
	s_delay_alu instid0(SALU_CYCLE_1)
	s_mov_b32 s1, exec_lo
	s_waitcnt lgkmcnt(0)
	s_barrier
	buffer_gl0_inv
	v_cmpx_eq_u32_e32 0, v0
	s_cbranch_execz .LBB103_10
; %bb.9:
	v_mov_b32_e32 v16, 0
	ds_load_2addr_b64 v[4:7], v16 offset0:1 offset1:2
	ds_load_2addr_b64 v[8:11], v16 offset0:3 offset1:4
	s_waitcnt lgkmcnt(1)
	v_dual_add_f32 v1, v1, v5 :: v_dual_add_f32 v2, v2, v4
	ds_load_2addr_b64 v[12:15], v16 offset0:5 offset1:6
	v_dual_add_f32 v1, v1, v7 :: v_dual_add_f32 v2, v2, v6
	ds_load_2addr_b64 v[4:7], v16 offset0:7 offset1:8
	s_waitcnt lgkmcnt(2)
	v_dual_add_f32 v1, v1, v9 :: v_dual_add_f32 v2, v2, v8
	s_delay_alu instid0(VALU_DEP_1) | instskip(SKIP_3) | instid1(VALU_DEP_1)
	v_dual_add_f32 v1, v1, v11 :: v_dual_add_f32 v2, v2, v10
	ds_load_2addr_b64 v[8:11], v16 offset0:9 offset1:10
	s_waitcnt lgkmcnt(2)
	v_dual_add_f32 v1, v1, v13 :: v_dual_add_f32 v2, v2, v12
	v_dual_add_f32 v1, v1, v15 :: v_dual_add_f32 v2, v2, v14
	ds_load_2addr_b64 v[12:15], v16 offset0:11 offset1:12
	s_waitcnt lgkmcnt(2)
	v_dual_add_f32 v1, v1, v5 :: v_dual_add_f32 v2, v2, v4
	s_delay_alu instid0(VALU_DEP_1) | instskip(SKIP_3) | instid1(VALU_DEP_1)
	v_dual_add_f32 v1, v1, v7 :: v_dual_add_f32 v2, v2, v6
	ds_load_2addr_b64 v[4:7], v16 offset0:13 offset1:14
	s_waitcnt lgkmcnt(2)
	v_dual_add_f32 v1, v1, v9 :: v_dual_add_f32 v2, v2, v8
	;; [unrolled: 9-line block ×6, first 2 shown]
	v_dual_add_f32 v5, v1, v7 :: v_dual_add_f32 v4, v2, v6
	ds_load_b64 v[1:2], v16 offset:248
	s_waitcnt lgkmcnt(2)
	v_dual_add_f32 v5, v5, v9 :: v_dual_add_f32 v4, v4, v8
	s_delay_alu instid0(VALU_DEP_1) | instskip(SKIP_1) | instid1(VALU_DEP_1)
	v_dual_add_f32 v5, v5, v11 :: v_dual_add_f32 v4, v4, v10
	s_waitcnt lgkmcnt(1)
	v_dual_add_f32 v5, v5, v13 :: v_dual_add_f32 v4, v4, v12
	s_delay_alu instid0(VALU_DEP_1) | instskip(SKIP_1) | instid1(VALU_DEP_1)
	v_dual_add_f32 v5, v5, v15 :: v_dual_add_f32 v4, v4, v14
	s_waitcnt lgkmcnt(0)
	v_dual_add_f32 v2, v5, v2 :: v_dual_add_f32 v1, v4, v1
	ds_store_b64 v16, v[1:2]
.LBB103_10:
	s_or_b32 exec_lo, exec_lo, s1
	s_waitcnt lgkmcnt(0)
	s_barrier
	buffer_gl0_inv
	s_and_saveexec_b32 s0, vcc_lo
	s_cbranch_execz .LBB103_13
; %bb.11:
	s_mul_i32 s0, s2, s9
	s_mul_hi_u32 s1, s2, s8
	s_mul_i32 s4, s27, s8
	s_add_i32 s0, s1, s0
	v_mov_b32_e32 v1, 0
	s_add_i32 s1, s0, s4
	s_mul_i32 s0, s2, s8
	v_mad_i64_i32 v[4:5], null, s12, v0, 0
	s_lshl_b64 s[0:1], s[0:1], 3
	ds_load_b64 v[1:2], v1
	s_add_u32 s0, s6, s0
	s_addc_u32 s1, s7, s1
	s_add_i32 s4, s26, s3
	s_load_b64 s[0:1], s[0:1], 0x0
	s_add_i32 s23, s4, s25
	s_lshl_b64 s[4:5], s[14:15], 3
	s_ashr_i32 s13, s12, 31
	s_lshl_b64 s[2:3], s[20:21], 3
	s_lshl_b64 s[6:7], s[22:23], 3
	v_lshlrev_b64 v[4:5], 3, v[4:5]
	s_add_u32 s4, s10, s4
	s_addc_u32 s5, s11, s5
	s_add_u32 s2, s4, s2
	s_addc_u32 s3, s5, s3
	;; [unrolled: 2-line block ×3, first 2 shown]
	v_add_co_u32 v8, vcc_lo, s2, v4
	v_add_co_ci_u32_e32 v9, vcc_lo, s3, v5, vcc_lo
	v_add3_u32 v3, v3, 0, 0x100
	s_lshl_b64 s[2:3], s[12:13], 13
	s_waitcnt lgkmcnt(0)
	v_dual_mul_f32 v6, s0, v1 :: v_dual_mul_f32 v7, s0, v2
	s_delay_alu instid0(VALU_DEP_1) | instskip(NEXT) | instid1(VALU_DEP_2)
	v_fma_f32 v4, s1, v2, -v6
	v_fma_f32 v5, v1, -s1, -v7
	v_add_co_u32 v1, vcc_lo, v8, 4
	v_add_co_ci_u32_e32 v2, vcc_lo, 0, v9, vcc_lo
	s_mov_b32 s1, 0
	.p2align	6
.LBB103_12:                             ; =>This Inner Loop Header: Depth=1
	global_load_b64 v[6:7], v[1:2], off offset:-4
	ds_load_b64 v[8:9], v3
	v_add_nc_u32_e32 v0, 0x400, v0
	v_add_nc_u32_e32 v3, 0x2000, v3
	s_delay_alu instid0(VALU_DEP_2) | instskip(SKIP_4) | instid1(VALU_DEP_2)
	v_cmp_le_i32_e32 vcc_lo, s24, v0
	s_or_b32 s1, vcc_lo, s1
	s_waitcnt lgkmcnt(0)
	v_mul_f32_e32 v10, v5, v9
	v_mul_f32_e32 v9, v4, v9
	v_fmac_f32_e32 v10, v4, v8
	s_delay_alu instid0(VALU_DEP_2) | instskip(SKIP_1) | instid1(VALU_DEP_1)
	v_fma_f32 v8, v5, v8, -v9
	s_waitcnt vmcnt(0)
	v_dual_add_f32 v6, v6, v10 :: v_dual_add_f32 v7, v7, v8
	global_store_b64 v[1:2], v[6:7], off offset:-4
	v_add_co_u32 v1, s0, v1, s2
	s_delay_alu instid0(VALU_DEP_1)
	v_add_co_ci_u32_e64 v2, s0, s3, v2, s0
	s_and_not1_b32 exec_lo, exec_lo, s1
	s_cbranch_execnz .LBB103_12
.LBB103_13:
	s_nop 0
	s_sendmsg sendmsg(MSG_DEALLOC_VGPRS)
	s_endpgm
	.section	.rodata,"a",@progbits
	.p2align	6, 0x0
	.amdhsa_kernel _ZN9rocsolver6v33100L17larf_right_kernelILi1024E19rocblas_complex_numIfEiPS3_EEvT1_S5_T2_lS5_lPKT0_lS6_lS5_l
		.amdhsa_group_segment_fixed_size 0
		.amdhsa_private_segment_fixed_size 0
		.amdhsa_kernarg_size 88
		.amdhsa_user_sgpr_count 13
		.amdhsa_user_sgpr_dispatch_ptr 0
		.amdhsa_user_sgpr_queue_ptr 0
		.amdhsa_user_sgpr_kernarg_segment_ptr 1
		.amdhsa_user_sgpr_dispatch_id 0
		.amdhsa_user_sgpr_private_segment_size 0
		.amdhsa_wavefront_size32 1
		.amdhsa_uses_dynamic_stack 0
		.amdhsa_enable_private_segment 0
		.amdhsa_system_sgpr_workgroup_id_x 1
		.amdhsa_system_sgpr_workgroup_id_y 1
		.amdhsa_system_sgpr_workgroup_id_z 1
		.amdhsa_system_sgpr_workgroup_info 0
		.amdhsa_system_vgpr_workitem_id 0
		.amdhsa_next_free_vgpr 17
		.amdhsa_next_free_sgpr 35
		.amdhsa_reserve_vcc 1
		.amdhsa_float_round_mode_32 0
		.amdhsa_float_round_mode_16_64 0
		.amdhsa_float_denorm_mode_32 3
		.amdhsa_float_denorm_mode_16_64 3
		.amdhsa_dx10_clamp 1
		.amdhsa_ieee_mode 1
		.amdhsa_fp16_overflow 0
		.amdhsa_workgroup_processor_mode 1
		.amdhsa_memory_ordered 1
		.amdhsa_forward_progress 0
		.amdhsa_shared_vgpr_count 0
		.amdhsa_exception_fp_ieee_invalid_op 0
		.amdhsa_exception_fp_denorm_src 0
		.amdhsa_exception_fp_ieee_div_zero 0
		.amdhsa_exception_fp_ieee_overflow 0
		.amdhsa_exception_fp_ieee_underflow 0
		.amdhsa_exception_fp_ieee_inexact 0
		.amdhsa_exception_int_div_zero 0
	.end_amdhsa_kernel
	.section	.text._ZN9rocsolver6v33100L17larf_right_kernelILi1024E19rocblas_complex_numIfEiPS3_EEvT1_S5_T2_lS5_lPKT0_lS6_lS5_l,"axG",@progbits,_ZN9rocsolver6v33100L17larf_right_kernelILi1024E19rocblas_complex_numIfEiPS3_EEvT1_S5_T2_lS5_lPKT0_lS6_lS5_l,comdat
.Lfunc_end103:
	.size	_ZN9rocsolver6v33100L17larf_right_kernelILi1024E19rocblas_complex_numIfEiPS3_EEvT1_S5_T2_lS5_lPKT0_lS6_lS5_l, .Lfunc_end103-_ZN9rocsolver6v33100L17larf_right_kernelILi1024E19rocblas_complex_numIfEiPS3_EEvT1_S5_T2_lS5_lPKT0_lS6_lS5_l
                                        ; -- End function
	.section	.AMDGPU.csdata,"",@progbits
; Kernel info:
; codeLenInByte = 1828
; NumSgprs: 37
; NumVgprs: 17
; ScratchSize: 0
; MemoryBound: 0
; FloatMode: 240
; IeeeMode: 1
; LDSByteSize: 0 bytes/workgroup (compile time only)
; SGPRBlocks: 4
; VGPRBlocks: 2
; NumSGPRsForWavesPerEU: 37
; NumVGPRsForWavesPerEU: 17
; Occupancy: 16
; WaveLimiterHint : 0
; COMPUTE_PGM_RSRC2:SCRATCH_EN: 0
; COMPUTE_PGM_RSRC2:USER_SGPR: 13
; COMPUTE_PGM_RSRC2:TRAP_HANDLER: 0
; COMPUTE_PGM_RSRC2:TGID_X_EN: 1
; COMPUTE_PGM_RSRC2:TGID_Y_EN: 1
; COMPUTE_PGM_RSRC2:TGID_Z_EN: 1
; COMPUTE_PGM_RSRC2:TIDIG_COMP_CNT: 0
	.section	.text._ZN9rocsolver6v33100L12restore_diagI19rocblas_complex_numIfEifPS3_EEvPT1_llT2_lT0_lS8_,"axG",@progbits,_ZN9rocsolver6v33100L12restore_diagI19rocblas_complex_numIfEifPS3_EEvPT1_llT2_lT0_lS8_,comdat
	.globl	_ZN9rocsolver6v33100L12restore_diagI19rocblas_complex_numIfEifPS3_EEvPT1_llT2_lT0_lS8_ ; -- Begin function _ZN9rocsolver6v33100L12restore_diagI19rocblas_complex_numIfEifPS3_EEvPT1_llT2_lT0_lS8_
	.p2align	8
	.type	_ZN9rocsolver6v33100L12restore_diagI19rocblas_complex_numIfEifPS3_EEvPT1_llT2_lT0_lS8_,@function
_ZN9rocsolver6v33100L12restore_diagI19rocblas_complex_numIfEifPS3_EEvPT1_llT2_lT0_lS8_: ; @_ZN9rocsolver6v33100L12restore_diagI19rocblas_complex_numIfEifPS3_EEvPT1_llT2_lT0_lS8_
; %bb.0:
	s_clause 0x1
	s_load_b32 s2, s[0:1], 0x4c
	s_load_b32 s3, s[0:1], 0x38
	v_bfe_u32 v2, v0, 10, 10
	s_waitcnt lgkmcnt(0)
	s_lshr_b32 s2, s2, 16
	s_delay_alu instid0(VALU_DEP_1) | instid1(SALU_CYCLE_1)
	v_mad_u64_u32 v[0:1], null, s15, s2, v[2:3]
	s_mov_b32 s2, exec_lo
	s_delay_alu instid0(VALU_DEP_1)
	v_cmpx_gt_i32_e64 s3, v0
	s_cbranch_execz .LBB104_2
; %bb.1:
	s_clause 0x3
	s_load_b64 s[2:3], s[0:1], 0x30
	s_load_b256 s[4:11], s[0:1], 0x0
	s_load_b32 s12, s[0:1], 0x28
	s_load_b64 s[0:1], s[0:1], 0x20
	s_ashr_i32 s13, s14, 31
	s_waitcnt lgkmcnt(0)
	s_mul_i32 s3, s14, s3
	s_mul_hi_u32 s15, s14, s2
	s_mul_i32 s16, s13, s2
	s_add_i32 s3, s15, s3
	s_mul_i32 s2, s14, s2
	s_add_i32 s3, s3, s16
	s_mul_i32 s9, s14, s9
	s_lshl_b64 s[2:3], s[2:3], 3
	s_mul_hi_u32 s15, s14, s8
	s_add_u32 s2, s10, s2
	s_addc_u32 s3, s11, s3
	s_lshl_b64 s[0:1], s[0:1], 3
	s_mul_i32 s13, s13, s8
	s_add_u32 s2, s2, s0
	v_mad_u64_u32 v[2:3], null, v0, s12, v[0:1]
	v_ashrrev_i32_e32 v1, 31, v0
	s_addc_u32 s3, s3, s1
	s_add_i32 s1, s15, s9
	s_mul_i32 s0, s14, s8
	s_add_i32 s1, s1, s13
	v_lshlrev_b64 v[0:1], 2, v[0:1]
	s_lshl_b64 s[0:1], s[0:1], 2
	v_ashrrev_i32_e32 v3, 31, v2
	s_add_u32 s4, s4, s0
	s_addc_u32 s5, s5, s1
	s_lshl_b64 s[0:1], s[6:7], 2
	s_delay_alu instid0(SALU_CYCLE_1)
	s_add_u32 s0, s4, s0
	s_addc_u32 s1, s5, s1
	v_add_co_u32 v0, vcc_lo, s0, v0
	v_add_co_ci_u32_e32 v1, vcc_lo, s1, v1, vcc_lo
	global_load_b32 v0, v[0:1], off
	v_lshlrev_b64 v[1:2], 3, v[2:3]
	s_delay_alu instid0(VALU_DEP_1) | instskip(NEXT) | instid1(VALU_DEP_2)
	v_add_co_u32 v3, vcc_lo, s2, v1
	v_add_co_ci_u32_e32 v4, vcc_lo, s3, v2, vcc_lo
	v_mov_b32_e32 v1, 0
	s_waitcnt vmcnt(0)
	global_store_b64 v[3:4], v[0:1], off
.LBB104_2:
	s_nop 0
	s_sendmsg sendmsg(MSG_DEALLOC_VGPRS)
	s_endpgm
	.section	.rodata,"a",@progbits
	.p2align	6, 0x0
	.amdhsa_kernel _ZN9rocsolver6v33100L12restore_diagI19rocblas_complex_numIfEifPS3_EEvPT1_llT2_lT0_lS8_
		.amdhsa_group_segment_fixed_size 0
		.amdhsa_private_segment_fixed_size 0
		.amdhsa_kernarg_size 320
		.amdhsa_user_sgpr_count 14
		.amdhsa_user_sgpr_dispatch_ptr 0
		.amdhsa_user_sgpr_queue_ptr 0
		.amdhsa_user_sgpr_kernarg_segment_ptr 1
		.amdhsa_user_sgpr_dispatch_id 0
		.amdhsa_user_sgpr_private_segment_size 0
		.amdhsa_wavefront_size32 1
		.amdhsa_uses_dynamic_stack 0
		.amdhsa_enable_private_segment 0
		.amdhsa_system_sgpr_workgroup_id_x 1
		.amdhsa_system_sgpr_workgroup_id_y 1
		.amdhsa_system_sgpr_workgroup_id_z 0
		.amdhsa_system_sgpr_workgroup_info 0
		.amdhsa_system_vgpr_workitem_id 1
		.amdhsa_next_free_vgpr 5
		.amdhsa_next_free_sgpr 17
		.amdhsa_reserve_vcc 1
		.amdhsa_float_round_mode_32 0
		.amdhsa_float_round_mode_16_64 0
		.amdhsa_float_denorm_mode_32 3
		.amdhsa_float_denorm_mode_16_64 3
		.amdhsa_dx10_clamp 1
		.amdhsa_ieee_mode 1
		.amdhsa_fp16_overflow 0
		.amdhsa_workgroup_processor_mode 1
		.amdhsa_memory_ordered 1
		.amdhsa_forward_progress 0
		.amdhsa_shared_vgpr_count 0
		.amdhsa_exception_fp_ieee_invalid_op 0
		.amdhsa_exception_fp_denorm_src 0
		.amdhsa_exception_fp_ieee_div_zero 0
		.amdhsa_exception_fp_ieee_overflow 0
		.amdhsa_exception_fp_ieee_underflow 0
		.amdhsa_exception_fp_ieee_inexact 0
		.amdhsa_exception_int_div_zero 0
	.end_amdhsa_kernel
	.section	.text._ZN9rocsolver6v33100L12restore_diagI19rocblas_complex_numIfEifPS3_EEvPT1_llT2_lT0_lS8_,"axG",@progbits,_ZN9rocsolver6v33100L12restore_diagI19rocblas_complex_numIfEifPS3_EEvPT1_llT2_lT0_lS8_,comdat
.Lfunc_end104:
	.size	_ZN9rocsolver6v33100L12restore_diagI19rocblas_complex_numIfEifPS3_EEvPT1_llT2_lT0_lS8_, .Lfunc_end104-_ZN9rocsolver6v33100L12restore_diagI19rocblas_complex_numIfEifPS3_EEvPT1_llT2_lT0_lS8_
                                        ; -- End function
	.section	.AMDGPU.csdata,"",@progbits
; Kernel info:
; codeLenInByte = 308
; NumSgprs: 19
; NumVgprs: 5
; ScratchSize: 0
; MemoryBound: 0
; FloatMode: 240
; IeeeMode: 1
; LDSByteSize: 0 bytes/workgroup (compile time only)
; SGPRBlocks: 2
; VGPRBlocks: 0
; NumSGPRsForWavesPerEU: 19
; NumVGPRsForWavesPerEU: 5
; Occupancy: 16
; WaveLimiterHint : 0
; COMPUTE_PGM_RSRC2:SCRATCH_EN: 0
; COMPUTE_PGM_RSRC2:USER_SGPR: 14
; COMPUTE_PGM_RSRC2:TRAP_HANDLER: 0
; COMPUTE_PGM_RSRC2:TGID_X_EN: 1
; COMPUTE_PGM_RSRC2:TGID_Y_EN: 1
; COMPUTE_PGM_RSRC2:TGID_Z_EN: 0
; COMPUTE_PGM_RSRC2:TIDIG_COMP_CNT: 1
	.section	.text._ZN9rocsolver6v33100L14set_triangularI19rocblas_complex_numIfEPS3_TnNSt9enable_ifIX18rocblas_is_complexIT_EEiE4typeELi0EEEviiT0_iilPS6_lSA_il15rocblas_direct_15rocblas_storev_b,"axG",@progbits,_ZN9rocsolver6v33100L14set_triangularI19rocblas_complex_numIfEPS3_TnNSt9enable_ifIX18rocblas_is_complexIT_EEiE4typeELi0EEEviiT0_iilPS6_lSA_il15rocblas_direct_15rocblas_storev_b,comdat
	.globl	_ZN9rocsolver6v33100L14set_triangularI19rocblas_complex_numIfEPS3_TnNSt9enable_ifIX18rocblas_is_complexIT_EEiE4typeELi0EEEviiT0_iilPS6_lSA_il15rocblas_direct_15rocblas_storev_b ; -- Begin function _ZN9rocsolver6v33100L14set_triangularI19rocblas_complex_numIfEPS3_TnNSt9enable_ifIX18rocblas_is_complexIT_EEiE4typeELi0EEEviiT0_iilPS6_lSA_il15rocblas_direct_15rocblas_storev_b
	.p2align	8
	.type	_ZN9rocsolver6v33100L14set_triangularI19rocblas_complex_numIfEPS3_TnNSt9enable_ifIX18rocblas_is_complexIT_EEiE4typeELi0EEEviiT0_iilPS6_lSA_il15rocblas_direct_15rocblas_storev_b,@function
_ZN9rocsolver6v33100L14set_triangularI19rocblas_complex_numIfEPS3_TnNSt9enable_ifIX18rocblas_is_complexIT_EEiE4typeELi0EEEviiT0_iilPS6_lSA_il15rocblas_direct_15rocblas_storev_b: ; @_ZN9rocsolver6v33100L14set_triangularI19rocblas_complex_numIfEPS3_TnNSt9enable_ifIX18rocblas_is_complexIT_EEiE4typeELi0EEEviiT0_iilPS6_lSA_il15rocblas_direct_15rocblas_storev_b
; %bb.0:
	s_clause 0x1
	s_load_b32 s2, s[0:1], 0x64
	s_load_b64 s[16:17], s[0:1], 0x0
	v_and_b32_e32 v2, 0x3ff, v0
	v_bfe_u32 v4, v0, 10, 10
	s_waitcnt lgkmcnt(0)
	s_lshr_b32 s3, s2, 16
	s_and_b32 s2, s2, 0xffff
	s_delay_alu instid0(SALU_CYCLE_1) | instskip(SKIP_2) | instid1(VALU_DEP_1)
	v_mad_u64_u32 v[0:1], null, s13, s2, v[2:3]
	v_mad_u64_u32 v[2:3], null, s14, s3, v[4:5]
	s_mov_b32 s2, exec_lo
	v_max_u32_e32 v1, v0, v2
	s_delay_alu instid0(VALU_DEP_1)
	v_cmpx_gt_u32_e64 s17, v1
	s_cbranch_execz .LBB105_36
; %bb.1:
	s_clause 0x2
	s_load_b256 s[4:11], s[0:1], 0x18
	s_load_b64 s[2:3], s[0:1], 0x40
	s_load_b32 s12, s[0:1], 0x38
	s_waitcnt lgkmcnt(0)
	s_mul_i32 s9, s15, s9
	s_mul_hi_u32 s13, s15, s8
	s_mul_i32 s8, s15, s8
	s_add_i32 s9, s13, s9
	s_mul_i32 s3, s15, s3
	s_lshl_b64 s[8:9], s[8:9], 3
	s_mul_hi_u32 s18, s15, s2
	s_add_u32 s13, s6, s8
	s_mul_i32 s2, s15, s2
	s_addc_u32 s14, s7, s9
	s_add_i32 s3, s18, s3
	s_delay_alu instid0(SALU_CYCLE_1) | instskip(NEXT) | instid1(SALU_CYCLE_1)
	s_lshl_b64 s[2:3], s[2:3], 3
	s_add_u32 s6, s10, s2
	s_addc_u32 s7, s11, s3
	s_mov_b32 s2, exec_lo
	v_cmpx_ne_u32_e64 v2, v0
	s_xor_b32 s18, exec_lo, s2
	s_cbranch_execz .LBB105_34
; %bb.2:
	s_clause 0x1
	s_load_b128 s[8:11], s[0:1], 0x8
	s_load_b128 s[0:3], s[0:1], 0x48
	s_waitcnt lgkmcnt(0)
	s_mul_i32 s3, s15, s5
	s_mul_hi_u32 s5, s15, s4
	s_mul_i32 s4, s15, s4
	s_add_i32 s5, s5, s3
	v_mov_b32_e32 v1, 0
	s_lshl_b64 s[4:5], s[4:5], 3
	s_ashr_i32 s21, s10, 31
	s_mov_b32 s20, s10
	s_add_u32 s3, s8, s4
	s_addc_u32 s8, s9, s5
	s_lshl_b64 s[4:5], s[20:21], 3
	s_delay_alu instid0(SALU_CYCLE_1) | instskip(SKIP_3) | instid1(SALU_CYCLE_1)
	s_add_u32 s3, s3, s4
	s_addc_u32 s4, s8, s5
	s_bitcmp1_b32 s2, 0
	s_cselect_b32 s2, -1, 0
	s_xor_b32 s2, s2, -1
	s_cmpk_lg_i32 s0, 0xab
	s_mov_b32 s0, -1
	s_cbranch_scc0 .LBB105_18
; %bb.3:
	s_mov_b32 s0, exec_lo
	v_cmpx_le_u32_e64 v2, v0
	s_xor_b32 s0, exec_lo, s0
	s_cbranch_execz .LBB105_5
; %bb.4:
	v_mad_u64_u32 v[4:5], null, v0, s12, 0
	s_ashr_i32 s5, s12, 31
	s_delay_alu instid0(VALU_DEP_1) | instskip(NEXT) | instid1(VALU_DEP_1)
	v_mov_b32_e32 v3, v5
	v_mad_u64_u32 v[5:6], null, v0, s5, v[3:4]
	v_mov_b32_e32 v3, 0
	s_delay_alu instid0(VALU_DEP_1) | instskip(NEXT) | instid1(VALU_DEP_3)
	v_lshlrev_b64 v[6:7], 3, v[2:3]
	v_lshlrev_b64 v[4:5], 3, v[4:5]
	s_delay_alu instid0(VALU_DEP_1) | instskip(NEXT) | instid1(VALU_DEP_2)
	v_add_co_u32 v8, vcc_lo, s6, v4
	v_add_co_ci_u32_e32 v5, vcc_lo, s7, v5, vcc_lo
	v_mov_b32_e32 v4, v3
	s_delay_alu instid0(VALU_DEP_3) | instskip(NEXT) | instid1(VALU_DEP_3)
	v_add_co_u32 v6, vcc_lo, v8, v6
	v_add_co_ci_u32_e32 v7, vcc_lo, v5, v7, vcc_lo
	v_mov_b32_e32 v5, v3
	global_store_b64 v[6:7], v[4:5], off
.LBB105_5:
	s_and_not1_saveexec_b32 s0, s0
	s_cbranch_execz .LBB105_17
; %bb.6:
	v_lshlrev_b64 v[3:4], 3, v[0:1]
	s_cmpk_lg_i32 s1, 0xb5
	s_mov_b32 s5, -1
	s_delay_alu instid0(VALU_DEP_1) | instskip(NEXT) | instid1(VALU_DEP_2)
	v_add_co_u32 v3, vcc_lo, s13, v3
	v_add_co_ci_u32_e32 v4, vcc_lo, s14, v4, vcc_lo
	global_load_b64 v[4:5], v[3:4], off
	s_cbranch_scc0 .LBB105_12
; %bb.7:
	v_mov_b32_e32 v3, 0
	s_and_not1_b32 vcc_lo, exec_lo, s2
	s_delay_alu instid0(VALU_DEP_1)
	v_lshlrev_b64 v[6:7], 3, v[2:3]
	s_cbranch_vccnz .LBB105_9
; %bb.8:
	s_sub_i32 s5, s16, s17
	s_delay_alu instid0(SALU_CYCLE_1) | instskip(SKIP_1) | instid1(VALU_DEP_1)
	v_add_nc_u32_e32 v11, s5, v0
	s_ashr_i32 s5, s11, 31
	v_mad_u64_u32 v[8:9], null, v11, s11, 0
	s_delay_alu instid0(VALU_DEP_1) | instskip(SKIP_1) | instid1(VALU_DEP_1)
	v_mov_b32_e32 v3, v9
	s_waitcnt vmcnt(0)
	v_mad_u64_u32 v[9:10], null, v11, s5, v[3:4]
	v_mad_u64_u32 v[10:11], null, v0, s12, 0
	s_ashr_i32 s5, s12, 31
	s_delay_alu instid0(VALU_DEP_2) | instskip(NEXT) | instid1(VALU_DEP_1)
	v_lshlrev_b64 v[8:9], 3, v[8:9]
	v_add_co_u32 v3, vcc_lo, s3, v8
	s_delay_alu instid0(VALU_DEP_2) | instskip(NEXT) | instid1(VALU_DEP_2)
	v_add_co_ci_u32_e32 v9, vcc_lo, s4, v9, vcc_lo
	v_add_co_u32 v8, vcc_lo, v3, v6
	s_delay_alu instid0(VALU_DEP_2) | instskip(SKIP_4) | instid1(VALU_DEP_1)
	v_add_co_ci_u32_e32 v9, vcc_lo, v9, v7, vcc_lo
	v_mov_b32_e32 v3, v11
	global_load_b64 v[8:9], v[8:9], off
	v_mad_u64_u32 v[11:12], null, v0, s5, v[3:4]
	s_mov_b32 s5, 0
	v_lshlrev_b64 v[10:11], 3, v[10:11]
	s_delay_alu instid0(VALU_DEP_1) | instskip(NEXT) | instid1(VALU_DEP_2)
	v_add_co_u32 v13, vcc_lo, s6, v10
	v_add_co_ci_u32_e32 v14, vcc_lo, s7, v11, vcc_lo
	s_delay_alu instid0(VALU_DEP_2) | instskip(SKIP_3) | instid1(VALU_DEP_2)
	v_add_co_u32 v11, vcc_lo, v13, v6
	s_waitcnt vmcnt(0)
	v_mul_f32_e32 v12, v4, v9
	v_mul_f32_e32 v3, v4, v8
	v_fma_f32 v10, v8, -v5, -v12
	s_delay_alu instid0(VALU_DEP_2)
	v_fma_f32 v9, v5, v9, -v3
	v_add_co_ci_u32_e32 v12, vcc_lo, v14, v7, vcc_lo
	global_store_b64 v[11:12], v[9:10], off
.LBB105_9:
	s_and_not1_b32 vcc_lo, exec_lo, s5
	s_cbranch_vccnz .LBB105_11
; %bb.10:
	v_mad_u64_u32 v[8:9], null, v0, s12, 0
	s_sub_i32 s5, s16, s17
	s_delay_alu instid0(SALU_CYCLE_1) | instskip(SKIP_1) | instid1(VALU_DEP_2)
	v_add_nc_u32_e32 v14, s5, v0
	s_ashr_i32 s5, s12, 31
	v_mov_b32_e32 v3, v9
	s_delay_alu instid0(VALU_DEP_2) | instskip(NEXT) | instid1(VALU_DEP_1)
	v_mad_u64_u32 v[10:11], null, v14, s11, 0
	v_mov_b32_e32 v9, v11
	s_waitcnt vmcnt(0)
	s_delay_alu instid0(VALU_DEP_3)
	v_mad_u64_u32 v[11:12], null, v0, s5, v[3:4]
	s_ashr_i32 s5, s11, 31
	s_delay_alu instid0(VALU_DEP_2) | instid1(SALU_CYCLE_1)
	v_mad_u64_u32 v[12:13], null, v14, s5, v[9:10]
	s_delay_alu instid0(VALU_DEP_2) | instskip(NEXT) | instid1(VALU_DEP_2)
	v_mov_b32_e32 v9, v11
	v_mov_b32_e32 v11, v12
	s_delay_alu instid0(VALU_DEP_2) | instskip(NEXT) | instid1(VALU_DEP_2)
	v_lshlrev_b64 v[8:9], 3, v[8:9]
	v_lshlrev_b64 v[10:11], 3, v[10:11]
	s_delay_alu instid0(VALU_DEP_2) | instskip(NEXT) | instid1(VALU_DEP_3)
	v_add_co_u32 v3, vcc_lo, s6, v8
	v_add_co_ci_u32_e32 v9, vcc_lo, s7, v9, vcc_lo
	s_delay_alu instid0(VALU_DEP_3) | instskip(NEXT) | instid1(VALU_DEP_4)
	v_add_co_u32 v10, vcc_lo, s3, v10
	v_add_co_ci_u32_e32 v11, vcc_lo, s4, v11, vcc_lo
	s_delay_alu instid0(VALU_DEP_4) | instskip(NEXT) | instid1(VALU_DEP_4)
	v_add_co_u32 v8, vcc_lo, v3, v6
	v_add_co_ci_u32_e32 v9, vcc_lo, v9, v7, vcc_lo
	s_delay_alu instid0(VALU_DEP_4) | instskip(NEXT) | instid1(VALU_DEP_4)
	v_add_co_u32 v6, vcc_lo, v10, v6
	v_add_co_ci_u32_e32 v7, vcc_lo, v11, v7, vcc_lo
	global_load_b64 v[10:11], v[8:9], off
	global_load_b64 v[6:7], v[6:7], off
	s_waitcnt vmcnt(0)
	v_dual_add_f32 v3, v6, v10 :: v_dual_add_f32 v6, v7, v11
	s_delay_alu instid0(VALU_DEP_1) | instskip(NEXT) | instid1(VALU_DEP_2)
	v_mul_f32_e32 v7, v4, v3
	v_mul_f32_e32 v10, v4, v6
	s_delay_alu instid0(VALU_DEP_2) | instskip(NEXT) | instid1(VALU_DEP_2)
	v_fma_f32 v6, v5, v6, -v7
	v_fma_f32 v7, v3, -v5, -v10
	global_store_b64 v[8:9], v[6:7], off
.LBB105_11:
	s_mov_b32 s5, 0
.LBB105_12:
	s_delay_alu instid0(SALU_CYCLE_1)
	s_and_not1_b32 vcc_lo, exec_lo, s5
	s_cbranch_vccnz .LBB105_17
; %bb.13:
	s_and_not1_b32 vcc_lo, exec_lo, s2
	s_mov_b32 s5, -1
	s_cbranch_vccnz .LBB105_15
; %bb.14:
	v_mad_u64_u32 v[6:7], null, v2, s11, 0
	s_ashr_i32 s5, s11, 31
	v_mov_b32_e32 v9, 0
	s_delay_alu instid0(VALU_DEP_2) | instskip(SKIP_1) | instid1(VALU_DEP_1)
	v_mov_b32_e32 v3, v7
	s_waitcnt vmcnt(0)
	v_mad_u64_u32 v[7:8], null, v2, s5, v[3:4]
	s_sub_i32 s5, s16, s17
	s_delay_alu instid0(SALU_CYCLE_1) | instskip(SKIP_1) | instid1(VALU_DEP_2)
	v_add_nc_u32_e32 v8, s5, v0
	s_ashr_i32 s5, s12, 31
	v_lshlrev_b64 v[6:7], 3, v[6:7]
	s_delay_alu instid0(VALU_DEP_2) | instskip(NEXT) | instid1(VALU_DEP_2)
	v_lshlrev_b64 v[10:11], 3, v[8:9]
	v_add_co_u32 v3, vcc_lo, s3, v6
	s_delay_alu instid0(VALU_DEP_3) | instskip(NEXT) | instid1(VALU_DEP_2)
	v_add_co_ci_u32_e32 v7, vcc_lo, s4, v7, vcc_lo
	v_add_co_u32 v6, vcc_lo, v3, v10
	s_delay_alu instid0(VALU_DEP_2) | instskip(SKIP_3) | instid1(VALU_DEP_1)
	v_add_co_ci_u32_e32 v7, vcc_lo, v7, v11, vcc_lo
	v_mad_u64_u32 v[10:11], null, v0, s12, 0
	global_load_b64 v[6:7], v[6:7], off
	v_mov_b32_e32 v3, v11
	v_mad_u64_u32 v[11:12], null, v0, s5, v[3:4]
	s_mov_b32 s5, 0
	s_waitcnt vmcnt(0)
	v_mul_f32_e32 v12, v5, v6
	v_mov_b32_e32 v3, v9
	s_delay_alu instid0(VALU_DEP_3) | instskip(NEXT) | instid1(VALU_DEP_2)
	v_lshlrev_b64 v[8:9], 3, v[10:11]
	v_lshlrev_b64 v[10:11], 3, v[2:3]
	v_mul_f32_e32 v3, v5, v7
	s_delay_alu instid0(VALU_DEP_3) | instskip(NEXT) | instid1(VALU_DEP_4)
	v_add_co_u32 v8, vcc_lo, s6, v8
	v_add_co_ci_u32_e32 v9, vcc_lo, s7, v9, vcc_lo
	s_delay_alu instid0(VALU_DEP_3) | instskip(NEXT) | instid1(VALU_DEP_3)
	v_fma_f32 v6, v6, -v4, -v3
	v_add_co_u32 v8, vcc_lo, v8, v10
	v_fma_f32 v7, v4, v7, -v12
	s_delay_alu instid0(VALU_DEP_4)
	v_add_co_ci_u32_e32 v9, vcc_lo, v9, v11, vcc_lo
	global_store_b64 v[8:9], v[6:7], off
.LBB105_15:
	s_and_not1_b32 vcc_lo, exec_lo, s5
	s_cbranch_vccnz .LBB105_17
; %bb.16:
	v_mad_u64_u32 v[6:7], null, v2, s11, 0
	v_mad_u64_u32 v[8:9], null, v0, s12, 0
	s_ashr_i32 s5, s11, 31
	s_delay_alu instid0(VALU_DEP_2) | instskip(NEXT) | instid1(VALU_DEP_2)
	v_mov_b32_e32 v3, v7
	v_mov_b32_e32 v7, v9
	s_waitcnt vmcnt(0)
	s_delay_alu instid0(VALU_DEP_2) | instskip(SKIP_2) | instid1(VALU_DEP_1)
	v_mad_u64_u32 v[9:10], null, v2, s5, v[3:4]
	v_mov_b32_e32 v3, 0
	s_ashr_i32 s5, s12, 31
	v_mov_b32_e32 v12, v3
	v_mad_u64_u32 v[10:11], null, v0, s5, v[7:8]
	s_delay_alu instid0(VALU_DEP_4) | instskip(SKIP_3) | instid1(VALU_DEP_3)
	v_mov_b32_e32 v7, v9
	s_sub_i32 s5, s16, s17
	v_lshlrev_b64 v[13:14], 3, v[2:3]
	v_add_nc_u32_e32 v11, s5, v0
	v_lshlrev_b64 v[6:7], 3, v[6:7]
	v_mov_b32_e32 v9, v10
	s_delay_alu instid0(VALU_DEP_3) | instskip(NEXT) | instid1(VALU_DEP_2)
	v_lshlrev_b64 v[10:11], 3, v[11:12]
	v_lshlrev_b64 v[8:9], 3, v[8:9]
	s_delay_alu instid0(VALU_DEP_4) | instskip(SKIP_1) | instid1(VALU_DEP_3)
	v_add_co_u32 v3, vcc_lo, s3, v6
	v_add_co_ci_u32_e32 v7, vcc_lo, s4, v7, vcc_lo
	v_add_co_u32 v8, vcc_lo, s6, v8
	s_delay_alu instid0(VALU_DEP_4) | instskip(NEXT) | instid1(VALU_DEP_4)
	v_add_co_ci_u32_e32 v9, vcc_lo, s7, v9, vcc_lo
	v_add_co_u32 v6, vcc_lo, v3, v10
	s_delay_alu instid0(VALU_DEP_4) | instskip(NEXT) | instid1(VALU_DEP_4)
	v_add_co_ci_u32_e32 v7, vcc_lo, v7, v11, vcc_lo
	v_add_co_u32 v8, vcc_lo, v8, v13
	s_delay_alu instid0(VALU_DEP_4) | instskip(SKIP_4) | instid1(VALU_DEP_1)
	v_add_co_ci_u32_e32 v9, vcc_lo, v9, v14, vcc_lo
	global_load_b64 v[6:7], v[6:7], off
	global_load_b64 v[10:11], v[8:9], off
	s_waitcnt vmcnt(0)
	v_dual_add_f32 v6, v6, v10 :: v_dual_sub_f32 v3, v11, v7
	v_mul_f32_e32 v7, v4, v6
	s_delay_alu instid0(VALU_DEP_2) | instskip(NEXT) | instid1(VALU_DEP_2)
	v_mul_f32_e32 v4, v4, v3
	v_fma_f32 v3, v5, v3, -v7
	s_delay_alu instid0(VALU_DEP_2)
	v_fma_f32 v4, v6, -v5, -v4
	global_store_b64 v[8:9], v[3:4], off
.LBB105_17:
	s_or_b32 exec_lo, exec_lo, s0
	s_mov_b32 s0, 0
.LBB105_18:
	s_delay_alu instid0(SALU_CYCLE_1)
	s_and_not1_b32 vcc_lo, exec_lo, s0
	s_cbranch_vccnz .LBB105_34
; %bb.19:
	s_mov_b32 s0, exec_lo
	v_cmpx_ge_u32_e64 v2, v0
	s_xor_b32 s0, exec_lo, s0
	s_cbranch_execz .LBB105_21
; %bb.20:
	s_waitcnt vmcnt(0)
	v_mad_u64_u32 v[4:5], null, v0, s12, 0
	v_mov_b32_e32 v3, 0
	s_ashr_i32 s5, s12, 31
	s_delay_alu instid0(VALU_DEP_2) | instskip(NEXT) | instid1(VALU_DEP_1)
	v_mov_b32_e32 v1, v5
	v_mad_u64_u32 v[5:6], null, v0, s5, v[1:2]
	s_delay_alu instid0(VALU_DEP_1) | instskip(SKIP_2) | instid1(VALU_DEP_3)
	v_lshlrev_b64 v[0:1], 3, v[4:5]
	v_lshlrev_b64 v[4:5], 3, v[2:3]
	v_mov_b32_e32 v2, v3
	v_add_co_u32 v0, vcc_lo, s6, v0
	s_delay_alu instid0(VALU_DEP_4) | instskip(NEXT) | instid1(VALU_DEP_2)
	v_add_co_ci_u32_e32 v1, vcc_lo, s7, v1, vcc_lo
	v_add_co_u32 v0, vcc_lo, v0, v4
	s_delay_alu instid0(VALU_DEP_2)
	v_add_co_ci_u32_e32 v1, vcc_lo, v1, v5, vcc_lo
	global_store_b64 v[0:1], v[2:3], off
                                        ; implicit-def: $vgpr0_vgpr1
                                        ; implicit-def: $vgpr2_vgpr3
.LBB105_21:
	s_and_not1_saveexec_b32 s0, s0
	s_cbranch_execz .LBB105_33
; %bb.22:
	v_lshlrev_b64 v[6:7], 3, v[0:1]
	v_cndmask_b32_e64 v1, 0, 1, s2
	s_cmpk_lg_i32 s1, 0xb5
	s_mov_b32 s1, -1
	s_delay_alu instid0(VALU_DEP_2)
	v_add_co_u32 v3, vcc_lo, s13, v6
	s_waitcnt vmcnt(0)
	v_add_co_ci_u32_e32 v4, vcc_lo, s14, v7, vcc_lo
	v_cmp_ne_u32_e32 vcc_lo, 1, v1
	global_load_b64 v[4:5], v[3:4], off
	s_cbranch_scc0 .LBB105_28
; %bb.23:
	v_mov_b32_e32 v3, 0
	s_and_b32 vcc_lo, exec_lo, vcc_lo
	s_delay_alu instid0(VALU_DEP_1)
	v_lshlrev_b64 v[8:9], 3, v[2:3]
	s_cbranch_vccnz .LBB105_25
; %bb.24:
	v_mad_u64_u32 v[10:11], null, v0, s11, 0
	s_ashr_i32 s1, s11, 31
	s_delay_alu instid0(VALU_DEP_1) | instskip(NEXT) | instid1(VALU_DEP_1)
	v_mov_b32_e32 v1, v11
	v_mad_u64_u32 v[11:12], null, v0, s1, v[1:2]
	v_mad_u64_u32 v[12:13], null, v0, s12, 0
	s_ashr_i32 s1, s12, 31
	s_delay_alu instid0(VALU_DEP_2) | instskip(NEXT) | instid1(VALU_DEP_1)
	v_lshlrev_b64 v[10:11], 3, v[10:11]
	v_add_co_u32 v1, vcc_lo, s3, v10
	s_delay_alu instid0(VALU_DEP_2) | instskip(NEXT) | instid1(VALU_DEP_2)
	v_add_co_ci_u32_e32 v3, vcc_lo, s4, v11, vcc_lo
	v_add_co_u32 v10, vcc_lo, v1, v8
	s_delay_alu instid0(VALU_DEP_2) | instskip(SKIP_4) | instid1(VALU_DEP_1)
	v_add_co_ci_u32_e32 v11, vcc_lo, v3, v9, vcc_lo
	v_mov_b32_e32 v1, v13
	global_load_b64 v[10:11], v[10:11], off
	v_mad_u64_u32 v[13:14], null, v0, s1, v[1:2]
	s_mov_b32 s1, 0
	v_lshlrev_b64 v[12:13], 3, v[12:13]
	s_delay_alu instid0(VALU_DEP_1) | instskip(NEXT) | instid1(VALU_DEP_2)
	v_add_co_u32 v14, vcc_lo, s6, v12
	v_add_co_ci_u32_e32 v15, vcc_lo, s7, v13, vcc_lo
	s_delay_alu instid0(VALU_DEP_2) | instskip(NEXT) | instid1(VALU_DEP_2)
	v_add_co_u32 v13, vcc_lo, v14, v8
	v_add_co_ci_u32_e32 v14, vcc_lo, v15, v9, vcc_lo
	s_waitcnt vmcnt(0)
	v_mul_f32_e32 v1, v4, v10
	v_mul_f32_e32 v3, v4, v11
	s_delay_alu instid0(VALU_DEP_2) | instskip(NEXT) | instid1(VALU_DEP_2)
	v_fma_f32 v11, v5, v11, -v1
	v_fma_f32 v12, v10, -v5, -v3
	global_store_b64 v[13:14], v[11:12], off
.LBB105_25:
	s_and_not1_b32 vcc_lo, exec_lo, s1
	s_cbranch_vccnz .LBB105_27
; %bb.26:
	v_mad_u64_u32 v[10:11], null, v0, s12, 0
	v_mad_u64_u32 v[12:13], null, v0, s11, 0
	s_ashr_i32 s1, s12, 31
	s_delay_alu instid0(VALU_DEP_2) | instskip(NEXT) | instid1(VALU_DEP_2)
	v_mov_b32_e32 v1, v11
	v_mov_b32_e32 v3, v13
	s_delay_alu instid0(VALU_DEP_2) | instskip(SKIP_2) | instid1(VALU_DEP_2)
	v_mad_u64_u32 v[13:14], null, v0, s1, v[1:2]
	s_ashr_i32 s1, s11, 31
	s_waitcnt vmcnt(0)
	v_mad_u64_u32 v[14:15], null, v0, s1, v[3:4]
	s_delay_alu instid0(VALU_DEP_2) | instskip(NEXT) | instid1(VALU_DEP_2)
	v_mov_b32_e32 v11, v13
	v_mov_b32_e32 v13, v14
	s_delay_alu instid0(VALU_DEP_2) | instskip(NEXT) | instid1(VALU_DEP_2)
	v_lshlrev_b64 v[10:11], 3, v[10:11]
	v_lshlrev_b64 v[12:13], 3, v[12:13]
	s_delay_alu instid0(VALU_DEP_2) | instskip(NEXT) | instid1(VALU_DEP_3)
	v_add_co_u32 v1, vcc_lo, s6, v10
	v_add_co_ci_u32_e32 v3, vcc_lo, s7, v11, vcc_lo
	s_delay_alu instid0(VALU_DEP_3) | instskip(NEXT) | instid1(VALU_DEP_4)
	v_add_co_u32 v12, vcc_lo, s3, v12
	v_add_co_ci_u32_e32 v13, vcc_lo, s4, v13, vcc_lo
	s_delay_alu instid0(VALU_DEP_4) | instskip(NEXT) | instid1(VALU_DEP_4)
	v_add_co_u32 v10, vcc_lo, v1, v8
	v_add_co_ci_u32_e32 v11, vcc_lo, v3, v9, vcc_lo
	s_delay_alu instid0(VALU_DEP_4) | instskip(NEXT) | instid1(VALU_DEP_4)
	v_add_co_u32 v8, vcc_lo, v12, v8
	v_add_co_ci_u32_e32 v9, vcc_lo, v13, v9, vcc_lo
	global_load_b64 v[12:13], v[10:11], off
	global_load_b64 v[8:9], v[8:9], off
	s_waitcnt vmcnt(0)
	v_add_f32_e32 v1, v8, v12
	v_add_f32_e32 v3, v9, v13
	s_delay_alu instid0(VALU_DEP_2) | instskip(NEXT) | instid1(VALU_DEP_2)
	v_mul_f32_e32 v8, v4, v1
	v_mul_f32_e32 v9, v4, v3
	s_delay_alu instid0(VALU_DEP_2) | instskip(NEXT) | instid1(VALU_DEP_2)
	v_fma_f32 v8, v5, v3, -v8
	v_fma_f32 v9, v1, -v5, -v9
	global_store_b64 v[10:11], v[8:9], off
.LBB105_27:
	s_mov_b32 s1, 0
.LBB105_28:
	s_delay_alu instid0(SALU_CYCLE_1)
	s_and_not1_b32 vcc_lo, exec_lo, s1
	s_cbranch_vccnz .LBB105_33
; %bb.29:
	v_mov_b32_e32 v3, 0
	s_and_not1_b32 vcc_lo, exec_lo, s2
	s_mov_b32 s1, -1
	s_delay_alu instid0(VALU_DEP_1)
	v_lshlrev_b64 v[8:9], 3, v[2:3]
	s_cbranch_vccnz .LBB105_31
; %bb.30:
	v_mad_u64_u32 v[10:11], null, v2, s11, 0
	s_ashr_i32 s1, s11, 31
	s_delay_alu instid0(VALU_DEP_1) | instskip(NEXT) | instid1(VALU_DEP_1)
	v_mov_b32_e32 v1, v11
	v_mad_u64_u32 v[11:12], null, v2, s1, v[1:2]
	v_mad_u64_u32 v[12:13], null, v0, s12, 0
	s_ashr_i32 s1, s12, 31
	s_delay_alu instid0(VALU_DEP_2) | instskip(NEXT) | instid1(VALU_DEP_1)
	v_lshlrev_b64 v[10:11], 3, v[10:11]
	v_add_co_u32 v1, vcc_lo, s3, v10
	s_delay_alu instid0(VALU_DEP_2) | instskip(NEXT) | instid1(VALU_DEP_2)
	v_add_co_ci_u32_e32 v3, vcc_lo, s4, v11, vcc_lo
	v_add_co_u32 v10, vcc_lo, v1, v6
	s_delay_alu instid0(VALU_DEP_2) | instskip(SKIP_4) | instid1(VALU_DEP_1)
	v_add_co_ci_u32_e32 v11, vcc_lo, v3, v7, vcc_lo
	v_mov_b32_e32 v1, v13
	global_load_b64 v[10:11], v[10:11], off
	v_mad_u64_u32 v[13:14], null, v0, s1, v[1:2]
	s_mov_b32 s1, 0
	v_lshlrev_b64 v[12:13], 3, v[12:13]
	s_delay_alu instid0(VALU_DEP_1) | instskip(NEXT) | instid1(VALU_DEP_2)
	v_add_co_u32 v12, vcc_lo, s6, v12
	v_add_co_ci_u32_e32 v13, vcc_lo, s7, v13, vcc_lo
	s_delay_alu instid0(VALU_DEP_2) | instskip(NEXT) | instid1(VALU_DEP_2)
	v_add_co_u32 v12, vcc_lo, v12, v8
	v_add_co_ci_u32_e32 v13, vcc_lo, v13, v9, vcc_lo
	s_waitcnt vmcnt(0)
	v_mul_f32_e32 v1, v5, v11
	v_mul_f32_e32 v3, v5, v10
	s_delay_alu instid0(VALU_DEP_2) | instskip(NEXT) | instid1(VALU_DEP_2)
	v_fma_f32 v10, v10, -v4, -v1
	v_fma_f32 v11, v4, v11, -v3
	global_store_b64 v[12:13], v[10:11], off
.LBB105_31:
	s_and_not1_b32 vcc_lo, exec_lo, s1
	s_cbranch_vccnz .LBB105_33
; %bb.32:
	v_mad_u64_u32 v[10:11], null, v2, s11, 0
	v_mad_u64_u32 v[12:13], null, v0, s12, 0
	s_ashr_i32 s1, s11, 31
	s_delay_alu instid0(VALU_DEP_2) | instskip(NEXT) | instid1(VALU_DEP_2)
	v_mov_b32_e32 v1, v11
	v_mov_b32_e32 v3, v13
	s_delay_alu instid0(VALU_DEP_2) | instskip(SKIP_2) | instid1(VALU_DEP_2)
	v_mad_u64_u32 v[13:14], null, v2, s1, v[1:2]
	s_ashr_i32 s1, s12, 31
	s_waitcnt vmcnt(0)
	v_mad_u64_u32 v[1:2], null, v0, s1, v[3:4]
	s_delay_alu instid0(VALU_DEP_2) | instskip(NEXT) | instid1(VALU_DEP_2)
	v_mov_b32_e32 v11, v13
	v_mov_b32_e32 v13, v1
	s_delay_alu instid0(VALU_DEP_2) | instskip(NEXT) | instid1(VALU_DEP_2)
	v_lshlrev_b64 v[0:1], 3, v[10:11]
	v_lshlrev_b64 v[2:3], 3, v[12:13]
	s_delay_alu instid0(VALU_DEP_2) | instskip(NEXT) | instid1(VALU_DEP_3)
	v_add_co_u32 v0, vcc_lo, s3, v0
	v_add_co_ci_u32_e32 v1, vcc_lo, s4, v1, vcc_lo
	s_delay_alu instid0(VALU_DEP_3) | instskip(NEXT) | instid1(VALU_DEP_4)
	v_add_co_u32 v2, vcc_lo, s6, v2
	v_add_co_ci_u32_e32 v3, vcc_lo, s7, v3, vcc_lo
	s_delay_alu instid0(VALU_DEP_4) | instskip(NEXT) | instid1(VALU_DEP_4)
	v_add_co_u32 v0, vcc_lo, v0, v6
	v_add_co_ci_u32_e32 v1, vcc_lo, v1, v7, vcc_lo
	s_delay_alu instid0(VALU_DEP_4) | instskip(NEXT) | instid1(VALU_DEP_4)
	v_add_co_u32 v2, vcc_lo, v2, v8
	v_add_co_ci_u32_e32 v3, vcc_lo, v3, v9, vcc_lo
	global_load_b64 v[0:1], v[0:1], off
	global_load_b64 v[6:7], v[2:3], off
	s_waitcnt vmcnt(0)
	v_add_f32_e32 v6, v0, v6
	s_delay_alu instid0(VALU_DEP_1) | instskip(NEXT) | instid1(VALU_DEP_1)
	v_dual_sub_f32 v0, v7, v1 :: v_dual_mul_f32 v1, v4, v6
	v_mul_f32_e32 v4, v4, v0
	s_delay_alu instid0(VALU_DEP_2) | instskip(NEXT) | instid1(VALU_DEP_2)
	v_fma_f32 v0, v5, v0, -v1
	v_fma_f32 v1, v6, -v5, -v4
	global_store_b64 v[2:3], v[0:1], off
.LBB105_33:
	s_or_b32 exec_lo, exec_lo, s0
                                        ; implicit-def: $vgpr0_vgpr1
.LBB105_34:
	s_and_not1_saveexec_b32 s0, s18
	s_cbranch_execz .LBB105_36
; %bb.35:
	s_waitcnt vmcnt(0)
	v_mad_u64_u32 v[5:6], null, v0, s12, 0
	s_ashr_i32 s0, s12, 31
	s_delay_alu instid0(VALU_DEP_1) | instid1(SALU_CYCLE_1)
	v_mad_u64_u32 v[7:8], null, v0, s0, v[6:7]
	s_delay_alu instid0(VALU_DEP_1) | instskip(NEXT) | instid1(VALU_DEP_1)
	v_dual_mov_b32 v1, 0 :: v_dual_mov_b32 v6, v7
	v_lshlrev_b64 v[1:2], 3, v[0:1]
	s_delay_alu instid0(VALU_DEP_2) | instskip(NEXT) | instid1(VALU_DEP_2)
	v_lshlrev_b64 v[5:6], 3, v[5:6]
	v_add_co_u32 v3, vcc_lo, s13, v1
	s_delay_alu instid0(VALU_DEP_3) | instskip(NEXT) | instid1(VALU_DEP_3)
	v_add_co_ci_u32_e32 v4, vcc_lo, s14, v2, vcc_lo
	v_add_co_u32 v0, vcc_lo, s6, v5
	s_delay_alu instid0(VALU_DEP_4)
	v_add_co_ci_u32_e32 v5, vcc_lo, s7, v6, vcc_lo
	global_load_b64 v[3:4], v[3:4], off
	v_add_co_u32 v0, vcc_lo, v0, v1
	v_add_co_ci_u32_e32 v1, vcc_lo, v5, v2, vcc_lo
	s_waitcnt vmcnt(0)
	global_store_b64 v[0:1], v[3:4], off
.LBB105_36:
	s_nop 0
	s_sendmsg sendmsg(MSG_DEALLOC_VGPRS)
	s_endpgm
	.section	.rodata,"a",@progbits
	.p2align	6, 0x0
	.amdhsa_kernel _ZN9rocsolver6v33100L14set_triangularI19rocblas_complex_numIfEPS3_TnNSt9enable_ifIX18rocblas_is_complexIT_EEiE4typeELi0EEEviiT0_iilPS6_lSA_il15rocblas_direct_15rocblas_storev_b
		.amdhsa_group_segment_fixed_size 0
		.amdhsa_private_segment_fixed_size 0
		.amdhsa_kernarg_size 344
		.amdhsa_user_sgpr_count 13
		.amdhsa_user_sgpr_dispatch_ptr 0
		.amdhsa_user_sgpr_queue_ptr 0
		.amdhsa_user_sgpr_kernarg_segment_ptr 1
		.amdhsa_user_sgpr_dispatch_id 0
		.amdhsa_user_sgpr_private_segment_size 0
		.amdhsa_wavefront_size32 1
		.amdhsa_uses_dynamic_stack 0
		.amdhsa_enable_private_segment 0
		.amdhsa_system_sgpr_workgroup_id_x 1
		.amdhsa_system_sgpr_workgroup_id_y 1
		.amdhsa_system_sgpr_workgroup_id_z 1
		.amdhsa_system_sgpr_workgroup_info 0
		.amdhsa_system_vgpr_workitem_id 1
		.amdhsa_next_free_vgpr 16
		.amdhsa_next_free_sgpr 22
		.amdhsa_reserve_vcc 1
		.amdhsa_float_round_mode_32 0
		.amdhsa_float_round_mode_16_64 0
		.amdhsa_float_denorm_mode_32 3
		.amdhsa_float_denorm_mode_16_64 3
		.amdhsa_dx10_clamp 1
		.amdhsa_ieee_mode 1
		.amdhsa_fp16_overflow 0
		.amdhsa_workgroup_processor_mode 1
		.amdhsa_memory_ordered 1
		.amdhsa_forward_progress 0
		.amdhsa_shared_vgpr_count 0
		.amdhsa_exception_fp_ieee_invalid_op 0
		.amdhsa_exception_fp_denorm_src 0
		.amdhsa_exception_fp_ieee_div_zero 0
		.amdhsa_exception_fp_ieee_overflow 0
		.amdhsa_exception_fp_ieee_underflow 0
		.amdhsa_exception_fp_ieee_inexact 0
		.amdhsa_exception_int_div_zero 0
	.end_amdhsa_kernel
	.section	.text._ZN9rocsolver6v33100L14set_triangularI19rocblas_complex_numIfEPS3_TnNSt9enable_ifIX18rocblas_is_complexIT_EEiE4typeELi0EEEviiT0_iilPS6_lSA_il15rocblas_direct_15rocblas_storev_b,"axG",@progbits,_ZN9rocsolver6v33100L14set_triangularI19rocblas_complex_numIfEPS3_TnNSt9enable_ifIX18rocblas_is_complexIT_EEiE4typeELi0EEEviiT0_iilPS6_lSA_il15rocblas_direct_15rocblas_storev_b,comdat
.Lfunc_end105:
	.size	_ZN9rocsolver6v33100L14set_triangularI19rocblas_complex_numIfEPS3_TnNSt9enable_ifIX18rocblas_is_complexIT_EEiE4typeELi0EEEviiT0_iilPS6_lSA_il15rocblas_direct_15rocblas_storev_b, .Lfunc_end105-_ZN9rocsolver6v33100L14set_triangularI19rocblas_complex_numIfEPS3_TnNSt9enable_ifIX18rocblas_is_complexIT_EEiE4typeELi0EEEviiT0_iilPS6_lSA_il15rocblas_direct_15rocblas_storev_b
                                        ; -- End function
	.section	.AMDGPU.csdata,"",@progbits
; Kernel info:
; codeLenInByte = 2748
; NumSgprs: 24
; NumVgprs: 16
; ScratchSize: 0
; MemoryBound: 0
; FloatMode: 240
; IeeeMode: 1
; LDSByteSize: 0 bytes/workgroup (compile time only)
; SGPRBlocks: 2
; VGPRBlocks: 1
; NumSGPRsForWavesPerEU: 24
; NumVGPRsForWavesPerEU: 16
; Occupancy: 16
; WaveLimiterHint : 0
; COMPUTE_PGM_RSRC2:SCRATCH_EN: 0
; COMPUTE_PGM_RSRC2:USER_SGPR: 13
; COMPUTE_PGM_RSRC2:TRAP_HANDLER: 0
; COMPUTE_PGM_RSRC2:TGID_X_EN: 1
; COMPUTE_PGM_RSRC2:TGID_Y_EN: 1
; COMPUTE_PGM_RSRC2:TGID_Z_EN: 1
; COMPUTE_PGM_RSRC2:TIDIG_COMP_CNT: 1
	.section	.text._ZN9rocsolver6v33100L7set_tauI19rocblas_complex_numIfEEEviPT_l,"axG",@progbits,_ZN9rocsolver6v33100L7set_tauI19rocblas_complex_numIfEEEviPT_l,comdat
	.globl	_ZN9rocsolver6v33100L7set_tauI19rocblas_complex_numIfEEEviPT_l ; -- Begin function _ZN9rocsolver6v33100L7set_tauI19rocblas_complex_numIfEEEviPT_l
	.p2align	8
	.type	_ZN9rocsolver6v33100L7set_tauI19rocblas_complex_numIfEEEviPT_l,@function
_ZN9rocsolver6v33100L7set_tauI19rocblas_complex_numIfEEEviPT_l: ; @_ZN9rocsolver6v33100L7set_tauI19rocblas_complex_numIfEEEviPT_l
; %bb.0:
	s_clause 0x1
	s_load_b32 s2, s[0:1], 0x24
	s_load_b32 s3, s[0:1], 0x0
	s_waitcnt lgkmcnt(0)
	s_and_b32 s2, s2, 0xffff
	s_delay_alu instid0(SALU_CYCLE_1) | instskip(SKIP_1) | instid1(VALU_DEP_1)
	v_mad_u64_u32 v[1:2], null, s14, s2, v[0:1]
	s_mov_b32 s2, exec_lo
	v_cmpx_gt_u32_e64 s3, v1
	s_cbranch_execz .LBB106_2
; %bb.1:
	s_load_b128 s[0:3], s[0:1], 0x8
	v_mov_b32_e32 v2, 0
	s_delay_alu instid0(VALU_DEP_1)
	v_lshlrev_b64 v[0:1], 3, v[1:2]
	s_waitcnt lgkmcnt(0)
	s_mul_i32 s3, s15, s3
	s_mul_hi_u32 s4, s15, s2
	s_mul_i32 s2, s15, s2
	s_add_i32 s3, s4, s3
	s_delay_alu instid0(SALU_CYCLE_1) | instskip(NEXT) | instid1(SALU_CYCLE_1)
	s_lshl_b64 s[2:3], s[2:3], 3
	s_add_u32 s0, s0, s2
	s_addc_u32 s1, s1, s3
	v_add_co_u32 v0, vcc_lo, s0, v0
	v_add_co_ci_u32_e32 v1, vcc_lo, s1, v1, vcc_lo
	global_load_b64 v[2:3], v[0:1], off
	s_waitcnt vmcnt(0)
	v_xor_b32_e32 v2, 0x80000000, v2
	v_xor_b32_e32 v3, 0x80000000, v3
	global_store_b64 v[0:1], v[2:3], off
.LBB106_2:
	s_nop 0
	s_sendmsg sendmsg(MSG_DEALLOC_VGPRS)
	s_endpgm
	.section	.rodata,"a",@progbits
	.p2align	6, 0x0
	.amdhsa_kernel _ZN9rocsolver6v33100L7set_tauI19rocblas_complex_numIfEEEviPT_l
		.amdhsa_group_segment_fixed_size 0
		.amdhsa_private_segment_fixed_size 0
		.amdhsa_kernarg_size 280
		.amdhsa_user_sgpr_count 14
		.amdhsa_user_sgpr_dispatch_ptr 0
		.amdhsa_user_sgpr_queue_ptr 0
		.amdhsa_user_sgpr_kernarg_segment_ptr 1
		.amdhsa_user_sgpr_dispatch_id 0
		.amdhsa_user_sgpr_private_segment_size 0
		.amdhsa_wavefront_size32 1
		.amdhsa_uses_dynamic_stack 0
		.amdhsa_enable_private_segment 0
		.amdhsa_system_sgpr_workgroup_id_x 1
		.amdhsa_system_sgpr_workgroup_id_y 1
		.amdhsa_system_sgpr_workgroup_id_z 0
		.amdhsa_system_sgpr_workgroup_info 0
		.amdhsa_system_vgpr_workitem_id 0
		.amdhsa_next_free_vgpr 4
		.amdhsa_next_free_sgpr 16
		.amdhsa_reserve_vcc 1
		.amdhsa_float_round_mode_32 0
		.amdhsa_float_round_mode_16_64 0
		.amdhsa_float_denorm_mode_32 3
		.amdhsa_float_denorm_mode_16_64 3
		.amdhsa_dx10_clamp 1
		.amdhsa_ieee_mode 1
		.amdhsa_fp16_overflow 0
		.amdhsa_workgroup_processor_mode 1
		.amdhsa_memory_ordered 1
		.amdhsa_forward_progress 0
		.amdhsa_shared_vgpr_count 0
		.amdhsa_exception_fp_ieee_invalid_op 0
		.amdhsa_exception_fp_denorm_src 0
		.amdhsa_exception_fp_ieee_div_zero 0
		.amdhsa_exception_fp_ieee_overflow 0
		.amdhsa_exception_fp_ieee_underflow 0
		.amdhsa_exception_fp_ieee_inexact 0
		.amdhsa_exception_int_div_zero 0
	.end_amdhsa_kernel
	.section	.text._ZN9rocsolver6v33100L7set_tauI19rocblas_complex_numIfEEEviPT_l,"axG",@progbits,_ZN9rocsolver6v33100L7set_tauI19rocblas_complex_numIfEEEviPT_l,comdat
.Lfunc_end106:
	.size	_ZN9rocsolver6v33100L7set_tauI19rocblas_complex_numIfEEEviPT_l, .Lfunc_end106-_ZN9rocsolver6v33100L7set_tauI19rocblas_complex_numIfEEEviPT_l
                                        ; -- End function
	.section	.AMDGPU.csdata,"",@progbits
; Kernel info:
; codeLenInByte = 180
; NumSgprs: 18
; NumVgprs: 4
; ScratchSize: 0
; MemoryBound: 0
; FloatMode: 240
; IeeeMode: 1
; LDSByteSize: 0 bytes/workgroup (compile time only)
; SGPRBlocks: 2
; VGPRBlocks: 0
; NumSGPRsForWavesPerEU: 18
; NumVGPRsForWavesPerEU: 4
; Occupancy: 16
; WaveLimiterHint : 0
; COMPUTE_PGM_RSRC2:SCRATCH_EN: 0
; COMPUTE_PGM_RSRC2:USER_SGPR: 14
; COMPUTE_PGM_RSRC2:TRAP_HANDLER: 0
; COMPUTE_PGM_RSRC2:TGID_X_EN: 1
; COMPUTE_PGM_RSRC2:TGID_Y_EN: 1
; COMPUTE_PGM_RSRC2:TGID_Z_EN: 0
; COMPUTE_PGM_RSRC2:TIDIG_COMP_CNT: 0
	.section	.text._ZN9rocsolver6v33100L20larft_kernel_forwardI19rocblas_complex_numIfEPS3_EEv15rocblas_storev_iiT0_iilPT_lS8_il,"axG",@progbits,_ZN9rocsolver6v33100L20larft_kernel_forwardI19rocblas_complex_numIfEPS3_EEv15rocblas_storev_iiT0_iilPT_lS8_il,comdat
	.globl	_ZN9rocsolver6v33100L20larft_kernel_forwardI19rocblas_complex_numIfEPS3_EEv15rocblas_storev_iiT0_iilPT_lS8_il ; -- Begin function _ZN9rocsolver6v33100L20larft_kernel_forwardI19rocblas_complex_numIfEPS3_EEv15rocblas_storev_iiT0_iilPT_lS8_il
	.p2align	8
	.type	_ZN9rocsolver6v33100L20larft_kernel_forwardI19rocblas_complex_numIfEPS3_EEv15rocblas_storev_iiT0_iilPT_lS8_il,@function
_ZN9rocsolver6v33100L20larft_kernel_forwardI19rocblas_complex_numIfEPS3_EEv15rocblas_storev_iiT0_iilPT_lS8_il: ; @_ZN9rocsolver6v33100L20larft_kernel_forwardI19rocblas_complex_numIfEPS3_EEv15rocblas_storev_iiT0_iilPT_lS8_il
; %bb.0:
	s_clause 0x4
	s_load_b64 s[20:21], s[0:1], 0x48
	s_load_b128 s[16:19], s[0:1], 0x0
	s_load_b32 s13, s[0:1], 0x5c
	s_load_b256 s[4:11], s[0:1], 0x20
	s_load_b32 s3, s[0:1], 0x40
	s_ashr_i32 s12, s15, 31
	v_lshlrev_b32_e32 v6, 3, v0
	s_waitcnt lgkmcnt(0)
	s_mul_i32 s2, s15, s21
	s_mul_hi_u32 s14, s15, s20
	s_mul_i32 s19, s12, s20
	s_add_i32 s2, s14, s2
	s_mul_i32 s20, s15, s20
	s_add_i32 s21, s2, s19
	v_cmp_gt_i32_e64 s2, s18, v0
	s_lshl_b64 s[20:21], s[20:21], 3
	s_and_b32 s19, s13, 0xffff
	s_add_u32 s26, s10, s20
	s_addc_u32 s27, s11, s21
	s_and_saveexec_b32 s10, s2
	s_cbranch_execz .LBB107_5
; %bb.1:
	v_add_nc_u32_e32 v1, 8, v6
	s_lshl_b32 s13, s18, 3
	v_mov_b32_e32 v5, v0
	s_add_i32 s14, s13, 8
	s_add_i32 s20, s3, 1
	v_mul_lo_u32 v3, s18, v1
	v_mad_u64_u32 v[1:2], null, v0, s3, v[0:1]
	s_mov_b32 s11, 0
	s_mul_i32 s14, s14, s19
	s_mul_i32 s20, s20, s19
	s_delay_alu instid0(VALU_DEP_2)
	v_add3_u32 v4, v3, v6, 0
	.p2align	6
.LBB107_2:                              ; =>This Loop Header: Depth=1
                                        ;     Child Loop BB107_3 Depth 2
	s_delay_alu instid0(VALU_DEP_1)
	v_dual_mov_b32 v2, v1 :: v_dual_mov_b32 v7, v4
	v_mov_b32_e32 v8, v5
	s_mov_b32 s21, 0
	.p2align	6
.LBB107_3:                              ;   Parent Loop BB107_2 Depth=1
                                        ; =>  This Inner Loop Header: Depth=2
	s_delay_alu instid0(VALU_DEP_2) | instskip(NEXT) | instid1(VALU_DEP_2)
	v_ashrrev_i32_e32 v3, 31, v2
	v_add_nc_u32_e32 v8, 1, v8
	s_delay_alu instid0(VALU_DEP_2) | instskip(SKIP_1) | instid1(VALU_DEP_2)
	v_lshlrev_b64 v[9:10], 3, v[2:3]
	v_add_nc_u32_e32 v2, s3, v2
	v_add_co_u32 v9, vcc_lo, s26, v9
	s_delay_alu instid0(VALU_DEP_3)
	v_add_co_ci_u32_e32 v10, vcc_lo, s27, v10, vcc_lo
	v_cmp_le_i32_e32 vcc_lo, s18, v8
	global_load_b64 v[9:10], v[9:10], off
	s_or_b32 s21, vcc_lo, s21
	s_waitcnt vmcnt(0)
	ds_store_b64 v7, v[9:10]
	v_add_nc_u32_e32 v7, s13, v7
	s_and_not1_b32 exec_lo, exec_lo, s21
	s_cbranch_execnz .LBB107_3
; %bb.4:                                ;   in Loop: Header=BB107_2 Depth=1
	s_or_b32 exec_lo, exec_lo, s21
	v_add_nc_u32_e32 v5, s19, v5
	v_add_nc_u32_e32 v4, s14, v4
	;; [unrolled: 1-line block ×3, first 2 shown]
	s_delay_alu instid0(VALU_DEP_3) | instskip(SKIP_1) | instid1(SALU_CYCLE_1)
	v_cmp_le_i32_e32 vcc_lo, s18, v5
	s_or_b32 s11, vcc_lo, s11
	s_and_not1_b32 exec_lo, exec_lo, s11
	s_cbranch_execnz .LBB107_2
.LBB107_5:
	s_or_b32 exec_lo, exec_lo, s10
	s_cmp_lt_i32 s18, 2
	s_waitcnt lgkmcnt(0)
	s_barrier
	buffer_gl0_inv
	s_cbranch_scc1 .LBB107_29
; %bb.6:
	s_load_b128 s[20:23], s[0:1], 0x10
	s_mul_i32 s1, s15, s9
	s_mul_hi_u32 s10, s15, s8
	s_mul_i32 s11, s12, s8
	s_add_i32 s1, s10, s1
	s_mul_i32 s0, s15, s8
	s_add_i32 s1, s1, s11
	s_mul_i32 s12, s4, s12
	s_lshl_b64 s[0:1], s[0:1], 3
	s_mul_hi_u32 s13, s4, s15
	s_mul_i32 s5, s5, s15
	v_add_nc_u32_e32 v3, 8, v6
	s_mul_i32 s4, s4, s15
	v_add_nc_u32_e32 v9, 0, v6
	s_mov_b32 s9, 0
	s_mov_b32 s8, 1
	v_mul_lo_u32 v3, s18, v3
	s_waitcnt lgkmcnt(0)
	s_ashr_i32 s11, s22, 31
	s_add_u32 s28, s6, s0
	s_addc_u32 s29, s7, s1
	s_lshl_b32 s30, s18, 3
	s_mov_b32 s10, s22
	s_add_i32 s31, s30, 0
	s_cmpk_lg_i32 s16, 0xb5
	s_mov_b32 s0, s23
	s_cselect_b32 s16, -1, 0
	s_add_i32 s1, s13, s12
	s_lshl_b64 s[12:13], s[10:11], 3
	s_add_i32 s5, s1, s5
	v_mul_lo_u32 v7, v0, s23
	s_lshl_b64 s[4:5], s[4:5], 3
	s_add_u32 s22, s20, s12
	s_addc_u32 s33, s21, s13
	s_ashr_i32 s1, s23, 31
	s_lshl_b32 s6, s23, 1
	s_lshl_b64 s[10:11], s[0:1], 3
	v_add_co_u32 v1, s0, s4, v6
	s_lshl_b32 s34, s19, 3
	v_add_co_ci_u32_e64 v2, null, s5, 0, s0
	s_add_u32 s0, s4, s12
	s_addc_u32 s1, s5, s13
	s_add_u32 s0, s0, s20
	s_addc_u32 s1, s1, s21
	s_add_u32 s12, s0, 16
	v_add3_u32 v8, v3, v6, 0
	s_addc_u32 s13, s1, 0
	s_add_i32 s36, s30, 8
	s_mul_i32 s35, s23, s19
	s_mul_i32 s36, s36, s19
	s_mov_b32 s14, s23
	s_branch .LBB107_8
.LBB107_7:                              ;   in Loop: Header=BB107_8 Depth=1
	s_set_inst_prefetch_distance 0x2
	s_or_b32 exec_lo, exec_lo, s0
	s_add_i32 s8, s8, 1
	s_add_u32 s4, s4, 8
	s_addc_u32 s5, s5, 0
	s_add_i32 s6, s6, s23
	s_add_u32 s12, s12, 8
	s_addc_u32 s13, s13, 0
	s_add_i32 s14, s14, s23
	s_cmp_eq_u32 s8, s18
	s_waitcnt lgkmcnt(0)
	s_barrier
	buffer_gl0_inv
	s_cbranch_scc1 .LBB107_29
.LBB107_8:                              ; =>This Loop Header: Depth=1
                                        ;     Child Loop BB107_12 Depth 2
                                        ;       Child Loop BB107_14 Depth 3
                                        ;     Child Loop BB107_20 Depth 2
                                        ;       Child Loop BB107_22 Depth 3
	;; [unrolled: 2-line block ×3, first 2 shown]
	s_mul_i32 s0, s8, s18
	s_not_b32 s38, s8
	s_lshl_b32 s0, s0, 3
	s_add_i32 s38, s38, s17
	s_add_i32 s37, s31, s0
	v_cmp_gt_u32_e64 s0, s8, v0
	s_and_b32 vcc_lo, exec_lo, s16
	s_mov_b32 s1, -1
	s_cbranch_vccz .LBB107_16
; %bb.9:                                ;   in Loop: Header=BB107_8 Depth=1
	s_delay_alu instid0(VALU_DEP_1)
	s_and_saveexec_b32 s15, s0
	s_cbranch_execz .LBB107_15
; %bb.10:                               ;   in Loop: Header=BB107_8 Depth=1
	s_ashr_i32 s7, s6, 31
	v_dual_mov_b32 v4, v2 :: v_dual_mov_b32 v3, v1
	s_lshl_b64 s[0:1], s[6:7], 3
	v_mov_b32_e32 v5, v0
	s_add_u32 s20, s22, s0
	s_addc_u32 s21, s33, s1
	s_cmp_gt_i32 s38, 0
	s_mov_b32 s39, 0
	s_cselect_b32 s7, -1, 0
	s_lshl_b64 s[0:1], s[8:9], 3
	s_delay_alu instid0(SALU_CYCLE_1)
	s_add_u32 s0, s28, s0
	s_addc_u32 s1, s29, s1
	s_load_b64 s[24:25], s[0:1], 0x0
	s_branch .LBB107_12
.LBB107_11:                             ;   in Loop: Header=BB107_12 Depth=2
	s_waitcnt lgkmcnt(0)
	s_delay_alu instid0(VALU_DEP_1) | instskip(SKIP_2) | instid1(VALU_DEP_3)
	v_dual_mul_f32 v15, s25, v10 :: v_dual_lshlrev_b32 v14, 3, v5
	v_dual_mul_f32 v16, s25, v11 :: v_dual_add_nc_u32 v5, s19, v5
	v_add_co_u32 v3, s0, v3, s34
	v_fma_f32 v11, v11, s24, -v15
	s_delay_alu instid0(VALU_DEP_3)
	v_fmac_f32_e32 v16, s24, v10
	v_add_nc_u32_e32 v12, s37, v14
	v_cmp_le_u32_e32 vcc_lo, s8, v5
	v_add_nc_u32_e32 v14, 0, v14
	v_add_co_ci_u32_e64 v4, s0, 0, v4, s0
	ds_load_b64 v[12:13], v12
	s_or_b32 s39, vcc_lo, s39
	s_waitcnt lgkmcnt(0)
	v_dual_add_f32 v10, v12, v11 :: v_dual_add_f32 v11, v13, v16
	ds_store_b64 v14, v[10:11]
	s_and_not1_b32 exec_lo, exec_lo, s39
	s_cbranch_execz .LBB107_15
.LBB107_12:                             ;   Parent Loop BB107_8 Depth=1
                                        ; =>  This Loop Header: Depth=2
                                        ;       Child Loop BB107_14 Depth 3
	v_dual_mov_b32 v10, 0 :: v_dual_mov_b32 v11, 0
	s_and_not1_b32 vcc_lo, exec_lo, s7
	s_cbranch_vccnz .LBB107_11
; %bb.13:                               ;   in Loop: Header=BB107_12 Depth=2
	v_dual_mov_b32 v10, 0 :: v_dual_mov_b32 v11, 0
	s_mov_b32 s40, 0
	s_mov_b64 s[0:1], s[20:21]
	.p2align	6
.LBB107_14:                             ;   Parent Loop BB107_8 Depth=1
                                        ;     Parent Loop BB107_12 Depth=2
                                        ; =>    This Inner Loop Header: Depth=3
	s_delay_alu instid0(SALU_CYCLE_1)
	v_add_co_u32 v12, vcc_lo, s0, v3
	v_add_co_ci_u32_e32 v13, vcc_lo, s1, v4, vcc_lo
	s_add_u32 s42, s0, s4
	s_addc_u32 s43, s1, s5
	s_add_i32 s40, s40, 1
	s_load_b64 s[42:43], s[42:43], 0x8
	global_load_b64 v[12:13], v[12:13], off
	s_add_u32 s0, s0, s10
	s_addc_u32 s1, s1, s11
	s_cmp_ge_i32 s40, s38
	s_waitcnt vmcnt(0) lgkmcnt(0)
	v_dual_mul_f32 v14, s43, v13 :: v_dual_mul_f32 v15, s43, v12
	s_delay_alu instid0(VALU_DEP_1) | instskip(NEXT) | instid1(VALU_DEP_2)
	v_fmac_f32_e32 v14, s42, v12
	v_fma_f32 v12, s42, v13, -v15
	s_delay_alu instid0(VALU_DEP_1)
	v_dual_add_f32 v11, v11, v14 :: v_dual_add_f32 v10, v10, v12
	s_cbranch_scc0 .LBB107_14
	s_branch .LBB107_11
.LBB107_15:                             ;   in Loop: Header=BB107_8 Depth=1
	s_or_b32 exec_lo, exec_lo, s15
	s_mov_b32 s1, 0
.LBB107_16:                             ;   in Loop: Header=BB107_8 Depth=1
	s_delay_alu instid0(SALU_CYCLE_1)
	s_and_not1_b32 vcc_lo, exec_lo, s1
	s_cbranch_vccnz .LBB107_24
; %bb.17:                               ;   in Loop: Header=BB107_8 Depth=1
	s_mov_b32 s7, exec_lo
	v_cmpx_gt_u32_e64 s8, v0
	s_cbranch_execz .LBB107_23
; %bb.18:                               ;   in Loop: Header=BB107_8 Depth=1
	s_ashr_i32 s15, s14, 31
	v_dual_mov_b32 v3, v7 :: v_dual_mov_b32 v10, v0
	s_lshl_b64 s[0:1], s[14:15], 3
	s_cmp_gt_i32 s38, 0
	s_mov_b32 s39, 0
	s_cselect_b32 s15, -1, 0
	s_lshl_b64 s[20:21], s[8:9], 3
	s_delay_alu instid0(SALU_CYCLE_1)
	s_add_u32 s20, s28, s20
	s_addc_u32 s21, s29, s21
	s_load_b64 s[20:21], s[20:21], 0x0
	s_branch .LBB107_20
.LBB107_19:                             ;   in Loop: Header=BB107_20 Depth=2
	s_waitcnt lgkmcnt(0)
	s_delay_alu instid0(VALU_DEP_1) | instskip(SKIP_2) | instid1(VALU_DEP_3)
	v_dual_mul_f32 v14, s21, v11 :: v_dual_lshlrev_b32 v13, 3, v10
	v_add_nc_u32_e32 v3, s35, v3
	v_dual_mul_f32 v15, s21, v12 :: v_dual_add_nc_u32 v10, s19, v10
	v_add_nc_u32_e32 v4, s37, v13
	s_delay_alu instid0(VALU_DEP_4) | instskip(NEXT) | instid1(VALU_DEP_3)
	v_fma_f32 v12, v12, s20, -v14
	v_fmac_f32_e32 v15, s20, v11
	s_delay_alu instid0(VALU_DEP_4)
	v_cmp_le_u32_e32 vcc_lo, s8, v10
	ds_load_b64 v[4:5], v4
	v_add_nc_u32_e32 v11, 0, v13
	s_or_b32 s39, vcc_lo, s39
	s_waitcnt lgkmcnt(0)
	v_dual_add_f32 v4, v4, v12 :: v_dual_add_f32 v5, v5, v15
	ds_store_b64 v11, v[4:5]
	s_and_not1_b32 exec_lo, exec_lo, s39
	s_cbranch_execz .LBB107_23
.LBB107_20:                             ;   Parent Loop BB107_8 Depth=1
                                        ; =>  This Loop Header: Depth=2
                                        ;       Child Loop BB107_22 Depth 3
	v_dual_mov_b32 v11, 0 :: v_dual_mov_b32 v12, 0
	s_and_not1_b32 vcc_lo, exec_lo, s15
	s_cbranch_vccnz .LBB107_19
; %bb.21:                               ;   in Loop: Header=BB107_20 Depth=2
	v_ashrrev_i32_e32 v4, 31, v3
	v_dual_mov_b32 v11, 0 :: v_dual_mov_b32 v12, 0
	s_mov_b32 s40, 0
	s_mov_b64 s[24:25], s[12:13]
	s_delay_alu instid0(VALU_DEP_2)
	v_lshlrev_b64 v[4:5], 3, v[3:4]
	.p2align	6
.LBB107_22:                             ;   Parent Loop BB107_8 Depth=1
                                        ;     Parent Loop BB107_20 Depth=2
                                        ; =>    This Inner Loop Header: Depth=3
	s_delay_alu instid0(VALU_DEP_1) | instskip(NEXT) | instid1(VALU_DEP_2)
	v_add_co_u32 v13, vcc_lo, s24, v4
	v_add_co_ci_u32_e32 v14, vcc_lo, s25, v5, vcc_lo
	s_add_u32 s42, s24, s0
	s_addc_u32 s43, s25, s1
	s_add_i32 s40, s40, 1
	global_load_b64 v[13:14], v[13:14], off
	s_load_b64 s[42:43], s[42:43], 0x0
	s_add_u32 s24, s24, 8
	s_addc_u32 s25, s25, 0
	s_cmp_ge_i32 s40, s38
	s_waitcnt vmcnt(0) lgkmcnt(0)
	v_mul_f32_e32 v15, s43, v14
	s_delay_alu instid0(VALU_DEP_1) | instskip(NEXT) | instid1(VALU_DEP_1)
	v_dual_mul_f32 v14, s42, v14 :: v_dual_fmac_f32 v15, s42, v13
	v_fma_f32 v13, v13, s43, -v14
	s_delay_alu instid0(VALU_DEP_1)
	v_dual_add_f32 v12, v12, v15 :: v_dual_add_f32 v11, v11, v13
	s_cbranch_scc0 .LBB107_22
	s_branch .LBB107_19
.LBB107_23:                             ;   in Loop: Header=BB107_8 Depth=1
	s_or_b32 exec_lo, exec_lo, s7
.LBB107_24:                             ;   in Loop: Header=BB107_8 Depth=1
	s_delay_alu instid0(SALU_CYCLE_1)
	s_mov_b32 s0, exec_lo
	s_waitcnt lgkmcnt(0)
	s_barrier
	buffer_gl0_inv
	v_cmpx_gt_u32_e64 s8, v0
	s_cbranch_execz .LBB107_7
; %bb.25:                               ;   in Loop: Header=BB107_8 Depth=1
	v_dual_mov_b32 v5, v9 :: v_dual_mov_b32 v10, v8
	v_mov_b32_e32 v11, v0
	s_mov_b32 s1, 0
	s_set_inst_prefetch_distance 0x1
	.p2align	6
.LBB107_26:                             ;   Parent Loop BB107_8 Depth=1
                                        ; =>  This Loop Header: Depth=2
                                        ;       Child Loop BB107_27 Depth 3
	s_delay_alu instid0(VALU_DEP_2) | instskip(NEXT) | instid1(VALU_DEP_2)
	v_dual_mov_b32 v3, 0 :: v_dual_mov_b32 v12, v5
	v_dual_mov_b32 v13, v10 :: v_dual_mov_b32 v14, v11
	v_mov_b32_e32 v4, 0
	s_mov_b32 s7, 0
	.p2align	6
.LBB107_27:                             ;   Parent Loop BB107_8 Depth=1
                                        ;     Parent Loop BB107_26 Depth=2
                                        ; =>    This Inner Loop Header: Depth=3
	ds_load_b64 v[15:16], v13
	ds_load_b64 v[17:18], v12
	v_add_nc_u32_e32 v12, 8, v12
	v_add_nc_u32_e32 v14, 1, v14
	;; [unrolled: 1-line block ×3, first 2 shown]
	s_delay_alu instid0(VALU_DEP_2) | instskip(SKIP_4) | instid1(VALU_DEP_2)
	v_cmp_le_u32_e32 vcc_lo, s8, v14
	s_or_b32 s7, vcc_lo, s7
	s_waitcnt lgkmcnt(0)
	v_mul_f32_e32 v19, v18, v16
	v_mul_f32_e32 v16, v17, v16
	v_fma_f32 v17, v17, v15, -v19
	s_delay_alu instid0(VALU_DEP_1) | instskip(NEXT) | instid1(VALU_DEP_1)
	v_dual_fmac_f32 v16, v18, v15 :: v_dual_add_f32 v3, v3, v17
	v_add_f32_e32 v4, v4, v16
	s_and_not1_b32 exec_lo, exec_lo, s7
	s_cbranch_execnz .LBB107_27
; %bb.28:                               ;   in Loop: Header=BB107_26 Depth=2
	s_or_b32 exec_lo, exec_lo, s7
	v_lshl_add_u32 v12, v11, 3, s37
	v_add_nc_u32_e32 v11, s19, v11
	v_add_nc_u32_e32 v10, s36, v10
	;; [unrolled: 1-line block ×3, first 2 shown]
	ds_store_b64 v12, v[3:4]
	v_cmp_le_u32_e32 vcc_lo, s8, v11
	s_or_b32 s1, vcc_lo, s1
	s_delay_alu instid0(SALU_CYCLE_1)
	s_and_not1_b32 exec_lo, exec_lo, s1
	s_cbranch_execnz .LBB107_26
	s_branch .LBB107_7
.LBB107_29:
	s_and_saveexec_b32 s0, s2
	s_cbranch_execz .LBB107_34
; %bb.30:
	v_add_nc_u32_e32 v1, 8, v6
	s_lshl_b32 s2, s18, 3
	s_add_i32 s1, s3, 1
	s_add_i32 s5, s2, 8
	s_mul_i32 s1, s1, s19
	v_mul_lo_u32 v3, s18, v1
	v_mad_u64_u32 v[1:2], null, v0, s3, v[0:1]
	s_mov_b32 s4, 0
	s_mul_i32 s5, s5, s19
	s_delay_alu instid0(VALU_DEP_2)
	v_add3_u32 v4, v3, v6, 0
	.p2align	6
.LBB107_31:                             ; =>This Loop Header: Depth=1
                                        ;     Child Loop BB107_32 Depth 2
	s_delay_alu instid0(VALU_DEP_1)
	v_dual_mov_b32 v5, v4 :: v_dual_mov_b32 v2, v1
	v_mov_b32_e32 v6, v0
	s_mov_b32 s6, 0
	.p2align	6
.LBB107_32:                             ;   Parent Loop BB107_31 Depth=1
                                        ; =>  This Inner Loop Header: Depth=2
	ds_load_b64 v[7:8], v5
	v_ashrrev_i32_e32 v3, 31, v2
	v_add_nc_u32_e32 v6, 1, v6
	v_add_nc_u32_e32 v5, s2, v5
	s_delay_alu instid0(VALU_DEP_3) | instskip(NEXT) | instid1(VALU_DEP_3)
	v_lshlrev_b64 v[9:10], 3, v[2:3]
	v_cmp_le_i32_e32 vcc_lo, s18, v6
	v_add_nc_u32_e32 v2, s3, v2
	s_or_b32 s6, vcc_lo, s6
	s_delay_alu instid0(VALU_DEP_3) | instskip(NEXT) | instid1(VALU_DEP_1)
	v_add_co_u32 v9, s0, s26, v9
	v_add_co_ci_u32_e64 v10, s0, s27, v10, s0
	s_waitcnt lgkmcnt(0)
	global_store_b64 v[9:10], v[7:8], off
	s_and_not1_b32 exec_lo, exec_lo, s6
	s_cbranch_execnz .LBB107_32
; %bb.33:                               ;   in Loop: Header=BB107_31 Depth=1
	s_or_b32 exec_lo, exec_lo, s6
	v_add_nc_u32_e32 v0, s19, v0
	v_add_nc_u32_e32 v1, s1, v1
	;; [unrolled: 1-line block ×3, first 2 shown]
	s_delay_alu instid0(VALU_DEP_3) | instskip(SKIP_1) | instid1(SALU_CYCLE_1)
	v_cmp_le_i32_e32 vcc_lo, s18, v0
	s_or_b32 s4, vcc_lo, s4
	s_and_not1_b32 exec_lo, exec_lo, s4
	s_cbranch_execnz .LBB107_31
.LBB107_34:
	s_nop 0
	s_sendmsg sendmsg(MSG_DEALLOC_VGPRS)
	s_endpgm
	.section	.rodata,"a",@progbits
	.p2align	6, 0x0
	.amdhsa_kernel _ZN9rocsolver6v33100L20larft_kernel_forwardI19rocblas_complex_numIfEPS3_EEv15rocblas_storev_iiT0_iilPT_lS8_il
		.amdhsa_group_segment_fixed_size 0
		.amdhsa_private_segment_fixed_size 0
		.amdhsa_kernarg_size 336
		.amdhsa_user_sgpr_count 14
		.amdhsa_user_sgpr_dispatch_ptr 0
		.amdhsa_user_sgpr_queue_ptr 0
		.amdhsa_user_sgpr_kernarg_segment_ptr 1
		.amdhsa_user_sgpr_dispatch_id 0
		.amdhsa_user_sgpr_private_segment_size 0
		.amdhsa_wavefront_size32 1
		.amdhsa_uses_dynamic_stack 0
		.amdhsa_enable_private_segment 0
		.amdhsa_system_sgpr_workgroup_id_x 1
		.amdhsa_system_sgpr_workgroup_id_y 1
		.amdhsa_system_sgpr_workgroup_id_z 0
		.amdhsa_system_sgpr_workgroup_info 0
		.amdhsa_system_vgpr_workitem_id 0
		.amdhsa_next_free_vgpr 20
		.amdhsa_next_free_sgpr 44
		.amdhsa_reserve_vcc 1
		.amdhsa_float_round_mode_32 0
		.amdhsa_float_round_mode_16_64 0
		.amdhsa_float_denorm_mode_32 3
		.amdhsa_float_denorm_mode_16_64 3
		.amdhsa_dx10_clamp 1
		.amdhsa_ieee_mode 1
		.amdhsa_fp16_overflow 0
		.amdhsa_workgroup_processor_mode 1
		.amdhsa_memory_ordered 1
		.amdhsa_forward_progress 0
		.amdhsa_shared_vgpr_count 0
		.amdhsa_exception_fp_ieee_invalid_op 0
		.amdhsa_exception_fp_denorm_src 0
		.amdhsa_exception_fp_ieee_div_zero 0
		.amdhsa_exception_fp_ieee_overflow 0
		.amdhsa_exception_fp_ieee_underflow 0
		.amdhsa_exception_fp_ieee_inexact 0
		.amdhsa_exception_int_div_zero 0
	.end_amdhsa_kernel
	.section	.text._ZN9rocsolver6v33100L20larft_kernel_forwardI19rocblas_complex_numIfEPS3_EEv15rocblas_storev_iiT0_iilPT_lS8_il,"axG",@progbits,_ZN9rocsolver6v33100L20larft_kernel_forwardI19rocblas_complex_numIfEPS3_EEv15rocblas_storev_iiT0_iilPT_lS8_il,comdat
.Lfunc_end107:
	.size	_ZN9rocsolver6v33100L20larft_kernel_forwardI19rocblas_complex_numIfEPS3_EEv15rocblas_storev_iiT0_iilPT_lS8_il, .Lfunc_end107-_ZN9rocsolver6v33100L20larft_kernel_forwardI19rocblas_complex_numIfEPS3_EEv15rocblas_storev_iiT0_iilPT_lS8_il
                                        ; -- End function
	.section	.AMDGPU.csdata,"",@progbits
; Kernel info:
; codeLenInByte = 1788
; NumSgprs: 46
; NumVgprs: 20
; ScratchSize: 0
; MemoryBound: 0
; FloatMode: 240
; IeeeMode: 1
; LDSByteSize: 0 bytes/workgroup (compile time only)
; SGPRBlocks: 5
; VGPRBlocks: 2
; NumSGPRsForWavesPerEU: 46
; NumVGPRsForWavesPerEU: 20
; Occupancy: 16
; WaveLimiterHint : 0
; COMPUTE_PGM_RSRC2:SCRATCH_EN: 0
; COMPUTE_PGM_RSRC2:USER_SGPR: 14
; COMPUTE_PGM_RSRC2:TRAP_HANDLER: 0
; COMPUTE_PGM_RSRC2:TGID_X_EN: 1
; COMPUTE_PGM_RSRC2:TGID_Y_EN: 1
; COMPUTE_PGM_RSRC2:TGID_Z_EN: 0
; COMPUTE_PGM_RSRC2:TIDIG_COMP_CNT: 0
	.section	.text._ZN9rocsolver6v33100L21larft_kernel_backwardI19rocblas_complex_numIfEPS3_EEv15rocblas_storev_iiT0_iilPT_lS8_il,"axG",@progbits,_ZN9rocsolver6v33100L21larft_kernel_backwardI19rocblas_complex_numIfEPS3_EEv15rocblas_storev_iiT0_iilPT_lS8_il,comdat
	.globl	_ZN9rocsolver6v33100L21larft_kernel_backwardI19rocblas_complex_numIfEPS3_EEv15rocblas_storev_iiT0_iilPT_lS8_il ; -- Begin function _ZN9rocsolver6v33100L21larft_kernel_backwardI19rocblas_complex_numIfEPS3_EEv15rocblas_storev_iiT0_iilPT_lS8_il
	.p2align	8
	.type	_ZN9rocsolver6v33100L21larft_kernel_backwardI19rocblas_complex_numIfEPS3_EEv15rocblas_storev_iiT0_iilPT_lS8_il,@function
_ZN9rocsolver6v33100L21larft_kernel_backwardI19rocblas_complex_numIfEPS3_EEv15rocblas_storev_iiT0_iilPT_lS8_il: ; @_ZN9rocsolver6v33100L21larft_kernel_backwardI19rocblas_complex_numIfEPS3_EEv15rocblas_storev_iiT0_iilPT_lS8_il
; %bb.0:
	s_clause 0x4
	s_load_b64 s[20:21], s[0:1], 0x48
	s_load_b128 s[16:19], s[0:1], 0x0
	s_load_b32 s13, s[0:1], 0x5c
	s_load_b256 s[4:11], s[0:1], 0x20
	s_load_b32 s3, s[0:1], 0x40
	s_ashr_i32 s12, s15, 31
	v_add_nc_u32_e32 v6, 1, v0
	v_lshlrev_b32_e32 v7, 3, v0
	s_waitcnt lgkmcnt(0)
	s_mul_i32 s2, s15, s21
	s_mul_hi_u32 s14, s15, s20
	s_mul_i32 s19, s12, s20
	s_add_i32 s2, s14, s2
	s_mul_i32 s20, s15, s20
	s_add_i32 s21, s2, s19
	v_cmp_gt_i32_e64 s2, s18, v0
	s_lshl_b64 s[20:21], s[20:21], 3
	s_and_b32 s19, s13, 0xffff
	s_add_u32 s24, s10, s20
	s_addc_u32 s25, s11, s21
	s_and_saveexec_b32 s10, s2
	s_cbranch_execz .LBB108_5
; %bb.1:
	s_lshl_b32 s11, s18, 3
	v_add_nc_u32_e32 v3, 1, v0
	v_add3_u32 v4, 0, s11, v7
	v_mov_b32_e32 v5, v0
	s_mov_b32 s13, 0
	s_lshl_b32 s14, s19, 3
	.p2align	6
.LBB108_2:                              ; =>This Loop Header: Depth=1
                                        ;     Child Loop BB108_3 Depth 2
	s_delay_alu instid0(VALU_DEP_1)
	v_dual_mov_b32 v1, v5 :: v_dual_mov_b32 v8, v4
	s_mov_b32 s20, 0
	s_mov_b32 s21, 0
	.p2align	6
.LBB108_3:                              ;   Parent Loop BB108_2 Depth=1
                                        ; =>  This Inner Loop Header: Depth=2
	s_delay_alu instid0(VALU_DEP_1) | instskip(SKIP_1) | instid1(VALU_DEP_1)
	v_ashrrev_i32_e32 v2, 31, v1
	s_add_i32 s21, s21, 1
	v_lshlrev_b64 v[9:10], 3, v[1:2]
	v_add_nc_u32_e32 v1, s3, v1
	s_delay_alu instid0(VALU_DEP_2) | instskip(NEXT) | instid1(VALU_DEP_3)
	v_add_co_u32 v9, vcc_lo, s24, v9
	v_add_co_ci_u32_e32 v10, vcc_lo, s25, v10, vcc_lo
	v_cmp_eq_u32_e32 vcc_lo, s21, v3
	global_load_b64 v[9:10], v[9:10], off
	s_or_b32 s20, vcc_lo, s20
	s_waitcnt vmcnt(0)
	ds_store_b64 v8, v[9:10]
	v_add_nc_u32_e32 v8, s11, v8
	s_and_not1_b32 exec_lo, exec_lo, s20
	s_cbranch_execnz .LBB108_3
; %bb.4:                                ;   in Loop: Header=BB108_2 Depth=1
	s_or_b32 exec_lo, exec_lo, s20
	v_add_nc_u32_e32 v5, s19, v5
	v_add_nc_u32_e32 v3, s19, v3
	;; [unrolled: 1-line block ×3, first 2 shown]
	s_delay_alu instid0(VALU_DEP_3) | instskip(SKIP_1) | instid1(SALU_CYCLE_1)
	v_cmp_le_i32_e32 vcc_lo, s18, v5
	s_or_b32 s13, vcc_lo, s13
	s_and_not1_b32 exec_lo, exec_lo, s13
	s_cbranch_execnz .LBB108_2
.LBB108_5:
	s_or_b32 exec_lo, exec_lo, s10
	s_cmp_lt_i32 s18, 2
	s_waitcnt lgkmcnt(0)
	s_barrier
	buffer_gl0_inv
	s_cbranch_scc1 .LBB108_29
; %bb.6:
	s_load_b128 s[20:23], s[0:1], 0x10
	s_mul_i32 s1, s15, s9
	s_mul_hi_u32 s9, s15, s8
	s_mul_i32 s10, s12, s8
	s_add_i32 s1, s9, s1
	s_mul_i32 s0, s15, s8
	s_add_i32 s1, s1, s10
	s_mul_i32 s10, s5, s15
	s_lshl_b64 s[0:1], s[0:1], 3
	s_mul_i32 s8, s4, s12
	s_mul_hi_u32 s9, s4, s15
	s_waitcnt lgkmcnt(0)
	s_ashr_i32 s5, s22, 31
	s_add_u32 s26, s6, s0
	s_addc_u32 s27, s7, s1
	s_lshl_b32 s28, s18, 3
	s_add_i32 s6, s18, -2
	s_sub_i32 s17, s17, s18
	s_add_i32 s29, s28, 0
	s_cmpk_lg_i32 s16, 0xb5
	s_mul_i32 s0, s4, s15
	s_cselect_b32 s16, -1, 0
	s_add_i32 s1, s9, s8
	s_mov_b32 s4, s22
	s_add_i32 s1, s1, s10
	s_lshl_b64 s[4:5], s[4:5], 3
	s_lshl_b64 s[0:1], s[0:1], 3
	s_mov_b32 s7, 0
	s_add_u32 s8, s0, s4
	s_addc_u32 s9, s1, s5
	s_lshl_b64 s[0:1], s[6:7], 3
	s_mov_b32 s4, s23
	s_add_u32 s5, s20, s0
	s_addc_u32 s10, s21, s1
	s_add_u32 s11, s5, s8
	s_addc_u32 s10, s10, s9
	s_ashr_i32 s5, s23, 31
	s_lshl_b32 s22, s19, 3
	s_lshl_b64 s[4:5], s[4:5], 3
	s_add_u32 s8, s8, s20
	s_addc_u32 s9, s9, s21
	s_add_u32 s20, s8, 4
	s_addc_u32 s21, s9, 0
	v_add_co_u32 v1, s11, s11, v7
	s_add_u32 s30, s20, s0
	s_addc_u32 s31, s21, s1
	s_add_i32 s0, s28, 8
	v_add_co_ci_u32_e64 v2, null, s10, 0, s11
	s_mul_i32 s0, s18, s0
	v_mul_lo_u32 v8, v0, s23
	v_add_co_u32 v1, vcc_lo, v1, 8
	s_add_i32 s0, s0, 0
	v_add_co_ci_u32_e32 v2, vcc_lo, 0, v2, vcc_lo
	v_add3_u32 v9, s0, v7, -8
	s_add_i32 s1, s18, -1
	s_mul_i32 s8, s23, s6
	s_mul_i32 s10, s23, s1
	;; [unrolled: 1-line block ×3, first 2 shown]
	s_xor_b32 s34, s28, -8
	s_branch .LBB108_8
.LBB108_7:                              ;   in Loop: Header=BB108_8 Depth=1
	s_set_inst_prefetch_distance 0x2
	s_or_b32 exec_lo, exec_lo, s0
	v_add_co_u32 v1, vcc_lo, v1, -8
	s_add_i32 s0, s6, -1
	v_add_co_ci_u32_e32 v2, vcc_lo, -1, v2, vcc_lo
	v_add_nc_u32_e32 v9, s34, v9
	s_add_u32 s30, s30, -8
	s_addc_u32 s31, s31, -1
	s_sub_i32 s8, s8, s23
	s_sub_i32 s10, s10, s23
	s_cmp_lt_i32 s6, 1
	s_mov_b32 s6, s0
	s_waitcnt lgkmcnt(0)
	s_barrier
	buffer_gl0_inv
	s_cbranch_scc1 .LBB108_29
.LBB108_8:                              ; =>This Loop Header: Depth=1
                                        ;     Child Loop BB108_12 Depth 2
                                        ;       Child Loop BB108_14 Depth 3
                                        ;     Child Loop BB108_20 Depth 2
                                        ;       Child Loop BB108_22 Depth 3
	;; [unrolled: 2-line block ×3, first 2 shown]
	s_not_b32 s35, s6
	s_lshl_b32 s0, s6, 3
	s_mul_i32 s1, s6, s18
	s_add_i32 s35, s35, s18
	s_add_i32 s36, s29, s0
	s_lshl_b32 s0, s1, 3
	s_add_i32 s37, s6, s17
	s_add_i32 s36, s36, s0
	v_cmp_gt_i32_e64 s0, s35, v0
	s_and_b32 vcc_lo, exec_lo, s16
	s_mov_b32 s1, -1
	s_cbranch_vccz .LBB108_16
; %bb.9:                                ;   in Loop: Header=BB108_8 Depth=1
	s_delay_alu instid0(VALU_DEP_1)
	s_and_saveexec_b32 s9, s0
	s_cbranch_execz .LBB108_15
; %bb.10:                               ;   in Loop: Header=BB108_8 Depth=1
	s_cmp_gt_i32 s37, 0
	v_dual_mov_b32 v4, v2 :: v_dual_mov_b32 v3, v1
	s_cselect_b32 s11, -1, 0
	s_lshl_b64 s[0:1], s[6:7], 3
	v_mov_b32_e32 v5, v0
	s_add_u32 s0, s26, s0
	s_addc_u32 s1, s27, s1
	s_mov_b32 s14, 0
	s_load_b64 s[12:13], s[0:1], 0x0
	s_add_i32 s15, s36, 8
	s_branch .LBB108_12
.LBB108_11:                             ;   in Loop: Header=BB108_12 Depth=2
	s_waitcnt lgkmcnt(0)
	s_delay_alu instid0(VALU_DEP_1) | instskip(SKIP_2) | instid1(VALU_DEP_3)
	v_dual_mul_f32 v15, s13, v10 :: v_dual_lshlrev_b32 v14, 3, v5
	v_dual_mul_f32 v16, s13, v11 :: v_dual_add_nc_u32 v5, s19, v5
	v_add_co_u32 v3, s0, v3, s22
	v_fma_f32 v11, v11, s12, -v15
	s_delay_alu instid0(VALU_DEP_3)
	v_fmac_f32_e32 v16, s12, v10
	v_add_nc_u32_e32 v12, s15, v14
	v_cmp_le_i32_e32 vcc_lo, s35, v5
	v_add_nc_u32_e32 v14, 0, v14
	v_add_co_ci_u32_e64 v4, s0, 0, v4, s0
	ds_load_b64 v[12:13], v12
	s_or_b32 s14, vcc_lo, s14
	s_waitcnt lgkmcnt(0)
	v_dual_add_f32 v10, v12, v11 :: v_dual_add_f32 v11, v13, v16
	ds_store_b64 v14, v[10:11]
	s_and_not1_b32 exec_lo, exec_lo, s14
	s_cbranch_execz .LBB108_15
.LBB108_12:                             ;   Parent Loop BB108_8 Depth=1
                                        ; =>  This Loop Header: Depth=2
                                        ;       Child Loop BB108_14 Depth 3
	v_dual_mov_b32 v10, 0 :: v_dual_mov_b32 v11, 0
	s_and_not1_b32 vcc_lo, exec_lo, s11
	s_cbranch_vccnz .LBB108_11
; %bb.13:                               ;   in Loop: Header=BB108_12 Depth=2
	v_dual_mov_b32 v10, 0 :: v_dual_mov_b32 v11, 0
	s_mov_b32 s38, 0
	s_mov_b64 s[0:1], 0
	.p2align	6
.LBB108_14:                             ;   Parent Loop BB108_8 Depth=1
                                        ;     Parent Loop BB108_12 Depth=2
                                        ; =>    This Inner Loop Header: Depth=3
	s_delay_alu instid0(SALU_CYCLE_1)
	v_add_co_u32 v12, vcc_lo, v3, s0
	v_add_co_ci_u32_e32 v13, vcc_lo, s1, v4, vcc_lo
	s_add_u32 s39, s30, s0
	s_addc_u32 s41, s31, s1
	s_add_u32 s40, s39, -4
	global_load_b64 v[12:13], v[12:13], off
	s_addc_u32 s41, s41, -1
	s_add_i32 s38, s38, 1
	s_load_b64 s[40:41], s[40:41], 0x0
	s_add_u32 s0, s0, s4
	s_addc_u32 s1, s1, s5
	s_cmp_ge_i32 s38, s37
	s_waitcnt vmcnt(0) lgkmcnt(0)
	v_dual_mul_f32 v14, s41, v13 :: v_dual_mul_f32 v15, s41, v12
	s_delay_alu instid0(VALU_DEP_1) | instskip(NEXT) | instid1(VALU_DEP_2)
	v_fmac_f32_e32 v14, s40, v12
	v_fma_f32 v12, s40, v13, -v15
	s_delay_alu instid0(VALU_DEP_1)
	v_dual_add_f32 v11, v11, v14 :: v_dual_add_f32 v10, v10, v12
	s_cbranch_scc0 .LBB108_14
	s_branch .LBB108_11
.LBB108_15:                             ;   in Loop: Header=BB108_8 Depth=1
	s_or_b32 exec_lo, exec_lo, s9
	s_mov_b32 s1, 0
.LBB108_16:                             ;   in Loop: Header=BB108_8 Depth=1
	s_delay_alu instid0(SALU_CYCLE_1)
	s_and_not1_b32 vcc_lo, exec_lo, s1
	s_cbranch_vccnz .LBB108_24
; %bb.17:                               ;   in Loop: Header=BB108_8 Depth=1
	s_mov_b32 s38, exec_lo
	v_cmpx_gt_i32_e64 s35, v0
	s_cbranch_execz .LBB108_23
; %bb.18:                               ;   in Loop: Header=BB108_8 Depth=1
	s_ashr_i32 s9, s8, 31
	v_mov_b32_e32 v3, v8
	s_lshl_b64 s[0:1], s[8:9], 3
	v_mov_b32_e32 v10, v0
	s_add_u32 s0, s20, s0
	s_addc_u32 s1, s21, s1
	s_ashr_i32 s11, s10, 31
	s_delay_alu instid0(SALU_CYCLE_1) | instskip(SKIP_4) | instid1(SALU_CYCLE_1)
	s_lshl_b64 s[14:15], s[10:11], 3
	s_cmp_gt_i32 s37, 0
	s_mov_b32 s11, 0
	s_cselect_b32 s9, -1, 0
	s_lshl_b64 s[12:13], s[6:7], 3
	s_add_u32 s12, s26, s12
	s_addc_u32 s13, s27, s13
	s_add_i32 s39, s36, 8
	s_load_b64 s[12:13], s[12:13], 0x0
	s_add_u32 s40, s20, s14
	s_addc_u32 s41, s21, s15
	s_branch .LBB108_20
.LBB108_19:                             ;   in Loop: Header=BB108_20 Depth=2
	s_waitcnt lgkmcnt(0)
	s_delay_alu instid0(VALU_DEP_1) | instskip(SKIP_2) | instid1(VALU_DEP_3)
	v_dual_mul_f32 v14, s13, v11 :: v_dual_lshlrev_b32 v13, 3, v10
	v_add_nc_u32_e32 v3, s33, v3
	v_dual_mul_f32 v15, s13, v12 :: v_dual_add_nc_u32 v10, s19, v10
	v_add_nc_u32_e32 v4, s39, v13
	s_delay_alu instid0(VALU_DEP_4) | instskip(NEXT) | instid1(VALU_DEP_3)
	v_fma_f32 v12, v12, s12, -v14
	v_fmac_f32_e32 v15, s12, v11
	s_delay_alu instid0(VALU_DEP_4)
	v_cmp_le_i32_e32 vcc_lo, s35, v10
	ds_load_b64 v[4:5], v4
	v_add_nc_u32_e32 v11, 0, v13
	s_or_b32 s11, vcc_lo, s11
	s_waitcnt lgkmcnt(0)
	v_dual_add_f32 v4, v4, v12 :: v_dual_add_f32 v5, v5, v15
	ds_store_b64 v11, v[4:5]
	s_and_not1_b32 exec_lo, exec_lo, s11
	s_cbranch_execz .LBB108_23
.LBB108_20:                             ;   Parent Loop BB108_8 Depth=1
                                        ; =>  This Loop Header: Depth=2
                                        ;       Child Loop BB108_22 Depth 3
	v_dual_mov_b32 v11, 0 :: v_dual_mov_b32 v12, 0
	s_and_not1_b32 vcc_lo, exec_lo, s9
	s_cbranch_vccnz .LBB108_19
; %bb.21:                               ;   in Loop: Header=BB108_20 Depth=2
	v_ashrrev_i32_e32 v4, 31, v3
	v_dual_mov_b32 v11, 0 :: v_dual_mov_b32 v12, 0
	s_mov_b32 s42, 0
	s_mov_b64 s[14:15], s[0:1]
	s_delay_alu instid0(VALU_DEP_2) | instskip(NEXT) | instid1(VALU_DEP_1)
	v_lshlrev_b64 v[4:5], 3, v[3:4]
	v_add_co_u32 v4, vcc_lo, s40, v4
	s_delay_alu instid0(VALU_DEP_2)
	v_add_co_ci_u32_e32 v5, vcc_lo, s41, v5, vcc_lo
	.p2align	6
.LBB108_22:                             ;   Parent Loop BB108_8 Depth=1
                                        ;     Parent Loop BB108_20 Depth=2
                                        ; =>    This Inner Loop Header: Depth=3
	global_load_b64 v[13:14], v[4:5], off offset:-4
	s_add_u32 s44, s14, -4
	s_addc_u32 s45, s15, -1
	v_add_co_u32 v4, vcc_lo, v4, 8
	s_load_b64 s[44:45], s[44:45], 0x0
	v_add_co_ci_u32_e32 v5, vcc_lo, 0, v5, vcc_lo
	s_add_i32 s42, s42, 1
	s_add_u32 s14, s14, 8
	s_addc_u32 s15, s15, 0
	s_cmp_ge_i32 s42, s37
	s_waitcnt vmcnt(0) lgkmcnt(0)
	v_mul_f32_e32 v15, s45, v14
	s_delay_alu instid0(VALU_DEP_1) | instskip(NEXT) | instid1(VALU_DEP_1)
	v_dual_mul_f32 v14, s44, v14 :: v_dual_fmac_f32 v15, s44, v13
	v_fma_f32 v13, v13, s45, -v14
	s_delay_alu instid0(VALU_DEP_1)
	v_dual_add_f32 v12, v12, v15 :: v_dual_add_f32 v11, v11, v13
	s_cbranch_scc0 .LBB108_22
	s_branch .LBB108_19
.LBB108_23:                             ;   in Loop: Header=BB108_8 Depth=1
	s_or_b32 exec_lo, exec_lo, s38
.LBB108_24:                             ;   in Loop: Header=BB108_8 Depth=1
	s_delay_alu instid0(SALU_CYCLE_1)
	s_mov_b32 s0, exec_lo
	s_waitcnt lgkmcnt(0)
	s_barrier
	buffer_gl0_inv
	v_cmpx_gt_i32_e64 s35, v0
	s_cbranch_execz .LBB108_7
; %bb.25:                               ;   in Loop: Header=BB108_8 Depth=1
	v_dual_mov_b32 v5, v9 :: v_dual_mov_b32 v10, v0
	s_add_i32 s36, s36, 8
	s_mov_b32 s1, 0
	s_set_inst_prefetch_distance 0x1
	.p2align	6
.LBB108_26:                             ;   Parent Loop BB108_8 Depth=1
                                        ; =>  This Loop Header: Depth=2
                                        ;       Child Loop BB108_27 Depth 3
	v_dual_mov_b32 v3, 0 :: v_dual_mov_b32 v4, 0
	v_mov_b32_e32 v11, v5
	s_mov_b32 s11, -1
	s_mov_b32 s9, 0
	s_mov_b32 s12, 0
	.p2align	6
.LBB108_27:                             ;   Parent Loop BB108_8 Depth=1
                                        ;     Parent Loop BB108_26 Depth=2
                                        ; =>    This Inner Loop Header: Depth=3
	s_delay_alu instid0(SALU_CYCLE_1)
	v_mov_b32_e32 v14, s12
	s_add_i32 s11, s11, 1
	s_add_i32 s12, s12, 8
	v_cmp_eq_u32_e32 vcc_lo, s11, v10
	ds_load_b64 v[12:13], v11
	ds_load_b64 v[14:15], v14
	v_add_nc_u32_e32 v11, s28, v11
	s_or_b32 s9, vcc_lo, s9
	s_waitcnt lgkmcnt(0)
	v_mul_f32_e32 v16, v15, v13
	v_mul_f32_e32 v13, v14, v13
	s_delay_alu instid0(VALU_DEP_2) | instskip(NEXT) | instid1(VALU_DEP_2)
	v_fma_f32 v14, v14, v12, -v16
	v_fmac_f32_e32 v13, v15, v12
	s_delay_alu instid0(VALU_DEP_1)
	v_dual_add_f32 v3, v3, v14 :: v_dual_add_f32 v4, v4, v13
	s_and_not1_b32 exec_lo, exec_lo, s9
	s_cbranch_execnz .LBB108_27
; %bb.28:                               ;   in Loop: Header=BB108_26 Depth=2
	s_or_b32 exec_lo, exec_lo, s9
	v_lshl_add_u32 v11, v10, 3, s36
	v_add_nc_u32_e32 v10, s19, v10
	v_add_nc_u32_e32 v5, s22, v5
	ds_store_b64 v11, v[3:4]
	v_cmp_le_i32_e32 vcc_lo, s35, v10
	s_or_b32 s1, vcc_lo, s1
	s_delay_alu instid0(SALU_CYCLE_1)
	s_and_not1_b32 exec_lo, exec_lo, s1
	s_cbranch_execnz .LBB108_26
	s_branch .LBB108_7
.LBB108_29:
	s_and_saveexec_b32 s0, s2
	s_cbranch_execz .LBB108_34
; %bb.30:
	s_lshl_b32 s1, s18, 3
	s_mov_b32 s2, 0
	v_add3_u32 v3, 0, s1, v7
	s_lshl_b32 s4, s19, 3
	.p2align	6
.LBB108_31:                             ; =>This Loop Header: Depth=1
                                        ;     Child Loop BB108_32 Depth 2
	s_delay_alu instid0(VALU_DEP_1)
	v_dual_mov_b32 v4, v3 :: v_dual_mov_b32 v1, v0
	s_mov_b32 s5, 0
	s_mov_b32 s6, 0
	.p2align	6
.LBB108_32:                             ;   Parent Loop BB108_31 Depth=1
                                        ; =>  This Inner Loop Header: Depth=2
	ds_load_b64 v[7:8], v4
	v_ashrrev_i32_e32 v2, 31, v1
	s_add_i32 s6, s6, 1
	v_add_nc_u32_e32 v4, s1, v4
	v_cmp_eq_u32_e32 vcc_lo, s6, v6
	s_delay_alu instid0(VALU_DEP_3) | instskip(SKIP_2) | instid1(VALU_DEP_2)
	v_lshlrev_b64 v[9:10], 3, v[1:2]
	v_add_nc_u32_e32 v1, s3, v1
	s_or_b32 s5, vcc_lo, s5
	v_add_co_u32 v9, s0, s24, v9
	s_delay_alu instid0(VALU_DEP_1)
	v_add_co_ci_u32_e64 v10, s0, s25, v10, s0
	s_waitcnt lgkmcnt(0)
	global_store_b64 v[9:10], v[7:8], off
	s_and_not1_b32 exec_lo, exec_lo, s5
	s_cbranch_execnz .LBB108_32
; %bb.33:                               ;   in Loop: Header=BB108_31 Depth=1
	s_or_b32 exec_lo, exec_lo, s5
	v_add_nc_u32_e32 v0, s19, v0
	v_add_nc_u32_e32 v6, s19, v6
	;; [unrolled: 1-line block ×3, first 2 shown]
	s_delay_alu instid0(VALU_DEP_3) | instskip(SKIP_1) | instid1(SALU_CYCLE_1)
	v_cmp_le_i32_e32 vcc_lo, s18, v0
	s_or_b32 s2, vcc_lo, s2
	s_and_not1_b32 exec_lo, exec_lo, s2
	s_cbranch_execnz .LBB108_31
.LBB108_34:
	s_nop 0
	s_sendmsg sendmsg(MSG_DEALLOC_VGPRS)
	s_endpgm
	.section	.rodata,"a",@progbits
	.p2align	6, 0x0
	.amdhsa_kernel _ZN9rocsolver6v33100L21larft_kernel_backwardI19rocblas_complex_numIfEPS3_EEv15rocblas_storev_iiT0_iilPT_lS8_il
		.amdhsa_group_segment_fixed_size 0
		.amdhsa_private_segment_fixed_size 0
		.amdhsa_kernarg_size 336
		.amdhsa_user_sgpr_count 14
		.amdhsa_user_sgpr_dispatch_ptr 0
		.amdhsa_user_sgpr_queue_ptr 0
		.amdhsa_user_sgpr_kernarg_segment_ptr 1
		.amdhsa_user_sgpr_dispatch_id 0
		.amdhsa_user_sgpr_private_segment_size 0
		.amdhsa_wavefront_size32 1
		.amdhsa_uses_dynamic_stack 0
		.amdhsa_enable_private_segment 0
		.amdhsa_system_sgpr_workgroup_id_x 1
		.amdhsa_system_sgpr_workgroup_id_y 1
		.amdhsa_system_sgpr_workgroup_id_z 0
		.amdhsa_system_sgpr_workgroup_info 0
		.amdhsa_system_vgpr_workitem_id 0
		.amdhsa_next_free_vgpr 17
		.amdhsa_next_free_sgpr 46
		.amdhsa_reserve_vcc 1
		.amdhsa_float_round_mode_32 0
		.amdhsa_float_round_mode_16_64 0
		.amdhsa_float_denorm_mode_32 3
		.amdhsa_float_denorm_mode_16_64 3
		.amdhsa_dx10_clamp 1
		.amdhsa_ieee_mode 1
		.amdhsa_fp16_overflow 0
		.amdhsa_workgroup_processor_mode 1
		.amdhsa_memory_ordered 1
		.amdhsa_forward_progress 0
		.amdhsa_shared_vgpr_count 0
		.amdhsa_exception_fp_ieee_invalid_op 0
		.amdhsa_exception_fp_denorm_src 0
		.amdhsa_exception_fp_ieee_div_zero 0
		.amdhsa_exception_fp_ieee_overflow 0
		.amdhsa_exception_fp_ieee_underflow 0
		.amdhsa_exception_fp_ieee_inexact 0
		.amdhsa_exception_int_div_zero 0
	.end_amdhsa_kernel
	.section	.text._ZN9rocsolver6v33100L21larft_kernel_backwardI19rocblas_complex_numIfEPS3_EEv15rocblas_storev_iiT0_iilPT_lS8_il,"axG",@progbits,_ZN9rocsolver6v33100L21larft_kernel_backwardI19rocblas_complex_numIfEPS3_EEv15rocblas_storev_iiT0_iilPT_lS8_il,comdat
.Lfunc_end108:
	.size	_ZN9rocsolver6v33100L21larft_kernel_backwardI19rocblas_complex_numIfEPS3_EEv15rocblas_storev_iiT0_iilPT_lS8_il, .Lfunc_end108-_ZN9rocsolver6v33100L21larft_kernel_backwardI19rocblas_complex_numIfEPS3_EEv15rocblas_storev_iiT0_iilPT_lS8_il
                                        ; -- End function
	.section	.AMDGPU.csdata,"",@progbits
; Kernel info:
; codeLenInByte = 1808
; NumSgprs: 48
; NumVgprs: 17
; ScratchSize: 0
; MemoryBound: 0
; FloatMode: 240
; IeeeMode: 1
; LDSByteSize: 0 bytes/workgroup (compile time only)
; SGPRBlocks: 5
; VGPRBlocks: 2
; NumSGPRsForWavesPerEU: 48
; NumVGPRsForWavesPerEU: 17
; Occupancy: 16
; WaveLimiterHint : 0
; COMPUTE_PGM_RSRC2:SCRATCH_EN: 0
; COMPUTE_PGM_RSRC2:USER_SGPR: 14
; COMPUTE_PGM_RSRC2:TRAP_HANDLER: 0
; COMPUTE_PGM_RSRC2:TGID_X_EN: 1
; COMPUTE_PGM_RSRC2:TGID_Y_EN: 1
; COMPUTE_PGM_RSRC2:TGID_Z_EN: 0
; COMPUTE_PGM_RSRC2:TIDIG_COMP_CNT: 0
	.section	.text._ZN9rocsolver6v33100L9copymatA1I19rocblas_complex_numIfEPS3_EEviiT0_iilPT_,"axG",@progbits,_ZN9rocsolver6v33100L9copymatA1I19rocblas_complex_numIfEPS3_EEviiT0_iilPT_,comdat
	.globl	_ZN9rocsolver6v33100L9copymatA1I19rocblas_complex_numIfEPS3_EEviiT0_iilPT_ ; -- Begin function _ZN9rocsolver6v33100L9copymatA1I19rocblas_complex_numIfEPS3_EEviiT0_iilPT_
	.p2align	8
	.type	_ZN9rocsolver6v33100L9copymatA1I19rocblas_complex_numIfEPS3_EEviiT0_iilPT_,@function
_ZN9rocsolver6v33100L9copymatA1I19rocblas_complex_numIfEPS3_EEviiT0_iilPT_: ; @_ZN9rocsolver6v33100L9copymatA1I19rocblas_complex_numIfEPS3_EEviiT0_iilPT_
; %bb.0:
	s_clause 0x1
	s_load_b32 s2, s[0:1], 0x34
	s_load_b64 s[8:9], s[0:1], 0x0
	v_bfe_u32 v2, v0, 10, 10
	v_and_b32_e32 v3, 0x3ff, v0
	s_waitcnt lgkmcnt(0)
	s_lshr_b32 s3, s2, 16
	s_and_b32 s2, s2, 0xffff
	s_delay_alu instid0(VALU_DEP_1) | instskip(SKIP_1) | instid1(VALU_DEP_2)
	v_mad_u64_u32 v[0:1], null, s14, s3, v[2:3]
	v_mad_u64_u32 v[1:2], null, s13, s2, v[3:4]
	v_cmp_gt_u32_e32 vcc_lo, s8, v0
	s_delay_alu instid0(VALU_DEP_2) | instskip(NEXT) | instid1(VALU_DEP_1)
	v_cmp_gt_u32_e64 s2, s9, v1
	s_and_b32 s2, s2, vcc_lo
	s_delay_alu instid0(SALU_CYCLE_1)
	s_and_saveexec_b32 s3, s2
	s_cbranch_execz .LBB109_2
; %bb.1:
	s_load_b256 s[0:7], s[0:1], 0x8
	s_ashr_i32 s10, s8, 31
	s_ashr_i32 s11, s9, 31
	s_mul_hi_u32 s12, s8, s15
	s_mul_i32 s13, s8, s15
	s_mul_i32 s10, s10, s15
	;; [unrolled: 1-line block ×3, first 2 shown]
	s_mul_hi_u32 s14, s13, s9
	s_add_i32 s10, s12, s10
	s_add_i32 s11, s14, s11
	s_mul_i32 s12, s10, s9
	s_mul_i32 s10, s13, s9
	s_add_i32 s11, s11, s12
	v_mad_u64_u32 v[6:7], null, v1, s8, v[0:1]
	s_lshl_b64 s[10:11], s[10:11], 3
	s_waitcnt lgkmcnt(0)
	v_mad_u64_u32 v[2:3], null, v1, s3, v[0:1]
	s_add_u32 s9, s6, s10
	s_mul_i32 s5, s15, s5
	s_mul_hi_u32 s10, s15, s4
	v_mov_b32_e32 v3, 0
	s_mul_i32 s4, s15, s4
	s_addc_u32 s3, s7, s11
	s_add_i32 s5, s10, s5
	s_mov_b32 s6, s2
	s_lshl_b64 s[4:5], s[4:5], 3
	s_ashr_i32 s7, s2, 31
	v_lshlrev_b64 v[4:5], 3, v[2:3]
	s_add_u32 s2, s0, s4
	s_addc_u32 s4, s1, s5
	s_lshl_b64 s[0:1], s[6:7], 3
	v_mov_b32_e32 v7, v3
	s_add_u32 s0, s2, s0
	s_addc_u32 s1, s4, s1
	v_add_co_u32 v4, vcc_lo, s0, v4
	v_add_co_ci_u32_e32 v5, vcc_lo, s1, v5, vcc_lo
	v_lshlrev_b64 v[0:1], 3, v[6:7]
	global_load_b64 v[4:5], v[4:5], off
	v_add_co_u32 v0, vcc_lo, s9, v0
	v_add_co_ci_u32_e32 v1, vcc_lo, s3, v1, vcc_lo
	s_waitcnt vmcnt(0)
	global_store_b64 v[0:1], v[4:5], off
.LBB109_2:
	s_nop 0
	s_sendmsg sendmsg(MSG_DEALLOC_VGPRS)
	s_endpgm
	.section	.rodata,"a",@progbits
	.p2align	6, 0x0
	.amdhsa_kernel _ZN9rocsolver6v33100L9copymatA1I19rocblas_complex_numIfEPS3_EEviiT0_iilPT_
		.amdhsa_group_segment_fixed_size 0
		.amdhsa_private_segment_fixed_size 0
		.amdhsa_kernarg_size 296
		.amdhsa_user_sgpr_count 13
		.amdhsa_user_sgpr_dispatch_ptr 0
		.amdhsa_user_sgpr_queue_ptr 0
		.amdhsa_user_sgpr_kernarg_segment_ptr 1
		.amdhsa_user_sgpr_dispatch_id 0
		.amdhsa_user_sgpr_private_segment_size 0
		.amdhsa_wavefront_size32 1
		.amdhsa_uses_dynamic_stack 0
		.amdhsa_enable_private_segment 0
		.amdhsa_system_sgpr_workgroup_id_x 1
		.amdhsa_system_sgpr_workgroup_id_y 1
		.amdhsa_system_sgpr_workgroup_id_z 1
		.amdhsa_system_sgpr_workgroup_info 0
		.amdhsa_system_vgpr_workitem_id 1
		.amdhsa_next_free_vgpr 8
		.amdhsa_next_free_sgpr 16
		.amdhsa_reserve_vcc 1
		.amdhsa_float_round_mode_32 0
		.amdhsa_float_round_mode_16_64 0
		.amdhsa_float_denorm_mode_32 3
		.amdhsa_float_denorm_mode_16_64 3
		.amdhsa_dx10_clamp 1
		.amdhsa_ieee_mode 1
		.amdhsa_fp16_overflow 0
		.amdhsa_workgroup_processor_mode 1
		.amdhsa_memory_ordered 1
		.amdhsa_forward_progress 0
		.amdhsa_shared_vgpr_count 0
		.amdhsa_exception_fp_ieee_invalid_op 0
		.amdhsa_exception_fp_denorm_src 0
		.amdhsa_exception_fp_ieee_div_zero 0
		.amdhsa_exception_fp_ieee_overflow 0
		.amdhsa_exception_fp_ieee_underflow 0
		.amdhsa_exception_fp_ieee_inexact 0
		.amdhsa_exception_int_div_zero 0
	.end_amdhsa_kernel
	.section	.text._ZN9rocsolver6v33100L9copymatA1I19rocblas_complex_numIfEPS3_EEviiT0_iilPT_,"axG",@progbits,_ZN9rocsolver6v33100L9copymatA1I19rocblas_complex_numIfEPS3_EEviiT0_iilPT_,comdat
.Lfunc_end109:
	.size	_ZN9rocsolver6v33100L9copymatA1I19rocblas_complex_numIfEPS3_EEviiT0_iilPT_, .Lfunc_end109-_ZN9rocsolver6v33100L9copymatA1I19rocblas_complex_numIfEPS3_EEviiT0_iilPT_
                                        ; -- End function
	.section	.AMDGPU.csdata,"",@progbits
; Kernel info:
; codeLenInByte = 320
; NumSgprs: 18
; NumVgprs: 8
; ScratchSize: 0
; MemoryBound: 0
; FloatMode: 240
; IeeeMode: 1
; LDSByteSize: 0 bytes/workgroup (compile time only)
; SGPRBlocks: 2
; VGPRBlocks: 0
; NumSGPRsForWavesPerEU: 18
; NumVGPRsForWavesPerEU: 8
; Occupancy: 16
; WaveLimiterHint : 0
; COMPUTE_PGM_RSRC2:SCRATCH_EN: 0
; COMPUTE_PGM_RSRC2:USER_SGPR: 13
; COMPUTE_PGM_RSRC2:TRAP_HANDLER: 0
; COMPUTE_PGM_RSRC2:TGID_X_EN: 1
; COMPUTE_PGM_RSRC2:TGID_Y_EN: 1
; COMPUTE_PGM_RSRC2:TGID_Z_EN: 1
; COMPUTE_PGM_RSRC2:TIDIG_COMP_CNT: 1
	.section	.text._ZN9rocsolver6v33100L8addmatA1I19rocblas_complex_numIfEPS3_EEviiT0_iilPT_,"axG",@progbits,_ZN9rocsolver6v33100L8addmatA1I19rocblas_complex_numIfEPS3_EEviiT0_iilPT_,comdat
	.globl	_ZN9rocsolver6v33100L8addmatA1I19rocblas_complex_numIfEPS3_EEviiT0_iilPT_ ; -- Begin function _ZN9rocsolver6v33100L8addmatA1I19rocblas_complex_numIfEPS3_EEviiT0_iilPT_
	.p2align	8
	.type	_ZN9rocsolver6v33100L8addmatA1I19rocblas_complex_numIfEPS3_EEviiT0_iilPT_,@function
_ZN9rocsolver6v33100L8addmatA1I19rocblas_complex_numIfEPS3_EEviiT0_iilPT_: ; @_ZN9rocsolver6v33100L8addmatA1I19rocblas_complex_numIfEPS3_EEviiT0_iilPT_
; %bb.0:
	s_clause 0x1
	s_load_b32 s2, s[0:1], 0x34
	s_load_b64 s[8:9], s[0:1], 0x0
	v_bfe_u32 v2, v0, 10, 10
	v_and_b32_e32 v3, 0x3ff, v0
	s_waitcnt lgkmcnt(0)
	s_lshr_b32 s3, s2, 16
	s_and_b32 s2, s2, 0xffff
	s_delay_alu instid0(VALU_DEP_1) | instskip(SKIP_1) | instid1(VALU_DEP_2)
	v_mad_u64_u32 v[0:1], null, s14, s3, v[2:3]
	v_mad_u64_u32 v[1:2], null, s13, s2, v[3:4]
	v_cmp_gt_u32_e32 vcc_lo, s8, v0
	s_delay_alu instid0(VALU_DEP_2) | instskip(NEXT) | instid1(VALU_DEP_1)
	v_cmp_gt_u32_e64 s2, s9, v1
	s_and_b32 s2, s2, vcc_lo
	s_delay_alu instid0(SALU_CYCLE_1)
	s_and_saveexec_b32 s3, s2
	s_cbranch_execz .LBB110_2
; %bb.1:
	s_load_b256 s[0:7], s[0:1], 0x8
	s_ashr_i32 s10, s8, 31
	s_ashr_i32 s11, s9, 31
	s_mul_hi_u32 s12, s8, s15
	s_mul_i32 s13, s8, s15
	s_mul_i32 s10, s10, s15
	;; [unrolled: 1-line block ×3, first 2 shown]
	s_mul_hi_u32 s14, s13, s9
	s_add_i32 s10, s12, s10
	s_add_i32 s11, s14, s11
	s_mul_i32 s12, s10, s9
	v_mad_u64_u32 v[2:3], null, v1, s8, v[0:1]
	v_mov_b32_e32 v3, 0
	s_mul_i32 s10, s13, s9
	s_add_i32 s11, s11, s12
	s_delay_alu instid0(SALU_CYCLE_1)
	s_lshl_b64 s[8:9], s[10:11], 3
	s_waitcnt lgkmcnt(0)
	v_mad_u64_u32 v[4:5], null, v1, s3, v[0:1]
	s_add_u32 s8, s6, s8
	s_mul_i32 s5, s15, s5
	s_mul_hi_u32 s6, s15, s4
	v_mov_b32_e32 v5, v3
	s_mul_i32 s4, s15, s4
	s_addc_u32 s9, s7, s9
	s_add_i32 s5, s6, s5
	v_lshlrev_b64 v[0:1], 3, v[2:3]
	s_lshl_b64 s[4:5], s[4:5], 3
	s_mov_b32 s6, s2
	s_ashr_i32 s7, s2, 31
	v_lshlrev_b64 v[2:3], 3, v[4:5]
	s_add_u32 s2, s0, s4
	s_addc_u32 s3, s1, s5
	s_lshl_b64 s[0:1], s[6:7], 3
	v_add_co_u32 v0, vcc_lo, s8, v0
	s_add_u32 s0, s2, s0
	v_add_co_ci_u32_e32 v1, vcc_lo, s9, v1, vcc_lo
	s_addc_u32 s1, s3, s1
	v_add_co_u32 v2, vcc_lo, s0, v2
	v_add_co_ci_u32_e32 v3, vcc_lo, s1, v3, vcc_lo
	global_load_b64 v[0:1], v[0:1], off
	global_load_b64 v[4:5], v[2:3], off
	s_waitcnt vmcnt(0)
	v_dual_sub_f32 v0, v4, v0 :: v_dual_sub_f32 v1, v5, v1
	global_store_b64 v[2:3], v[0:1], off
.LBB110_2:
	s_nop 0
	s_sendmsg sendmsg(MSG_DEALLOC_VGPRS)
	s_endpgm
	.section	.rodata,"a",@progbits
	.p2align	6, 0x0
	.amdhsa_kernel _ZN9rocsolver6v33100L8addmatA1I19rocblas_complex_numIfEPS3_EEviiT0_iilPT_
		.amdhsa_group_segment_fixed_size 0
		.amdhsa_private_segment_fixed_size 0
		.amdhsa_kernarg_size 296
		.amdhsa_user_sgpr_count 13
		.amdhsa_user_sgpr_dispatch_ptr 0
		.amdhsa_user_sgpr_queue_ptr 0
		.amdhsa_user_sgpr_kernarg_segment_ptr 1
		.amdhsa_user_sgpr_dispatch_id 0
		.amdhsa_user_sgpr_private_segment_size 0
		.amdhsa_wavefront_size32 1
		.amdhsa_uses_dynamic_stack 0
		.amdhsa_enable_private_segment 0
		.amdhsa_system_sgpr_workgroup_id_x 1
		.amdhsa_system_sgpr_workgroup_id_y 1
		.amdhsa_system_sgpr_workgroup_id_z 1
		.amdhsa_system_sgpr_workgroup_info 0
		.amdhsa_system_vgpr_workitem_id 1
		.amdhsa_next_free_vgpr 6
		.amdhsa_next_free_sgpr 16
		.amdhsa_reserve_vcc 1
		.amdhsa_float_round_mode_32 0
		.amdhsa_float_round_mode_16_64 0
		.amdhsa_float_denorm_mode_32 3
		.amdhsa_float_denorm_mode_16_64 3
		.amdhsa_dx10_clamp 1
		.amdhsa_ieee_mode 1
		.amdhsa_fp16_overflow 0
		.amdhsa_workgroup_processor_mode 1
		.amdhsa_memory_ordered 1
		.amdhsa_forward_progress 0
		.amdhsa_shared_vgpr_count 0
		.amdhsa_exception_fp_ieee_invalid_op 0
		.amdhsa_exception_fp_denorm_src 0
		.amdhsa_exception_fp_ieee_div_zero 0
		.amdhsa_exception_fp_ieee_overflow 0
		.amdhsa_exception_fp_ieee_underflow 0
		.amdhsa_exception_fp_ieee_inexact 0
		.amdhsa_exception_int_div_zero 0
	.end_amdhsa_kernel
	.section	.text._ZN9rocsolver6v33100L8addmatA1I19rocblas_complex_numIfEPS3_EEviiT0_iilPT_,"axG",@progbits,_ZN9rocsolver6v33100L8addmatA1I19rocblas_complex_numIfEPS3_EEviiT0_iilPT_,comdat
.Lfunc_end110:
	.size	_ZN9rocsolver6v33100L8addmatA1I19rocblas_complex_numIfEPS3_EEviiT0_iilPT_, .Lfunc_end110-_ZN9rocsolver6v33100L8addmatA1I19rocblas_complex_numIfEPS3_EEviiT0_iilPT_
                                        ; -- End function
	.section	.AMDGPU.csdata,"",@progbits
; Kernel info:
; codeLenInByte = 340
; NumSgprs: 18
; NumVgprs: 6
; ScratchSize: 0
; MemoryBound: 0
; FloatMode: 240
; IeeeMode: 1
; LDSByteSize: 0 bytes/workgroup (compile time only)
; SGPRBlocks: 2
; VGPRBlocks: 0
; NumSGPRsForWavesPerEU: 18
; NumVGPRsForWavesPerEU: 6
; Occupancy: 16
; WaveLimiterHint : 0
; COMPUTE_PGM_RSRC2:SCRATCH_EN: 0
; COMPUTE_PGM_RSRC2:USER_SGPR: 13
; COMPUTE_PGM_RSRC2:TRAP_HANDLER: 0
; COMPUTE_PGM_RSRC2:TGID_X_EN: 1
; COMPUTE_PGM_RSRC2:TGID_Y_EN: 1
; COMPUTE_PGM_RSRC2:TGID_Z_EN: 1
; COMPUTE_PGM_RSRC2:TIDIG_COMP_CNT: 1
	.section	.text._ZN9rocsolver6v33100L15gesvdj_finalizeI19rocblas_complex_numIfEfEEviPT0_lPT_ilS7_il,"axG",@progbits,_ZN9rocsolver6v33100L15gesvdj_finalizeI19rocblas_complex_numIfEfEEviPT0_lPT_ilS7_il,comdat
	.globl	_ZN9rocsolver6v33100L15gesvdj_finalizeI19rocblas_complex_numIfEfEEviPT0_lPT_ilS7_il ; -- Begin function _ZN9rocsolver6v33100L15gesvdj_finalizeI19rocblas_complex_numIfEfEEviPT0_lPT_ilS7_il
	.p2align	8
	.type	_ZN9rocsolver6v33100L15gesvdj_finalizeI19rocblas_complex_numIfEfEEviPT0_lPT_ilS7_il,@function
_ZN9rocsolver6v33100L15gesvdj_finalizeI19rocblas_complex_numIfEfEEviPT0_lPT_ilS7_il: ; @_ZN9rocsolver6v33100L15gesvdj_finalizeI19rocblas_complex_numIfEfEEviPT0_lPT_ilS7_il
; %bb.0:
	s_clause 0x1
	s_load_b32 s2, s[0:1], 0x54
	s_load_b32 s8, s[0:1], 0x0
	s_mov_b32 s3, exec_lo
	s_waitcnt lgkmcnt(0)
	s_and_b32 s2, s2, 0xffff
	s_delay_alu instid0(SALU_CYCLE_1) | instskip(SKIP_1) | instid1(VALU_DEP_1)
	v_mad_u64_u32 v[1:2], null, s14, s2, v[0:1]
	s_mov_b32 s2, 0
	v_max_i32_e32 v0, 0, v1
	s_delay_alu instid0(VALU_DEP_1)
	v_cmpx_gt_i32_e64 s8, v0
	s_cbranch_execz .LBB111_7
; %bb.1:
	s_clause 0x5
	s_load_b128 s[16:19], s[0:1], 0x8
	s_load_b128 s[4:7], s[0:1], 0x28
	s_load_b64 s[12:13], s[0:1], 0x40
	s_load_b32 s3, s[0:1], 0x20
	s_load_b32 s9, s[0:1], 0x38
	s_load_b64 s[10:11], s[0:1], 0x18
	s_ashr_i32 s14, s15, 31
	v_mov_b32_e32 v0, 0
	s_waitcnt lgkmcnt(0)
	s_mul_i32 s1, s15, s19
	s_mul_hi_u32 s19, s15, s18
	s_mul_i32 s20, s14, s18
	s_add_i32 s1, s19, s1
	s_mul_i32 s0, s15, s18
	s_add_i32 s1, s1, s20
	s_mul_i32 s21, s15, s5
	s_lshl_b64 s[0:1], s[0:1], 2
	s_mul_hi_u32 s19, s15, s4
	s_mul_i32 s20, s14, s4
	s_mul_i32 s18, s15, s4
	s_add_u32 s4, s16, s0
	s_addc_u32 s5, s17, s1
	s_add_i32 s0, s19, s21
	s_mul_i32 s13, s15, s13
	s_add_i32 s19, s0, s20
	s_mul_hi_u32 s0, s15, s12
	s_lshl_b64 s[16:17], s[18:19], 3
	s_mul_i32 s14, s14, s12
	s_add_u32 s1, s10, s16
	s_addc_u32 s10, s11, s17
	s_add_i32 s0, s0, s13
	s_mul_i32 s12, s15, s12
	s_add_i32 s13, s0, s14
	v_cmp_eq_u32_e64 s0, 0, v1
	s_lshl_b64 s[12:13], s[12:13], 3
	s_delay_alu instid0(SALU_CYCLE_1)
	s_add_u32 s6, s6, s12
	s_addc_u32 s7, s7, s13
	s_add_i32 s11, s3, 1
	s_set_inst_prefetch_distance 0x1
	s_branch .LBB111_3
	.p2align	6
.LBB111_2:                              ;   in Loop: Header=BB111_3 Depth=1
	s_add_i32 s8, s8, -1
	v_add_nc_u32_e32 v1, s9, v1
	s_add_i32 s2, s2, s11
	s_add_u32 s4, s4, 4
	s_addc_u32 s5, s5, 0
	s_cmp_lg_u32 s8, 0
	s_cbranch_scc0 .LBB111_7
.LBB111_3:                              ; =>This Inner Loop Header: Depth=1
	s_ashr_i32 s3, s2, 31
	s_delay_alu instid0(SALU_CYCLE_1) | instskip(NEXT) | instid1(SALU_CYCLE_1)
	s_lshl_b64 s[12:13], s[2:3], 3
	s_add_u32 s12, s1, s12
	s_addc_u32 s13, s10, s13
	global_load_b32 v2, v0, s[12:13]
	s_and_saveexec_b32 s3, s0
	s_cbranch_execz .LBB111_5
; %bb.4:                                ;   in Loop: Header=BB111_3 Depth=1
	s_waitcnt vmcnt(0)
	v_and_b32_e32 v3, 0x7fffffff, v2
	global_store_b32 v0, v3, s[4:5]
.LBB111_5:                              ;   in Loop: Header=BB111_3 Depth=1
	s_or_b32 exec_lo, exec_lo, s3
	s_waitcnt vmcnt(0)
	v_cmp_ngt_f32_e32 vcc_lo, 0, v2
	s_cbranch_vccnz .LBB111_2
; %bb.6:                                ;   in Loop: Header=BB111_3 Depth=1
	v_ashrrev_i32_e32 v2, 31, v1
	s_delay_alu instid0(VALU_DEP_1) | instskip(NEXT) | instid1(VALU_DEP_1)
	v_lshlrev_b64 v[2:3], 3, v[1:2]
	v_add_co_u32 v2, vcc_lo, s6, v2
	s_delay_alu instid0(VALU_DEP_2)
	v_add_co_ci_u32_e32 v3, vcc_lo, s7, v3, vcc_lo
	global_load_b64 v[4:5], v[2:3], off
	s_waitcnt vmcnt(0)
	v_xor_b32_e32 v4, 0x80000000, v4
	v_xor_b32_e32 v5, 0x80000000, v5
	global_store_b64 v[2:3], v[4:5], off
	s_branch .LBB111_2
.LBB111_7:
	s_set_inst_prefetch_distance 0x2
	s_nop 0
	s_sendmsg sendmsg(MSG_DEALLOC_VGPRS)
	s_endpgm
	.section	.rodata,"a",@progbits
	.p2align	6, 0x0
	.amdhsa_kernel _ZN9rocsolver6v33100L15gesvdj_finalizeI19rocblas_complex_numIfEfEEviPT0_lPT_ilS7_il
		.amdhsa_group_segment_fixed_size 0
		.amdhsa_private_segment_fixed_size 0
		.amdhsa_kernarg_size 328
		.amdhsa_user_sgpr_count 14
		.amdhsa_user_sgpr_dispatch_ptr 0
		.amdhsa_user_sgpr_queue_ptr 0
		.amdhsa_user_sgpr_kernarg_segment_ptr 1
		.amdhsa_user_sgpr_dispatch_id 0
		.amdhsa_user_sgpr_private_segment_size 0
		.amdhsa_wavefront_size32 1
		.amdhsa_uses_dynamic_stack 0
		.amdhsa_enable_private_segment 0
		.amdhsa_system_sgpr_workgroup_id_x 1
		.amdhsa_system_sgpr_workgroup_id_y 1
		.amdhsa_system_sgpr_workgroup_id_z 0
		.amdhsa_system_sgpr_workgroup_info 0
		.amdhsa_system_vgpr_workitem_id 0
		.amdhsa_next_free_vgpr 6
		.amdhsa_next_free_sgpr 22
		.amdhsa_reserve_vcc 1
		.amdhsa_float_round_mode_32 0
		.amdhsa_float_round_mode_16_64 0
		.amdhsa_float_denorm_mode_32 3
		.amdhsa_float_denorm_mode_16_64 3
		.amdhsa_dx10_clamp 1
		.amdhsa_ieee_mode 1
		.amdhsa_fp16_overflow 0
		.amdhsa_workgroup_processor_mode 1
		.amdhsa_memory_ordered 1
		.amdhsa_forward_progress 0
		.amdhsa_shared_vgpr_count 0
		.amdhsa_exception_fp_ieee_invalid_op 0
		.amdhsa_exception_fp_denorm_src 0
		.amdhsa_exception_fp_ieee_div_zero 0
		.amdhsa_exception_fp_ieee_overflow 0
		.amdhsa_exception_fp_ieee_underflow 0
		.amdhsa_exception_fp_ieee_inexact 0
		.amdhsa_exception_int_div_zero 0
	.end_amdhsa_kernel
	.section	.text._ZN9rocsolver6v33100L15gesvdj_finalizeI19rocblas_complex_numIfEfEEviPT0_lPT_ilS7_il,"axG",@progbits,_ZN9rocsolver6v33100L15gesvdj_finalizeI19rocblas_complex_numIfEfEEviPT0_lPT_ilS7_il,comdat
.Lfunc_end111:
	.size	_ZN9rocsolver6v33100L15gesvdj_finalizeI19rocblas_complex_numIfEfEEviPT0_lPT_ilS7_il, .Lfunc_end111-_ZN9rocsolver6v33100L15gesvdj_finalizeI19rocblas_complex_numIfEfEEviPT0_lPT_ilS7_il
                                        ; -- End function
	.section	.AMDGPU.csdata,"",@progbits
; Kernel info:
; codeLenInByte = 456
; NumSgprs: 24
; NumVgprs: 6
; ScratchSize: 0
; MemoryBound: 0
; FloatMode: 240
; IeeeMode: 1
; LDSByteSize: 0 bytes/workgroup (compile time only)
; SGPRBlocks: 2
; VGPRBlocks: 0
; NumSGPRsForWavesPerEU: 24
; NumVGPRsForWavesPerEU: 6
; Occupancy: 16
; WaveLimiterHint : 0
; COMPUTE_PGM_RSRC2:SCRATCH_EN: 0
; COMPUTE_PGM_RSRC2:USER_SGPR: 14
; COMPUTE_PGM_RSRC2:TRAP_HANDLER: 0
; COMPUTE_PGM_RSRC2:TGID_X_EN: 1
; COMPUTE_PGM_RSRC2:TGID_Y_EN: 1
; COMPUTE_PGM_RSRC2:TGID_Z_EN: 0
; COMPUTE_PGM_RSRC2:TIDIG_COMP_CNT: 0
	.section	.text._ZN9rocsolver6v33100L16org2r_init_identI19rocblas_complex_numIfEPS3_EEviiiT0_iil,"axG",@progbits,_ZN9rocsolver6v33100L16org2r_init_identI19rocblas_complex_numIfEPS3_EEviiiT0_iil,comdat
	.globl	_ZN9rocsolver6v33100L16org2r_init_identI19rocblas_complex_numIfEPS3_EEviiiT0_iil ; -- Begin function _ZN9rocsolver6v33100L16org2r_init_identI19rocblas_complex_numIfEPS3_EEviiiT0_iil
	.p2align	8
	.type	_ZN9rocsolver6v33100L16org2r_init_identI19rocblas_complex_numIfEPS3_EEviiiT0_iil,@function
_ZN9rocsolver6v33100L16org2r_init_identI19rocblas_complex_numIfEPS3_EEviiiT0_iil: ; @_ZN9rocsolver6v33100L16org2r_init_identI19rocblas_complex_numIfEPS3_EEviiiT0_iil
; %bb.0:
	s_clause 0x1
	s_load_b32 s2, s[0:1], 0x34
	s_load_b128 s[4:7], s[0:1], 0x0
	v_and_b32_e32 v1, 0x3ff, v0
	v_bfe_u32 v0, v0, 10, 10
	s_waitcnt lgkmcnt(0)
	s_lshr_b32 s3, s2, 16
	s_and_b32 s2, s2, 0xffff
	s_delay_alu instid0(SALU_CYCLE_1) | instskip(SKIP_1) | instid1(VALU_DEP_2)
	v_mad_u64_u32 v[4:5], null, s13, s2, v[1:2]
	v_mad_u64_u32 v[2:3], null, s14, s3, v[0:1]
	v_cmp_gt_u32_e32 vcc_lo, s4, v4
	s_delay_alu instid0(VALU_DEP_2) | instskip(NEXT) | instid1(VALU_DEP_1)
	v_cmp_gt_u32_e64 s2, s5, v2
	s_and_b32 s2, vcc_lo, s2
	s_delay_alu instid0(SALU_CYCLE_1)
	s_and_saveexec_b32 s3, s2
	s_cbranch_execz .LBB112_5
; %bb.1:
	s_clause 0x1
	s_load_b64 s[4:5], s[0:1], 0x20
	s_load_b128 s[0:3], s[0:1], 0x10
                                        ; implicit-def: $vgpr0_vgpr1
	s_waitcnt lgkmcnt(0)
	s_mul_i32 s5, s15, s5
	s_mul_hi_u32 s7, s15, s4
	s_mul_i32 s4, s15, s4
	s_add_i32 s5, s7, s5
	s_ashr_i32 s9, s2, 31
	s_lshl_b64 s[4:5], s[4:5], 3
	s_mov_b32 s8, s2
	s_add_u32 s2, s0, s4
	s_addc_u32 s4, s1, s5
	s_lshl_b64 s[0:1], s[8:9], 3
	s_delay_alu instid0(SALU_CYCLE_1)
	s_add_u32 s0, s2, s0
	s_addc_u32 s1, s4, s1
	s_mov_b32 s4, 0
	s_mov_b32 s2, exec_lo
	v_cmpx_ne_u32_e64 v4, v2
	s_xor_b32 s2, exec_lo, s2
	s_cbranch_execnz .LBB112_6
; %bb.2:
	s_and_not1_saveexec_b32 s2, s2
	s_cbranch_execnz .LBB112_13
.LBB112_3:
	s_or_b32 exec_lo, exec_lo, s2
	s_delay_alu instid0(SALU_CYCLE_1)
	s_and_b32 exec_lo, exec_lo, s4
	s_cbranch_execz .LBB112_5
.LBB112_4:
	v_mov_b32_e32 v2, 0
	global_store_b32 v[0:1], v2, off
.LBB112_5:
	s_nop 0
	s_sendmsg sendmsg(MSG_DEALLOC_VGPRS)
	s_endpgm
.LBB112_6:
	s_mov_b32 s5, exec_lo
                                        ; implicit-def: $vgpr0_vgpr1
	v_cmpx_le_u32_e64 v2, v4
	s_xor_b32 s5, exec_lo, s5
	s_cbranch_execz .LBB112_10
; %bb.7:
	v_cmp_le_u32_e32 vcc_lo, s6, v2
                                        ; implicit-def: $vgpr0_vgpr1
	s_and_saveexec_b32 s6, vcc_lo
	s_delay_alu instid0(SALU_CYCLE_1)
	s_xor_b32 s6, exec_lo, s6
	s_cbranch_execz .LBB112_9
; %bb.8:
	v_mad_u64_u32 v[5:6], null, v2, s3, v[4:5]
	v_mov_b32_e32 v6, 0
	s_mov_b32 s4, exec_lo
	s_delay_alu instid0(VALU_DEP_1) | instskip(NEXT) | instid1(VALU_DEP_1)
	v_lshlrev_b64 v[0:1], 3, v[5:6]
	v_add_co_u32 v2, vcc_lo, s0, v0
	s_delay_alu instid0(VALU_DEP_2) | instskip(NEXT) | instid1(VALU_DEP_2)
	v_add_co_ci_u32_e32 v3, vcc_lo, s1, v1, vcc_lo
	v_add_co_u32 v0, vcc_lo, v2, 4
	s_delay_alu instid0(VALU_DEP_2)
	v_add_co_ci_u32_e32 v1, vcc_lo, 0, v3, vcc_lo
	global_store_b32 v[2:3], v6, off
.LBB112_9:
	s_or_b32 exec_lo, exec_lo, s6
	s_delay_alu instid0(SALU_CYCLE_1)
	s_and_b32 s4, s4, exec_lo
                                        ; implicit-def: $vgpr4_vgpr5
                                        ; implicit-def: $vgpr2_vgpr3
.LBB112_10:
	s_and_not1_saveexec_b32 s5, s5
	s_cbranch_execz .LBB112_12
; %bb.11:
	v_mad_u64_u32 v[5:6], null, v2, s3, v[4:5]
	v_mov_b32_e32 v6, 0
	s_or_b32 s4, s4, exec_lo
	s_delay_alu instid0(VALU_DEP_1) | instskip(NEXT) | instid1(VALU_DEP_1)
	v_lshlrev_b64 v[0:1], 3, v[5:6]
	v_add_co_u32 v2, vcc_lo, s0, v0
	s_delay_alu instid0(VALU_DEP_2) | instskip(NEXT) | instid1(VALU_DEP_2)
	v_add_co_ci_u32_e32 v3, vcc_lo, s1, v1, vcc_lo
	v_add_co_u32 v0, vcc_lo, v2, 4
	s_delay_alu instid0(VALU_DEP_2)
	v_add_co_ci_u32_e32 v1, vcc_lo, 0, v3, vcc_lo
	global_store_b32 v[2:3], v6, off
.LBB112_12:
	s_or_b32 exec_lo, exec_lo, s5
	s_delay_alu instid0(SALU_CYCLE_1)
	s_and_b32 s4, s4, exec_lo
                                        ; implicit-def: $vgpr2_vgpr3
	s_and_not1_saveexec_b32 s2, s2
	s_cbranch_execz .LBB112_3
.LBB112_13:
	v_mad_u64_u32 v[0:1], null, v2, s3, v[2:3]
	v_dual_mov_b32 v1, 0 :: v_dual_mov_b32 v4, 1.0
	s_or_b32 s4, s4, exec_lo
	s_delay_alu instid0(VALU_DEP_1) | instskip(NEXT) | instid1(VALU_DEP_1)
	v_lshlrev_b64 v[0:1], 3, v[0:1]
	v_add_co_u32 v2, vcc_lo, s0, v0
	s_delay_alu instid0(VALU_DEP_2) | instskip(NEXT) | instid1(VALU_DEP_2)
	v_add_co_ci_u32_e32 v3, vcc_lo, s1, v1, vcc_lo
	v_add_co_u32 v0, vcc_lo, v2, 4
	s_delay_alu instid0(VALU_DEP_2) | instskip(SKIP_2) | instid1(SALU_CYCLE_1)
	v_add_co_ci_u32_e32 v1, vcc_lo, 0, v3, vcc_lo
	global_store_b32 v[2:3], v4, off
	s_or_b32 exec_lo, exec_lo, s2
	s_and_b32 exec_lo, exec_lo, s4
	s_cbranch_execnz .LBB112_4
	s_branch .LBB112_5
	.section	.rodata,"a",@progbits
	.p2align	6, 0x0
	.amdhsa_kernel _ZN9rocsolver6v33100L16org2r_init_identI19rocblas_complex_numIfEPS3_EEviiiT0_iil
		.amdhsa_group_segment_fixed_size 0
		.amdhsa_private_segment_fixed_size 0
		.amdhsa_kernarg_size 296
		.amdhsa_user_sgpr_count 13
		.amdhsa_user_sgpr_dispatch_ptr 0
		.amdhsa_user_sgpr_queue_ptr 0
		.amdhsa_user_sgpr_kernarg_segment_ptr 1
		.amdhsa_user_sgpr_dispatch_id 0
		.amdhsa_user_sgpr_private_segment_size 0
		.amdhsa_wavefront_size32 1
		.amdhsa_uses_dynamic_stack 0
		.amdhsa_enable_private_segment 0
		.amdhsa_system_sgpr_workgroup_id_x 1
		.amdhsa_system_sgpr_workgroup_id_y 1
		.amdhsa_system_sgpr_workgroup_id_z 1
		.amdhsa_system_sgpr_workgroup_info 0
		.amdhsa_system_vgpr_workitem_id 1
		.amdhsa_next_free_vgpr 7
		.amdhsa_next_free_sgpr 16
		.amdhsa_reserve_vcc 1
		.amdhsa_float_round_mode_32 0
		.amdhsa_float_round_mode_16_64 0
		.amdhsa_float_denorm_mode_32 3
		.amdhsa_float_denorm_mode_16_64 3
		.amdhsa_dx10_clamp 1
		.amdhsa_ieee_mode 1
		.amdhsa_fp16_overflow 0
		.amdhsa_workgroup_processor_mode 1
		.amdhsa_memory_ordered 1
		.amdhsa_forward_progress 0
		.amdhsa_shared_vgpr_count 0
		.amdhsa_exception_fp_ieee_invalid_op 0
		.amdhsa_exception_fp_denorm_src 0
		.amdhsa_exception_fp_ieee_div_zero 0
		.amdhsa_exception_fp_ieee_overflow 0
		.amdhsa_exception_fp_ieee_underflow 0
		.amdhsa_exception_fp_ieee_inexact 0
		.amdhsa_exception_int_div_zero 0
	.end_amdhsa_kernel
	.section	.text._ZN9rocsolver6v33100L16org2r_init_identI19rocblas_complex_numIfEPS3_EEviiiT0_iil,"axG",@progbits,_ZN9rocsolver6v33100L16org2r_init_identI19rocblas_complex_numIfEPS3_EEviiiT0_iil,comdat
.Lfunc_end112:
	.size	_ZN9rocsolver6v33100L16org2r_init_identI19rocblas_complex_numIfEPS3_EEviiiT0_iil, .Lfunc_end112-_ZN9rocsolver6v33100L16org2r_init_identI19rocblas_complex_numIfEPS3_EEviiiT0_iil
                                        ; -- End function
	.section	.AMDGPU.csdata,"",@progbits
; Kernel info:
; codeLenInByte = 556
; NumSgprs: 18
; NumVgprs: 7
; ScratchSize: 0
; MemoryBound: 0
; FloatMode: 240
; IeeeMode: 1
; LDSByteSize: 0 bytes/workgroup (compile time only)
; SGPRBlocks: 2
; VGPRBlocks: 0
; NumSGPRsForWavesPerEU: 18
; NumVGPRsForWavesPerEU: 7
; Occupancy: 16
; WaveLimiterHint : 0
; COMPUTE_PGM_RSRC2:SCRATCH_EN: 0
; COMPUTE_PGM_RSRC2:USER_SGPR: 13
; COMPUTE_PGM_RSRC2:TRAP_HANDLER: 0
; COMPUTE_PGM_RSRC2:TGID_X_EN: 1
; COMPUTE_PGM_RSRC2:TGID_Y_EN: 1
; COMPUTE_PGM_RSRC2:TGID_Z_EN: 1
; COMPUTE_PGM_RSRC2:TIDIG_COMP_CNT: 1
	.section	.text._ZN9rocsolver6v33100L12subtract_tauI19rocblas_complex_numIfEPS3_EEviiT0_iilPT_l,"axG",@progbits,_ZN9rocsolver6v33100L12subtract_tauI19rocblas_complex_numIfEPS3_EEviiT0_iilPT_l,comdat
	.globl	_ZN9rocsolver6v33100L12subtract_tauI19rocblas_complex_numIfEPS3_EEviiT0_iilPT_l ; -- Begin function _ZN9rocsolver6v33100L12subtract_tauI19rocblas_complex_numIfEPS3_EEviiT0_iilPT_l
	.p2align	8
	.type	_ZN9rocsolver6v33100L12subtract_tauI19rocblas_complex_numIfEPS3_EEviiT0_iilPT_l,@function
_ZN9rocsolver6v33100L12subtract_tauI19rocblas_complex_numIfEPS3_EEviiT0_iilPT_l: ; @_ZN9rocsolver6v33100L12subtract_tauI19rocblas_complex_numIfEPS3_EEviiT0_iilPT_l
; %bb.0:
	s_clause 0x3
	s_load_b64 s[8:9], s[0:1], 0x10
	s_load_b128 s[4:7], s[0:1], 0x18
	s_load_b64 s[10:11], s[0:1], 0x28
	s_load_b128 s[0:3], s[0:1], 0x0
	s_waitcnt lgkmcnt(0)
	s_ashr_i32 s13, s8, 31
	s_mov_b32 s12, s8
	s_mul_i32 s5, s15, s5
	s_mul_hi_u32 s8, s15, s4
	s_mul_i32 s4, s15, s4
	s_add_i32 s5, s8, s5
	s_mul_i32 s8, s15, s11
	s_lshl_b64 s[4:5], s[4:5], 3
	s_mul_hi_u32 s11, s15, s10
	s_add_u32 s14, s2, s4
	s_addc_u32 s5, s3, s5
	s_lshl_b64 s[2:3], s[12:13], 3
	s_mul_i32 s4, s15, s10
	s_add_u32 s10, s14, s2
	s_addc_u32 s12, s5, s3
	s_add_i32 s5, s11, s8
	s_mul_i32 s1, s9, s1
	s_lshl_b64 s[2:3], s[4:5], 3
	s_delay_alu instid0(SALU_CYCLE_1) | instskip(SKIP_4) | instid1(SALU_CYCLE_1)
	s_add_u32 s2, s6, s2
	s_addc_u32 s3, s7, s3
	s_add_i32 s0, s1, s0
	s_load_b64 s[4:5], s[2:3], 0x0
	s_ashr_i32 s1, s0, 31
	s_lshl_b64 s[0:1], s[0:1], 3
	s_waitcnt lgkmcnt(0)
	s_xor_b32 s6, s4, 0x80000000
	s_xor_b32 s5, s5, 0x80000000
	s_delay_alu instid0(SALU_CYCLE_1)
	v_dual_mov_b32 v2, 0 :: v_dual_mov_b32 v1, s5
	v_mov_b32_e32 v0, s6
	s_add_u32 s0, s10, s0
	s_addc_u32 s1, s12, s1
	global_store_b64 v2, v[0:1], s[2:3]
	v_sub_f32_e64 v0, 1.0, s4
	global_store_b64 v2, v[0:1], s[0:1]
	s_nop 0
	s_sendmsg sendmsg(MSG_DEALLOC_VGPRS)
	s_endpgm
	.section	.rodata,"a",@progbits
	.p2align	6, 0x0
	.amdhsa_kernel _ZN9rocsolver6v33100L12subtract_tauI19rocblas_complex_numIfEPS3_EEviiT0_iilPT_l
		.amdhsa_group_segment_fixed_size 0
		.amdhsa_private_segment_fixed_size 0
		.amdhsa_kernarg_size 48
		.amdhsa_user_sgpr_count 15
		.amdhsa_user_sgpr_dispatch_ptr 0
		.amdhsa_user_sgpr_queue_ptr 0
		.amdhsa_user_sgpr_kernarg_segment_ptr 1
		.amdhsa_user_sgpr_dispatch_id 0
		.amdhsa_user_sgpr_private_segment_size 0
		.amdhsa_wavefront_size32 1
		.amdhsa_uses_dynamic_stack 0
		.amdhsa_enable_private_segment 0
		.amdhsa_system_sgpr_workgroup_id_x 1
		.amdhsa_system_sgpr_workgroup_id_y 0
		.amdhsa_system_sgpr_workgroup_id_z 0
		.amdhsa_system_sgpr_workgroup_info 0
		.amdhsa_system_vgpr_workitem_id 0
		.amdhsa_next_free_vgpr 3
		.amdhsa_next_free_sgpr 16
		.amdhsa_reserve_vcc 0
		.amdhsa_float_round_mode_32 0
		.amdhsa_float_round_mode_16_64 0
		.amdhsa_float_denorm_mode_32 3
		.amdhsa_float_denorm_mode_16_64 3
		.amdhsa_dx10_clamp 1
		.amdhsa_ieee_mode 1
		.amdhsa_fp16_overflow 0
		.amdhsa_workgroup_processor_mode 1
		.amdhsa_memory_ordered 1
		.amdhsa_forward_progress 0
		.amdhsa_shared_vgpr_count 0
		.amdhsa_exception_fp_ieee_invalid_op 0
		.amdhsa_exception_fp_denorm_src 0
		.amdhsa_exception_fp_ieee_div_zero 0
		.amdhsa_exception_fp_ieee_overflow 0
		.amdhsa_exception_fp_ieee_underflow 0
		.amdhsa_exception_fp_ieee_inexact 0
		.amdhsa_exception_int_div_zero 0
	.end_amdhsa_kernel
	.section	.text._ZN9rocsolver6v33100L12subtract_tauI19rocblas_complex_numIfEPS3_EEviiT0_iilPT_l,"axG",@progbits,_ZN9rocsolver6v33100L12subtract_tauI19rocblas_complex_numIfEPS3_EEviiT0_iilPT_l,comdat
.Lfunc_end113:
	.size	_ZN9rocsolver6v33100L12subtract_tauI19rocblas_complex_numIfEPS3_EEviiT0_iilPT_l, .Lfunc_end113-_ZN9rocsolver6v33100L12subtract_tauI19rocblas_complex_numIfEPS3_EEviiT0_iilPT_l
                                        ; -- End function
	.section	.AMDGPU.csdata,"",@progbits
; Kernel info:
; codeLenInByte = 224
; NumSgprs: 16
; NumVgprs: 3
; ScratchSize: 0
; MemoryBound: 0
; FloatMode: 240
; IeeeMode: 1
; LDSByteSize: 0 bytes/workgroup (compile time only)
; SGPRBlocks: 1
; VGPRBlocks: 0
; NumSGPRsForWavesPerEU: 16
; NumVGPRsForWavesPerEU: 3
; Occupancy: 16
; WaveLimiterHint : 0
; COMPUTE_PGM_RSRC2:SCRATCH_EN: 0
; COMPUTE_PGM_RSRC2:USER_SGPR: 15
; COMPUTE_PGM_RSRC2:TRAP_HANDLER: 0
; COMPUTE_PGM_RSRC2:TGID_X_EN: 1
; COMPUTE_PGM_RSRC2:TGID_Y_EN: 0
; COMPUTE_PGM_RSRC2:TGID_Z_EN: 0
; COMPUTE_PGM_RSRC2:TIDIG_COMP_CNT: 0
	.section	.text._ZN9rocsolver6v33100L6restauI19rocblas_complex_numIfEEEviPT_l,"axG",@progbits,_ZN9rocsolver6v33100L6restauI19rocblas_complex_numIfEEEviPT_l,comdat
	.globl	_ZN9rocsolver6v33100L6restauI19rocblas_complex_numIfEEEviPT_l ; -- Begin function _ZN9rocsolver6v33100L6restauI19rocblas_complex_numIfEEEviPT_l
	.p2align	8
	.type	_ZN9rocsolver6v33100L6restauI19rocblas_complex_numIfEEEviPT_l,@function
_ZN9rocsolver6v33100L6restauI19rocblas_complex_numIfEEEviPT_l: ; @_ZN9rocsolver6v33100L6restauI19rocblas_complex_numIfEEEviPT_l
; %bb.0:
	s_clause 0x1
	s_load_b32 s2, s[0:1], 0x24
	s_load_b32 s3, s[0:1], 0x0
	s_waitcnt lgkmcnt(0)
	s_and_b32 s2, s2, 0xffff
	s_delay_alu instid0(SALU_CYCLE_1) | instskip(SKIP_1) | instid1(VALU_DEP_1)
	v_mad_u64_u32 v[1:2], null, s14, s2, v[0:1]
	s_mov_b32 s2, exec_lo
	v_cmpx_gt_u32_e64 s3, v1
	s_cbranch_execz .LBB114_2
; %bb.1:
	s_load_b128 s[0:3], s[0:1], 0x8
	v_mov_b32_e32 v2, 0
	s_delay_alu instid0(VALU_DEP_1)
	v_lshlrev_b64 v[0:1], 3, v[1:2]
	s_waitcnt lgkmcnt(0)
	s_mul_i32 s3, s15, s3
	s_mul_hi_u32 s4, s15, s2
	s_mul_i32 s2, s15, s2
	s_add_i32 s3, s4, s3
	s_delay_alu instid0(SALU_CYCLE_1) | instskip(NEXT) | instid1(SALU_CYCLE_1)
	s_lshl_b64 s[2:3], s[2:3], 3
	s_add_u32 s0, s0, s2
	s_addc_u32 s1, s1, s3
	v_add_co_u32 v0, vcc_lo, s0, v0
	v_add_co_ci_u32_e32 v1, vcc_lo, s1, v1, vcc_lo
	global_load_b64 v[2:3], v[0:1], off
	s_waitcnt vmcnt(0)
	v_xor_b32_e32 v2, 0x80000000, v2
	v_xor_b32_e32 v3, 0x80000000, v3
	global_store_b64 v[0:1], v[2:3], off
.LBB114_2:
	s_nop 0
	s_sendmsg sendmsg(MSG_DEALLOC_VGPRS)
	s_endpgm
	.section	.rodata,"a",@progbits
	.p2align	6, 0x0
	.amdhsa_kernel _ZN9rocsolver6v33100L6restauI19rocblas_complex_numIfEEEviPT_l
		.amdhsa_group_segment_fixed_size 0
		.amdhsa_private_segment_fixed_size 0
		.amdhsa_kernarg_size 280
		.amdhsa_user_sgpr_count 14
		.amdhsa_user_sgpr_dispatch_ptr 0
		.amdhsa_user_sgpr_queue_ptr 0
		.amdhsa_user_sgpr_kernarg_segment_ptr 1
		.amdhsa_user_sgpr_dispatch_id 0
		.amdhsa_user_sgpr_private_segment_size 0
		.amdhsa_wavefront_size32 1
		.amdhsa_uses_dynamic_stack 0
		.amdhsa_enable_private_segment 0
		.amdhsa_system_sgpr_workgroup_id_x 1
		.amdhsa_system_sgpr_workgroup_id_y 1
		.amdhsa_system_sgpr_workgroup_id_z 0
		.amdhsa_system_sgpr_workgroup_info 0
		.amdhsa_system_vgpr_workitem_id 0
		.amdhsa_next_free_vgpr 4
		.amdhsa_next_free_sgpr 16
		.amdhsa_reserve_vcc 1
		.amdhsa_float_round_mode_32 0
		.amdhsa_float_round_mode_16_64 0
		.amdhsa_float_denorm_mode_32 3
		.amdhsa_float_denorm_mode_16_64 3
		.amdhsa_dx10_clamp 1
		.amdhsa_ieee_mode 1
		.amdhsa_fp16_overflow 0
		.amdhsa_workgroup_processor_mode 1
		.amdhsa_memory_ordered 1
		.amdhsa_forward_progress 0
		.amdhsa_shared_vgpr_count 0
		.amdhsa_exception_fp_ieee_invalid_op 0
		.amdhsa_exception_fp_denorm_src 0
		.amdhsa_exception_fp_ieee_div_zero 0
		.amdhsa_exception_fp_ieee_overflow 0
		.amdhsa_exception_fp_ieee_underflow 0
		.amdhsa_exception_fp_ieee_inexact 0
		.amdhsa_exception_int_div_zero 0
	.end_amdhsa_kernel
	.section	.text._ZN9rocsolver6v33100L6restauI19rocblas_complex_numIfEEEviPT_l,"axG",@progbits,_ZN9rocsolver6v33100L6restauI19rocblas_complex_numIfEEEviPT_l,comdat
.Lfunc_end114:
	.size	_ZN9rocsolver6v33100L6restauI19rocblas_complex_numIfEEEviPT_l, .Lfunc_end114-_ZN9rocsolver6v33100L6restauI19rocblas_complex_numIfEEEviPT_l
                                        ; -- End function
	.section	.AMDGPU.csdata,"",@progbits
; Kernel info:
; codeLenInByte = 180
; NumSgprs: 18
; NumVgprs: 4
; ScratchSize: 0
; MemoryBound: 0
; FloatMode: 240
; IeeeMode: 1
; LDSByteSize: 0 bytes/workgroup (compile time only)
; SGPRBlocks: 2
; VGPRBlocks: 0
; NumSGPRsForWavesPerEU: 18
; NumVGPRsForWavesPerEU: 4
; Occupancy: 16
; WaveLimiterHint : 0
; COMPUTE_PGM_RSRC2:SCRATCH_EN: 0
; COMPUTE_PGM_RSRC2:USER_SGPR: 14
; COMPUTE_PGM_RSRC2:TRAP_HANDLER: 0
; COMPUTE_PGM_RSRC2:TGID_X_EN: 1
; COMPUTE_PGM_RSRC2:TGID_Y_EN: 1
; COMPUTE_PGM_RSRC2:TGID_Z_EN: 0
; COMPUTE_PGM_RSRC2:TIDIG_COMP_CNT: 0
	.section	.text._ZN9rocsolver6v33100L8set_zeroI19rocblas_complex_numIfEPS3_EEviiT0_iil13rocblas_fill_,"axG",@progbits,_ZN9rocsolver6v33100L8set_zeroI19rocblas_complex_numIfEPS3_EEviiT0_iil13rocblas_fill_,comdat
	.globl	_ZN9rocsolver6v33100L8set_zeroI19rocblas_complex_numIfEPS3_EEviiT0_iil13rocblas_fill_ ; -- Begin function _ZN9rocsolver6v33100L8set_zeroI19rocblas_complex_numIfEPS3_EEviiT0_iil13rocblas_fill_
	.p2align	8
	.type	_ZN9rocsolver6v33100L8set_zeroI19rocblas_complex_numIfEPS3_EEviiT0_iil13rocblas_fill_,@function
_ZN9rocsolver6v33100L8set_zeroI19rocblas_complex_numIfEPS3_EEviiT0_iil13rocblas_fill_: ; @_ZN9rocsolver6v33100L8set_zeroI19rocblas_complex_numIfEPS3_EEviiT0_iil13rocblas_fill_
; %bb.0:
	s_clause 0x1
	s_load_b32 s4, s[0:1], 0x34
	s_load_b64 s[2:3], s[0:1], 0x0
	v_and_b32_e32 v2, 0x3ff, v0
	v_bfe_u32 v3, v0, 10, 10
	s_waitcnt lgkmcnt(0)
	s_lshr_b32 s5, s4, 16
	s_and_b32 s4, s4, 0xffff
	s_delay_alu instid0(VALU_DEP_1) | instid1(SALU_CYCLE_1)
	v_mad_u64_u32 v[0:1], null, s13, s4, v[2:3]
	v_mad_u64_u32 v[1:2], null, s14, s5, v[3:4]
	s_delay_alu instid0(VALU_DEP_2) | instskip(NEXT) | instid1(VALU_DEP_2)
	v_cmp_gt_u32_e32 vcc_lo, s2, v0
	v_cmp_gt_u32_e64 s2, s3, v1
	s_delay_alu instid0(VALU_DEP_1) | instskip(NEXT) | instid1(SALU_CYCLE_1)
	s_and_b32 s2, vcc_lo, s2
	s_and_saveexec_b32 s3, s2
	s_cbranch_execz .LBB115_12
; %bb.1:
	s_load_b32 s3, s[0:1], 0x20
	s_waitcnt lgkmcnt(0)
	s_cmpk_lt_i32 s3, 0x7a
	s_cbranch_scc1 .LBB115_4
; %bb.2:
	s_cmpk_gt_i32 s3, 0x7a
	s_cbranch_scc0 .LBB115_5
; %bb.3:
	s_cmpk_eq_i32 s3, 0x7b
	s_cselect_b32 s2, -1, 0
	s_cbranch_execz .LBB115_6
	s_branch .LBB115_7
.LBB115_4:
	s_mov_b32 s2, 0
	s_cbranch_execnz .LBB115_8
	s_branch .LBB115_10
.LBB115_5:
	s_mov_b32 s2, 0
.LBB115_6:
	v_cmp_gt_u32_e32 vcc_lo, v1, v0
	s_and_not1_b32 s2, s2, exec_lo
	s_and_b32 s4, vcc_lo, exec_lo
	s_delay_alu instid0(SALU_CYCLE_1)
	s_or_b32 s2, s2, s4
.LBB115_7:
	s_branch .LBB115_10
.LBB115_8:
	s_cmpk_eq_i32 s3, 0x79
	s_cbranch_scc0 .LBB115_10
; %bb.9:
	v_cmp_gt_u32_e32 vcc_lo, v0, v1
	s_and_not1_b32 s2, s2, exec_lo
	s_and_b32 s3, vcc_lo, exec_lo
	s_delay_alu instid0(SALU_CYCLE_1)
	s_or_b32 s2, s2, s3
.LBB115_10:
	s_delay_alu instid0(SALU_CYCLE_1)
	s_and_b32 exec_lo, exec_lo, s2
	s_cbranch_execz .LBB115_12
; %bb.11:
	s_clause 0x1
	s_load_b128 s[4:7], s[0:1], 0x8
	s_load_b64 s[0:1], s[0:1], 0x18
	s_waitcnt lgkmcnt(0)
	v_mad_u64_u32 v[2:3], null, v1, s7, v[0:1]
	s_mul_i32 s1, s15, s1
	s_mul_hi_u32 s2, s15, s0
	v_mov_b32_e32 v3, 0
	s_mul_i32 s0, s15, s0
	s_add_i32 s1, s2, s1
	s_ashr_i32 s3, s6, 31
	s_lshl_b64 s[0:1], s[0:1], 3
	s_mov_b32 s2, s6
	v_lshlrev_b64 v[0:1], 3, v[2:3]
	s_add_u32 s4, s4, s0
	s_addc_u32 s5, s5, s1
	s_lshl_b64 s[0:1], s[2:3], 3
	v_mov_b32_e32 v2, v3
	s_add_u32 s0, s4, s0
	s_addc_u32 s1, s5, s1
	v_add_co_u32 v0, vcc_lo, s0, v0
	v_add_co_ci_u32_e32 v1, vcc_lo, s1, v1, vcc_lo
	global_store_b64 v[0:1], v[2:3], off
.LBB115_12:
	s_nop 0
	s_sendmsg sendmsg(MSG_DEALLOC_VGPRS)
	s_endpgm
	.section	.rodata,"a",@progbits
	.p2align	6, 0x0
	.amdhsa_kernel _ZN9rocsolver6v33100L8set_zeroI19rocblas_complex_numIfEPS3_EEviiT0_iil13rocblas_fill_
		.amdhsa_group_segment_fixed_size 0
		.amdhsa_private_segment_fixed_size 0
		.amdhsa_kernarg_size 296
		.amdhsa_user_sgpr_count 13
		.amdhsa_user_sgpr_dispatch_ptr 0
		.amdhsa_user_sgpr_queue_ptr 0
		.amdhsa_user_sgpr_kernarg_segment_ptr 1
		.amdhsa_user_sgpr_dispatch_id 0
		.amdhsa_user_sgpr_private_segment_size 0
		.amdhsa_wavefront_size32 1
		.amdhsa_uses_dynamic_stack 0
		.amdhsa_enable_private_segment 0
		.amdhsa_system_sgpr_workgroup_id_x 1
		.amdhsa_system_sgpr_workgroup_id_y 1
		.amdhsa_system_sgpr_workgroup_id_z 1
		.amdhsa_system_sgpr_workgroup_info 0
		.amdhsa_system_vgpr_workitem_id 1
		.amdhsa_next_free_vgpr 5
		.amdhsa_next_free_sgpr 16
		.amdhsa_reserve_vcc 1
		.amdhsa_float_round_mode_32 0
		.amdhsa_float_round_mode_16_64 0
		.amdhsa_float_denorm_mode_32 3
		.amdhsa_float_denorm_mode_16_64 3
		.amdhsa_dx10_clamp 1
		.amdhsa_ieee_mode 1
		.amdhsa_fp16_overflow 0
		.amdhsa_workgroup_processor_mode 1
		.amdhsa_memory_ordered 1
		.amdhsa_forward_progress 0
		.amdhsa_shared_vgpr_count 0
		.amdhsa_exception_fp_ieee_invalid_op 0
		.amdhsa_exception_fp_denorm_src 0
		.amdhsa_exception_fp_ieee_div_zero 0
		.amdhsa_exception_fp_ieee_overflow 0
		.amdhsa_exception_fp_ieee_underflow 0
		.amdhsa_exception_fp_ieee_inexact 0
		.amdhsa_exception_int_div_zero 0
	.end_amdhsa_kernel
	.section	.text._ZN9rocsolver6v33100L8set_zeroI19rocblas_complex_numIfEPS3_EEviiT0_iil13rocblas_fill_,"axG",@progbits,_ZN9rocsolver6v33100L8set_zeroI19rocblas_complex_numIfEPS3_EEviiT0_iil13rocblas_fill_,comdat
.Lfunc_end115:
	.size	_ZN9rocsolver6v33100L8set_zeroI19rocblas_complex_numIfEPS3_EEviiT0_iil13rocblas_fill_, .Lfunc_end115-_ZN9rocsolver6v33100L8set_zeroI19rocblas_complex_numIfEPS3_EEviiT0_iil13rocblas_fill_
                                        ; -- End function
	.section	.AMDGPU.csdata,"",@progbits
; Kernel info:
; codeLenInByte = 356
; NumSgprs: 18
; NumVgprs: 5
; ScratchSize: 0
; MemoryBound: 0
; FloatMode: 240
; IeeeMode: 1
; LDSByteSize: 0 bytes/workgroup (compile time only)
; SGPRBlocks: 2
; VGPRBlocks: 0
; NumSGPRsForWavesPerEU: 18
; NumVGPRsForWavesPerEU: 5
; Occupancy: 16
; WaveLimiterHint : 0
; COMPUTE_PGM_RSRC2:SCRATCH_EN: 0
; COMPUTE_PGM_RSRC2:USER_SGPR: 13
; COMPUTE_PGM_RSRC2:TRAP_HANDLER: 0
; COMPUTE_PGM_RSRC2:TGID_X_EN: 1
; COMPUTE_PGM_RSRC2:TGID_Y_EN: 1
; COMPUTE_PGM_RSRC2:TGID_Z_EN: 1
; COMPUTE_PGM_RSRC2:TIDIG_COMP_CNT: 1
	.section	.text._ZN9rocsolver6v33100L6iota_nI19rocblas_complex_numIdEEEvPT_jS4_,"axG",@progbits,_ZN9rocsolver6v33100L6iota_nI19rocblas_complex_numIdEEEvPT_jS4_,comdat
	.globl	_ZN9rocsolver6v33100L6iota_nI19rocblas_complex_numIdEEEvPT_jS4_ ; -- Begin function _ZN9rocsolver6v33100L6iota_nI19rocblas_complex_numIdEEEvPT_jS4_
	.p2align	8
	.type	_ZN9rocsolver6v33100L6iota_nI19rocblas_complex_numIdEEEvPT_jS4_,@function
_ZN9rocsolver6v33100L6iota_nI19rocblas_complex_numIdEEEvPT_jS4_: ; @_ZN9rocsolver6v33100L6iota_nI19rocblas_complex_numIdEEEvPT_jS4_
; %bb.0:
	s_load_b32 s2, s[0:1], 0x8
	s_waitcnt lgkmcnt(0)
	v_cmp_gt_u32_e32 vcc_lo, s2, v0
	s_and_saveexec_b32 s2, vcc_lo
	s_cbranch_execz .LBB116_2
; %bb.1:
	v_cvt_f64_u32_e32 v[1:2], v0
	s_clause 0x1
	s_load_b128 s[4:7], s[0:1], 0x10
	s_load_b64 s[0:1], s[0:1], 0x0
	v_lshlrev_b32_e32 v0, 4, v0
	s_waitcnt lgkmcnt(0)
	v_add_f64 v[3:4], s[6:7], 0
	s_delay_alu instid0(VALU_DEP_3)
	v_add_f64 v[1:2], s[4:5], v[1:2]
	global_store_b128 v0, v[1:4], s[0:1]
.LBB116_2:
	s_nop 0
	s_sendmsg sendmsg(MSG_DEALLOC_VGPRS)
	s_endpgm
	.section	.rodata,"a",@progbits
	.p2align	6, 0x0
	.amdhsa_kernel _ZN9rocsolver6v33100L6iota_nI19rocblas_complex_numIdEEEvPT_jS4_
		.amdhsa_group_segment_fixed_size 0
		.amdhsa_private_segment_fixed_size 0
		.amdhsa_kernarg_size 32
		.amdhsa_user_sgpr_count 15
		.amdhsa_user_sgpr_dispatch_ptr 0
		.amdhsa_user_sgpr_queue_ptr 0
		.amdhsa_user_sgpr_kernarg_segment_ptr 1
		.amdhsa_user_sgpr_dispatch_id 0
		.amdhsa_user_sgpr_private_segment_size 0
		.amdhsa_wavefront_size32 1
		.amdhsa_uses_dynamic_stack 0
		.amdhsa_enable_private_segment 0
		.amdhsa_system_sgpr_workgroup_id_x 1
		.amdhsa_system_sgpr_workgroup_id_y 0
		.amdhsa_system_sgpr_workgroup_id_z 0
		.amdhsa_system_sgpr_workgroup_info 0
		.amdhsa_system_vgpr_workitem_id 0
		.amdhsa_next_free_vgpr 5
		.amdhsa_next_free_sgpr 8
		.amdhsa_reserve_vcc 1
		.amdhsa_float_round_mode_32 0
		.amdhsa_float_round_mode_16_64 0
		.amdhsa_float_denorm_mode_32 3
		.amdhsa_float_denorm_mode_16_64 3
		.amdhsa_dx10_clamp 1
		.amdhsa_ieee_mode 1
		.amdhsa_fp16_overflow 0
		.amdhsa_workgroup_processor_mode 1
		.amdhsa_memory_ordered 1
		.amdhsa_forward_progress 0
		.amdhsa_shared_vgpr_count 0
		.amdhsa_exception_fp_ieee_invalid_op 0
		.amdhsa_exception_fp_denorm_src 0
		.amdhsa_exception_fp_ieee_div_zero 0
		.amdhsa_exception_fp_ieee_overflow 0
		.amdhsa_exception_fp_ieee_underflow 0
		.amdhsa_exception_fp_ieee_inexact 0
		.amdhsa_exception_int_div_zero 0
	.end_amdhsa_kernel
	.section	.text._ZN9rocsolver6v33100L6iota_nI19rocblas_complex_numIdEEEvPT_jS4_,"axG",@progbits,_ZN9rocsolver6v33100L6iota_nI19rocblas_complex_numIdEEEvPT_jS4_,comdat
.Lfunc_end116:
	.size	_ZN9rocsolver6v33100L6iota_nI19rocblas_complex_numIdEEEvPT_jS4_, .Lfunc_end116-_ZN9rocsolver6v33100L6iota_nI19rocblas_complex_numIdEEEvPT_jS4_
                                        ; -- End function
	.section	.AMDGPU.csdata,"",@progbits
; Kernel info:
; codeLenInByte = 96
; NumSgprs: 10
; NumVgprs: 5
; ScratchSize: 0
; MemoryBound: 0
; FloatMode: 240
; IeeeMode: 1
; LDSByteSize: 0 bytes/workgroup (compile time only)
; SGPRBlocks: 1
; VGPRBlocks: 0
; NumSGPRsForWavesPerEU: 10
; NumVGPRsForWavesPerEU: 5
; Occupancy: 16
; WaveLimiterHint : 0
; COMPUTE_PGM_RSRC2:SCRATCH_EN: 0
; COMPUTE_PGM_RSRC2:USER_SGPR: 15
; COMPUTE_PGM_RSRC2:TRAP_HANDLER: 0
; COMPUTE_PGM_RSRC2:TGID_X_EN: 1
; COMPUTE_PGM_RSRC2:TGID_Y_EN: 0
; COMPUTE_PGM_RSRC2:TGID_Z_EN: 0
; COMPUTE_PGM_RSRC2:TIDIG_COMP_CNT: 0
	.section	.text._ZN9rocsolver6v33100L16syev_scalar_caseI19rocblas_complex_numIdEdPS3_TnNSt9enable_ifIX18rocblas_is_complexIT_EEiE4typeELi0EEEv14rocblas_evect_T1_lPT0_li,"axG",@progbits,_ZN9rocsolver6v33100L16syev_scalar_caseI19rocblas_complex_numIdEdPS3_TnNSt9enable_ifIX18rocblas_is_complexIT_EEiE4typeELi0EEEv14rocblas_evect_T1_lPT0_li,comdat
	.globl	_ZN9rocsolver6v33100L16syev_scalar_caseI19rocblas_complex_numIdEdPS3_TnNSt9enable_ifIX18rocblas_is_complexIT_EEiE4typeELi0EEEv14rocblas_evect_T1_lPT0_li ; -- Begin function _ZN9rocsolver6v33100L16syev_scalar_caseI19rocblas_complex_numIdEdPS3_TnNSt9enable_ifIX18rocblas_is_complexIT_EEiE4typeELi0EEEv14rocblas_evect_T1_lPT0_li
	.p2align	8
	.type	_ZN9rocsolver6v33100L16syev_scalar_caseI19rocblas_complex_numIdEdPS3_TnNSt9enable_ifIX18rocblas_is_complexIT_EEiE4typeELi0EEEv14rocblas_evect_T1_lPT0_li,@function
_ZN9rocsolver6v33100L16syev_scalar_caseI19rocblas_complex_numIdEdPS3_TnNSt9enable_ifIX18rocblas_is_complexIT_EEiE4typeELi0EEEv14rocblas_evect_T1_lPT0_li: ; @_ZN9rocsolver6v33100L16syev_scalar_caseI19rocblas_complex_numIdEdPS3_TnNSt9enable_ifIX18rocblas_is_complexIT_EEiE4typeELi0EEEv14rocblas_evect_T1_lPT0_li
; %bb.0:
	s_clause 0x1
	s_load_b32 s2, s[0:1], 0x3c
	s_load_b32 s3, s[0:1], 0x28
	s_waitcnt lgkmcnt(0)
	s_and_b32 s2, s2, 0xffff
	s_delay_alu instid0(SALU_CYCLE_1) | instskip(SKIP_1) | instid1(VALU_DEP_1)
	v_mad_u64_u32 v[1:2], null, s15, s2, v[0:1]
	s_mov_b32 s2, exec_lo
	v_cmpx_gt_i32_e64 s3, v1
	s_cbranch_execz .LBB117_3
; %bb.1:
	s_load_b256 s[4:11], s[0:1], 0x8
	v_ashrrev_i32_e32 v0, 31, v1
	s_load_b32 s0, s[0:1], 0x0
	s_waitcnt lgkmcnt(0)
	v_mul_lo_u32 v4, v1, s7
	s_delay_alu instid0(VALU_DEP_2)
	v_mul_lo_u32 v5, v0, s6
	v_mad_u64_u32 v[2:3], null, v1, s6, 0
	v_mul_lo_u32 v8, v1, s11
	v_mul_lo_u32 v0, v0, s10
	v_mad_u64_u32 v[6:7], null, v1, s10, 0
	s_cmpk_lg_i32 s0, 0xd3
	s_delay_alu instid0(VALU_DEP_4) | instskip(NEXT) | instid1(VALU_DEP_2)
	v_add3_u32 v3, v3, v4, v5
	v_add3_u32 v7, v7, v8, v0
	s_delay_alu instid0(VALU_DEP_2) | instskip(NEXT) | instid1(VALU_DEP_2)
	v_lshlrev_b64 v[2:3], 4, v[2:3]
	v_lshlrev_b64 v[0:1], 3, v[6:7]
	s_delay_alu instid0(VALU_DEP_2) | instskip(NEXT) | instid1(VALU_DEP_3)
	v_add_co_u32 v2, vcc_lo, s4, v2
	v_add_co_ci_u32_e32 v3, vcc_lo, s5, v3, vcc_lo
	s_delay_alu instid0(VALU_DEP_3) | instskip(NEXT) | instid1(VALU_DEP_4)
	v_add_co_u32 v0, vcc_lo, s8, v0
	v_add_co_ci_u32_e32 v1, vcc_lo, s9, v1, vcc_lo
	global_load_b64 v[4:5], v[2:3], off
	s_waitcnt vmcnt(0)
	global_store_b64 v[0:1], v[4:5], off
	s_cbranch_scc1 .LBB117_3
; %bb.2:
	v_dual_mov_b32 v4, 0 :: v_dual_mov_b32 v5, 0x3ff00000
	s_delay_alu instid0(VALU_DEP_1)
	v_mov_b32_e32 v6, v4
	v_mov_b32_e32 v7, v4
	global_store_b128 v[2:3], v[4:7], off
.LBB117_3:
	s_nop 0
	s_sendmsg sendmsg(MSG_DEALLOC_VGPRS)
	s_endpgm
	.section	.rodata,"a",@progbits
	.p2align	6, 0x0
	.amdhsa_kernel _ZN9rocsolver6v33100L16syev_scalar_caseI19rocblas_complex_numIdEdPS3_TnNSt9enable_ifIX18rocblas_is_complexIT_EEiE4typeELi0EEEv14rocblas_evect_T1_lPT0_li
		.amdhsa_group_segment_fixed_size 0
		.amdhsa_private_segment_fixed_size 0
		.amdhsa_kernarg_size 304
		.amdhsa_user_sgpr_count 15
		.amdhsa_user_sgpr_dispatch_ptr 0
		.amdhsa_user_sgpr_queue_ptr 0
		.amdhsa_user_sgpr_kernarg_segment_ptr 1
		.amdhsa_user_sgpr_dispatch_id 0
		.amdhsa_user_sgpr_private_segment_size 0
		.amdhsa_wavefront_size32 1
		.amdhsa_uses_dynamic_stack 0
		.amdhsa_enable_private_segment 0
		.amdhsa_system_sgpr_workgroup_id_x 1
		.amdhsa_system_sgpr_workgroup_id_y 0
		.amdhsa_system_sgpr_workgroup_id_z 0
		.amdhsa_system_sgpr_workgroup_info 0
		.amdhsa_system_vgpr_workitem_id 0
		.amdhsa_next_free_vgpr 9
		.amdhsa_next_free_sgpr 16
		.amdhsa_reserve_vcc 1
		.amdhsa_float_round_mode_32 0
		.amdhsa_float_round_mode_16_64 0
		.amdhsa_float_denorm_mode_32 3
		.amdhsa_float_denorm_mode_16_64 3
		.amdhsa_dx10_clamp 1
		.amdhsa_ieee_mode 1
		.amdhsa_fp16_overflow 0
		.amdhsa_workgroup_processor_mode 1
		.amdhsa_memory_ordered 1
		.amdhsa_forward_progress 0
		.amdhsa_shared_vgpr_count 0
		.amdhsa_exception_fp_ieee_invalid_op 0
		.amdhsa_exception_fp_denorm_src 0
		.amdhsa_exception_fp_ieee_div_zero 0
		.amdhsa_exception_fp_ieee_overflow 0
		.amdhsa_exception_fp_ieee_underflow 0
		.amdhsa_exception_fp_ieee_inexact 0
		.amdhsa_exception_int_div_zero 0
	.end_amdhsa_kernel
	.section	.text._ZN9rocsolver6v33100L16syev_scalar_caseI19rocblas_complex_numIdEdPS3_TnNSt9enable_ifIX18rocblas_is_complexIT_EEiE4typeELi0EEEv14rocblas_evect_T1_lPT0_li,"axG",@progbits,_ZN9rocsolver6v33100L16syev_scalar_caseI19rocblas_complex_numIdEdPS3_TnNSt9enable_ifIX18rocblas_is_complexIT_EEiE4typeELi0EEEv14rocblas_evect_T1_lPT0_li,comdat
.Lfunc_end117:
	.size	_ZN9rocsolver6v33100L16syev_scalar_caseI19rocblas_complex_numIdEdPS3_TnNSt9enable_ifIX18rocblas_is_complexIT_EEiE4typeELi0EEEv14rocblas_evect_T1_lPT0_li, .Lfunc_end117-_ZN9rocsolver6v33100L16syev_scalar_caseI19rocblas_complex_numIdEdPS3_TnNSt9enable_ifIX18rocblas_is_complexIT_EEiE4typeELi0EEEv14rocblas_evect_T1_lPT0_li
                                        ; -- End function
	.section	.AMDGPU.csdata,"",@progbits
; Kernel info:
; codeLenInByte = 280
; NumSgprs: 18
; NumVgprs: 9
; ScratchSize: 0
; MemoryBound: 0
; FloatMode: 240
; IeeeMode: 1
; LDSByteSize: 0 bytes/workgroup (compile time only)
; SGPRBlocks: 2
; VGPRBlocks: 1
; NumSGPRsForWavesPerEU: 18
; NumVGPRsForWavesPerEU: 9
; Occupancy: 16
; WaveLimiterHint : 0
; COMPUTE_PGM_RSRC2:SCRATCH_EN: 0
; COMPUTE_PGM_RSRC2:USER_SGPR: 15
; COMPUTE_PGM_RSRC2:TRAP_HANDLER: 0
; COMPUTE_PGM_RSRC2:TGID_X_EN: 1
; COMPUTE_PGM_RSRC2:TGID_Y_EN: 0
; COMPUTE_PGM_RSRC2:TGID_Z_EN: 0
; COMPUTE_PGM_RSRC2:TIDIG_COMP_CNT: 0
	.section	.text._ZN9rocsolver6v33100L18syevj_small_kernelI19rocblas_complex_numIdEdPS3_EEv14rocblas_esort_14rocblas_evect_13rocblas_fill_iT1_iilT0_S9_PS9_iPiSA_lSB_PT_,"axG",@progbits,_ZN9rocsolver6v33100L18syevj_small_kernelI19rocblas_complex_numIdEdPS3_EEv14rocblas_esort_14rocblas_evect_13rocblas_fill_iT1_iilT0_S9_PS9_iPiSA_lSB_PT_,comdat
	.globl	_ZN9rocsolver6v33100L18syevj_small_kernelI19rocblas_complex_numIdEdPS3_EEv14rocblas_esort_14rocblas_evect_13rocblas_fill_iT1_iilT0_S9_PS9_iPiSA_lSB_PT_ ; -- Begin function _ZN9rocsolver6v33100L18syevj_small_kernelI19rocblas_complex_numIdEdPS3_EEv14rocblas_esort_14rocblas_evect_13rocblas_fill_iT1_iilT0_S9_PS9_iPiSA_lSB_PT_
	.p2align	8
	.type	_ZN9rocsolver6v33100L18syevj_small_kernelI19rocblas_complex_numIdEdPS3_EEv14rocblas_esort_14rocblas_evect_13rocblas_fill_iT1_iilT0_S9_PS9_iPiSA_lSB_PT_,@function
_ZN9rocsolver6v33100L18syevj_small_kernelI19rocblas_complex_numIdEdPS3_EEv14rocblas_esort_14rocblas_evect_13rocblas_fill_iT1_iilT0_S9_PS9_iPiSA_lSB_PT_: ; @_ZN9rocsolver6v33100L18syevj_small_kernelI19rocblas_complex_numIdEdPS3_EEv14rocblas_esort_14rocblas_evect_13rocblas_fill_iT1_iilT0_S9_PS9_iPiSA_lSB_PT_
; %bb.0:
	s_mov_b32 s46, s15
	s_clause 0x2
	s_load_b256 s[8:15], s[0:1], 0x0
	s_load_b256 s[24:31], s[0:1], 0x20
	s_load_b64 s[48:49], s[0:1], 0x68
	s_ashr_i32 s47, s46, 31
	s_waitcnt lgkmcnt(0)
	s_lshr_b32 s4, s11, 31
	s_ashr_i32 s3, s14, 31
	s_add_i32 s4, s11, s4
	s_mov_b32 s2, s14
	s_and_b32 s14, s4, -2
	s_mul_i32 s5, s46, s25
	s_sub_i32 s57, s11, s14
	s_mul_hi_u32 s6, s46, s24
	s_add_i32 s57, s57, s11
	s_mul_i32 s7, s47, s24
	s_add_i32 s5, s6, s5
	s_lshr_b32 s6, s57, 31
	s_mul_i32 s4, s46, s24
	s_add_i32 s5, s5, s7
	s_add_i32 s6, s57, s6
	s_lshl_b64 s[4:5], s[4:5], 4
	s_ashr_i32 s40, s6, 1
	s_mul_i32 s14, s46, s11
	s_add_u32 s16, s12, s4
	s_addc_u32 s17, s13, s5
	s_lshl_b64 s[6:7], s[2:3], 4
	s_mul_i32 s2, s14, s11
	s_add_u32 s34, s16, s6
	s_addc_u32 s35, s17, s7
	s_ashr_i32 s3, s2, 31
	s_load_b256 s[16:23], s[0:1], 0x48
	s_lshl_b64 s[50:51], s[2:3], 4
	s_delay_alu instid0(SALU_CYCLE_1) | instskip(SKIP_2) | instid1(SALU_CYCLE_1)
	s_add_u32 s42, s48, s50
	s_addc_u32 s43, s49, s51
	s_min_i32 s33, s40, 0x100
	s_abs_i32 s2, s33
	s_ashr_i32 s58, s33, 31
	v_cvt_f32_u32_e32 v1, s2
	s_sub_i32 s14, 0, s2
	s_delay_alu instid0(VALU_DEP_1) | instskip(SKIP_2) | instid1(VALU_DEP_1)
	v_rcp_iflag_f32_e32 v1, v1
	s_waitcnt_depctr 0xfff
	v_mul_f32_e32 v1, 0x4f7ffffe, v1
	v_cvt_u32_f32_e32 v1, v1
	s_delay_alu instid0(VALU_DEP_1) | instskip(NEXT) | instid1(VALU_DEP_1)
	v_readfirstlane_b32 s3, v1
	s_mul_i32 s14, s14, s3
	s_delay_alu instid0(SALU_CYCLE_1) | instskip(NEXT) | instid1(SALU_CYCLE_1)
	s_mul_hi_u32 s14, s3, s14
	s_add_i32 s3, s3, s14
	s_delay_alu instid0(SALU_CYCLE_1) | instskip(SKIP_1) | instid1(SALU_CYCLE_1)
	v_mul_hi_u32 v1, v0, s3
	s_lshr_b32 s3, s3, 22
	s_mul_i32 s14, s3, s2
	s_add_i32 s24, s3, 1
	s_sub_i32 s14, 0x400, s14
	s_delay_alu instid0(SALU_CYCLE_1) | instskip(NEXT) | instid1(VALU_DEP_1)
	s_sub_i32 s25, s14, s2
	v_mul_lo_u32 v2, v1, s2
	v_add_nc_u32_e32 v3, 1, v1
	s_cmp_ge_u32 s14, s2
	s_cselect_b32 s3, s24, s3
	s_cselect_b32 s14, s25, s14
	s_add_i32 s24, s3, 1
	s_cmp_ge_u32 s14, s2
	s_delay_alu instid0(VALU_DEP_2) | instskip(NEXT) | instid1(VALU_DEP_1)
	v_sub_nc_u32_e32 v2, v0, v2
	v_subrev_nc_u32_e32 v4, s2, v2
	v_cmp_le_u32_e32 vcc_lo, s2, v2
	s_delay_alu instid0(VALU_DEP_2) | instskip(NEXT) | instid1(VALU_DEP_1)
	v_dual_cndmask_b32 v2, v2, v4 :: v_dual_cndmask_b32 v1, v1, v3
	v_cmp_le_u32_e32 vcc_lo, s2, v2
	s_delay_alu instid0(VALU_DEP_2) | instskip(SKIP_1) | instid1(SALU_CYCLE_1)
	v_add_nc_u32_e32 v3, 1, v1
	s_cselect_b32 s2, s24, s3
	s_xor_b32 s2, s2, s58
	s_delay_alu instid0(VALU_DEP_1) | instskip(SKIP_1) | instid1(SALU_CYCLE_1)
	v_cndmask_b32_e32 v1, v1, v3, vcc_lo
	s_sub_i32 s44, s2, s58
	s_min_i32 s14, s40, s44
	s_delay_alu instid0(VALU_DEP_1) | instskip(SKIP_1) | instid1(SALU_CYCLE_1)
	v_xor_b32_e32 v15, s58, v1
	s_lshl_b32 s52, s14, 3
	s_add_i32 s55, s52, 0
	s_delay_alu instid0(VALU_DEP_1) | instskip(NEXT) | instid1(VALU_DEP_1)
	v_subrev_nc_u32_e32 v13, s58, v15
	v_mul_lo_u32 v30, v13, s33
	s_delay_alu instid0(VALU_DEP_1) | instskip(NEXT) | instid1(VALU_DEP_1)
	v_sub_nc_u32_e32 v31, v0, v30
	v_cmp_eq_u32_e64 s2, 0, v31
	s_delay_alu instid0(VALU_DEP_1)
	s_and_saveexec_b32 s53, s2
	s_cbranch_execz .LBB118_32
; %bb.1:
	v_cmp_gt_i32_e64 s3, s11, v13
	s_cmpk_eq_i32 s10, 0x79
	s_cbranch_scc1 .LBB118_13
; %bb.2:
	v_mov_b32_e32 v16, 0
	v_mov_b32_e32 v17, 0
	s_delay_alu instid0(VALU_DEP_1)
	v_dual_mov_b32 v19, v17 :: v_dual_mov_b32 v18, v16
	s_and_saveexec_b32 s10, s3
	s_cbranch_execz .LBB118_15
; %bb.3:
	v_ashrrev_i32_e32 v14, 31, v13
	s_cmpk_lg_i32 s9, 0xd5
	v_mov_b32_e32 v16, 0
	s_cselect_b32 s54, -1, 0
	s_add_u32 s4, s4, s6
	v_lshlrev_b64 v[1:2], 4, v[13:14]
	s_addc_u32 s5, s5, s7
	s_add_u32 s4, s12, s4
	s_addc_u32 s5, s13, s5
	s_ashr_i32 s41, s40, 31
	s_ashr_i32 s45, s44, 31
	v_add_co_u32 v3, vcc_lo, s4, v1
	v_cmp_lt_i64_e64 s4, s[40:41], s[44:45]
	s_mov_b32 s12, s15
	v_add_co_ci_u32_e32 v4, vcc_lo, s5, v2, vcc_lo
	s_delay_alu instid0(VALU_DEP_3) | instskip(NEXT) | instid1(VALU_DEP_3)
	v_add_co_u32 v20, vcc_lo, v3, 8
	s_and_b32 s4, s4, exec_lo
	s_cselect_b32 s7, s41, s45
	s_cselect_b32 s6, s40, s44
	s_ashr_i32 s13, s15, 31
	s_lshl_b64 s[6:7], s[6:7], 4
	s_lshl_b64 s[12:13], s[12:13], 4
	s_add_u32 s4, s48, s50
	s_addc_u32 s24, s49, s51
	v_mov_b32_e32 v17, 0
	s_add_u32 s41, s4, 8
	v_mul_lo_u32 v32, s15, v13
	v_add_co_ci_u32_e32 v21, vcc_lo, 0, v4, vcc_lo
	v_mul_lo_u32 v22, s11, v13
	s_addc_u32 s45, s24, 0
	v_add_co_u32 v24, vcc_lo, s41, v1
	v_add_co_ci_u32_e32 v25, vcc_lo, s45, v2, vcc_lo
	v_dual_mov_b32 v2, 0x3ff00000 :: v_dual_mov_b32 v1, 0
	v_mov_b32_e32 v14, v13
	v_dual_mov_b32 v19, v17 :: v_dual_mov_b32 v18, v16
	s_ashr_i32 s25, s11, 31
	s_mov_b32 s24, s11
	s_mul_i32 s5, s15, s14
	s_mul_i32 s56, s11, s14
	s_lshl_b64 s[24:25], s[24:25], 4
	s_mov_b32 s36, 0
	s_mov_b32 s59, 0
	s_branch .LBB118_6
.LBB118_4:                              ;   in Loop: Header=BB118_6 Depth=1
	s_or_b32 exec_lo, exec_lo, s61
.LBB118_5:                              ;   in Loop: Header=BB118_6 Depth=1
	s_delay_alu instid0(SALU_CYCLE_1) | instskip(SKIP_4) | instid1(VALU_DEP_3)
	s_or_b32 exec_lo, exec_lo, s60
	v_mul_f64 v[3:4], v[7:8], v[7:8]
	v_add_nc_u32_e32 v14, s14, v14
	v_add_co_u32 v20, vcc_lo, v20, s6
	v_add_co_ci_u32_e32 v21, vcc_lo, s7, v21, vcc_lo
	v_cmp_le_i32_e32 vcc_lo, s11, v14
	v_add_co_u32 v24, s4, v24, s6
	v_add_nc_u32_e32 v32, s5, v32
	v_add_nc_u32_e32 v22, s56, v22
	v_add_co_ci_u32_e64 v25, s4, s7, v25, s4
	s_or_b32 s59, vcc_lo, s59
	v_fma_f64 v[3:4], v[5:6], v[5:6], v[3:4]
	s_delay_alu instid0(VALU_DEP_1)
	v_add_f64 v[18:19], v[18:19], v[3:4]
	s_and_not1_b32 exec_lo, exec_lo, s59
	s_cbranch_execz .LBB118_14
.LBB118_6:                              ; =>This Loop Header: Depth=1
                                        ;     Child Loop BB118_11 Depth 2
	v_mad_u64_u32 v[3:4], null, v14, s15, v[14:15]
	s_delay_alu instid0(VALU_DEP_1) | instskip(NEXT) | instid1(VALU_DEP_1)
	v_ashrrev_i32_e32 v4, 31, v3
	v_lshlrev_b64 v[3:4], 4, v[3:4]
	s_delay_alu instid0(VALU_DEP_1) | instskip(NEXT) | instid1(VALU_DEP_2)
	v_add_co_u32 v9, vcc_lo, s34, v3
	v_add_co_ci_u32_e32 v10, vcc_lo, s35, v4, vcc_lo
	v_mad_u64_u32 v[3:4], null, v14, s11, v[14:15]
	global_load_b128 v[5:8], v[9:10], off
	v_ashrrev_i32_e32 v4, 31, v3
	s_delay_alu instid0(VALU_DEP_1) | instskip(NEXT) | instid1(VALU_DEP_1)
	v_lshlrev_b64 v[3:4], 4, v[3:4]
	v_add_co_u32 v3, vcc_lo, s42, v3
	s_delay_alu instid0(VALU_DEP_2)
	v_add_co_ci_u32_e32 v4, vcc_lo, s43, v4, vcc_lo
	s_and_not1_b32 vcc_lo, exec_lo, s54
	s_waitcnt vmcnt(0)
	global_store_b128 v[3:4], v[5:8], off
	s_cbranch_vccnz .LBB118_8
; %bb.7:                                ;   in Loop: Header=BB118_6 Depth=1
	v_mov_b32_e32 v3, v1
	v_mov_b32_e32 v4, v1
	global_store_b128 v[9:10], v[1:4], off
.LBB118_8:                              ;   in Loop: Header=BB118_6 Depth=1
	s_mov_b32 s60, exec_lo
	v_cmpx_lt_i32_e32 0, v14
	s_cbranch_execz .LBB118_5
; %bb.9:                                ;   in Loop: Header=BB118_6 Depth=1
	v_ashrrev_i32_e32 v23, 31, v22
	v_dual_mov_b32 v3, v24 :: v_dual_mov_b32 v4, v25
	v_dual_mov_b32 v29, v21 :: v_dual_mov_b32 v28, v20
	s_delay_alu instid0(VALU_DEP_3) | instskip(SKIP_2) | instid1(VALU_DEP_1)
	v_lshlrev_b64 v[9:10], 4, v[22:23]
	s_mov_b32 s61, 0
	s_mov_b32 s62, 0
	v_add_co_u32 v26, vcc_lo, s41, v9
	s_delay_alu instid0(VALU_DEP_2)
	v_add_co_ci_u32_e32 v27, vcc_lo, s45, v10, vcc_lo
	s_branch .LBB118_11
.LBB118_10:                             ;   in Loop: Header=BB118_11 Depth=2
	v_mul_f64 v[11:12], v[11:12], v[11:12]
	v_add_co_u32 v28, vcc_lo, v28, s12
	v_add_co_ci_u32_e32 v29, vcc_lo, s13, v29, vcc_lo
	v_add_co_u32 v26, vcc_lo, v26, 16
	s_add_i32 s62, s62, 1
	v_add_co_ci_u32_e32 v27, vcc_lo, 0, v27, vcc_lo
	v_cmp_ge_i32_e32 vcc_lo, s62, v14
	v_add_co_u32 v3, s4, v3, s24
	s_delay_alu instid0(VALU_DEP_1) | instskip(SKIP_2) | instid1(VALU_DEP_1)
	v_add_co_ci_u32_e64 v4, s4, s25, v4, s4
	s_or_b32 s61, vcc_lo, s61
	v_fma_f64 v[9:10], v[9:10], v[9:10], v[11:12]
	v_fma_f64 v[16:17], v[9:10], 2.0, v[16:17]
	s_and_not1_b32 exec_lo, exec_lo, s61
	s_cbranch_execz .LBB118_4
.LBB118_11:                             ;   Parent Loop BB118_6 Depth=1
                                        ; =>  This Inner Loop Header: Depth=2
	global_load_b128 v[9:12], v[28:29], off offset:-8
	s_and_not1_b32 vcc_lo, exec_lo, s54
	s_waitcnt vmcnt(0)
	v_xor_b32_e32 v23, 0x80000000, v12
	v_dual_mov_b32 v36, v12 :: v_dual_mov_b32 v35, v11
	v_dual_mov_b32 v34, v10 :: v_dual_mov_b32 v33, v9
	s_delay_alu instid0(VALU_DEP_3)
	v_mov_b32_e32 v36, v23
	global_store_b128 v[3:4], v[9:12], off offset:-8
	global_store_b128 v[26:27], v[33:36], off offset:-8
	s_cbranch_vccnz .LBB118_10
; %bb.12:                               ;   in Loop: Header=BB118_11 Depth=2
	s_mov_b32 s37, s36
	s_mov_b32 s38, s36
	;; [unrolled: 1-line block ×3, first 2 shown]
	v_add_nc_u32_e32 v33, s62, v32
	s_delay_alu instid0(VALU_DEP_1) | instskip(NEXT) | instid1(VALU_DEP_1)
	v_ashrrev_i32_e32 v34, 31, v33
	v_lshlrev_b64 v[37:38], 4, v[33:34]
	v_dual_mov_b32 v33, s36 :: v_dual_mov_b32 v36, s39
	v_dual_mov_b32 v34, s37 :: v_dual_mov_b32 v35, s38
	s_delay_alu instid0(VALU_DEP_3) | instskip(NEXT) | instid1(VALU_DEP_4)
	v_add_co_u32 v37, vcc_lo, s34, v37
	v_add_co_ci_u32_e32 v38, vcc_lo, s35, v38, vcc_lo
	global_store_b128 v[28:29], v[33:36], off offset:-8
	global_store_b128 v[37:38], v[33:36], off
	s_branch .LBB118_10
.LBB118_13:
                                        ; implicit-def: $vgpr16_vgpr17
                                        ; implicit-def: $vgpr18_vgpr19
	s_branch .LBB118_16
.LBB118_14:
	s_or_b32 exec_lo, exec_lo, s59
.LBB118_15:
	s_delay_alu instid0(SALU_CYCLE_1)
	s_or_b32 exec_lo, exec_lo, s10
	s_cbranch_execnz .LBB118_29
.LBB118_16:
	v_mov_b32_e32 v16, 0
	v_mov_b32_e32 v17, 0
	s_delay_alu instid0(VALU_DEP_1)
	v_dual_mov_b32 v19, v17 :: v_dual_mov_b32 v18, v16
	s_and_saveexec_b32 s12, s3
	s_cbranch_execz .LBB118_28
; %bb.17:
	s_cmpk_lg_i32 s9, 0xd5
	v_mul_lo_u32 v26, s15, v13
	s_cselect_b32 s13, -1, 0
	s_add_i32 s10, s11, -1
	s_add_u32 s3, s48, s50
	v_mad_u64_u32 v[1:2], null, s15, s10, v[15:16]
	v_mad_u64_u32 v[2:3], null, s11, s10, v[15:16]
	v_mov_b32_e32 v16, 0
	v_mov_b32_e32 v17, 0
	v_mad_u64_u32 v[20:21], null, s11, v13, s[10:11]
	v_subrev_nc_u32_e32 v27, s58, v1
	v_mov_b32_e32 v1, 0
	v_subrev_nc_u32_e32 v28, s58, v2
	v_mov_b32_e32 v2, 0x3ff00000
	v_mov_b32_e32 v14, v13
	v_dual_mov_b32 v19, v17 :: v_dual_mov_b32 v18, v16
	s_addc_u32 s4, s49, s51
	s_add_u32 s25, s3, 8
	s_mul_i32 s24, s15, s14
	s_addc_u32 s36, s4, 0
	s_mul_i32 s37, s11, s14
	s_mov_b32 s4, 0
	s_mov_b32 s38, 0
	s_branch .LBB118_20
.LBB118_18:                             ;   in Loop: Header=BB118_20 Depth=1
	s_or_b32 exec_lo, exec_lo, s41
.LBB118_19:                             ;   in Loop: Header=BB118_20 Depth=1
	s_delay_alu instid0(SALU_CYCLE_1)
	s_or_b32 exec_lo, exec_lo, s39
	v_mul_f64 v[3:4], v[7:8], v[7:8]
	v_add_nc_u32_e32 v14, s14, v14
	v_add_nc_u32_e32 v26, s24, v26
	v_add_nc_u32_e32 v27, s14, v27
	v_add_nc_u32_e32 v20, s37, v20
	v_add_nc_u32_e32 v28, s14, v28
	v_cmp_le_i32_e32 vcc_lo, s11, v14
	s_or_b32 s38, vcc_lo, s38
	v_fma_f64 v[3:4], v[5:6], v[5:6], v[3:4]
	s_delay_alu instid0(VALU_DEP_1)
	v_add_f64 v[18:19], v[18:19], v[3:4]
	s_and_not1_b32 exec_lo, exec_lo, s38
	s_cbranch_execz .LBB118_27
.LBB118_20:                             ; =>This Loop Header: Depth=1
                                        ;     Child Loop BB118_25 Depth 2
	v_mad_u64_u32 v[3:4], null, v14, s15, v[14:15]
	s_delay_alu instid0(VALU_DEP_1) | instskip(NEXT) | instid1(VALU_DEP_1)
	v_ashrrev_i32_e32 v4, 31, v3
	v_lshlrev_b64 v[3:4], 4, v[3:4]
	s_delay_alu instid0(VALU_DEP_1) | instskip(NEXT) | instid1(VALU_DEP_2)
	v_add_co_u32 v9, vcc_lo, s34, v3
	v_add_co_ci_u32_e32 v10, vcc_lo, s35, v4, vcc_lo
	v_mad_u64_u32 v[3:4], null, v14, s11, v[14:15]
	global_load_b128 v[5:8], v[9:10], off
	v_ashrrev_i32_e32 v4, 31, v3
	s_delay_alu instid0(VALU_DEP_1) | instskip(NEXT) | instid1(VALU_DEP_1)
	v_lshlrev_b64 v[3:4], 4, v[3:4]
	v_add_co_u32 v3, vcc_lo, s42, v3
	s_delay_alu instid0(VALU_DEP_2)
	v_add_co_ci_u32_e32 v4, vcc_lo, s43, v4, vcc_lo
	s_and_not1_b32 vcc_lo, exec_lo, s13
	s_waitcnt vmcnt(0)
	global_store_b128 v[3:4], v[5:8], off
	s_cbranch_vccnz .LBB118_22
; %bb.21:                               ;   in Loop: Header=BB118_20 Depth=1
	v_mov_b32_e32 v3, v1
	v_mov_b32_e32 v4, v1
	global_store_b128 v[9:10], v[1:4], off
.LBB118_22:                             ;   in Loop: Header=BB118_20 Depth=1
	s_mov_b32 s39, exec_lo
	v_cmpx_gt_i32_e64 s10, v14
	s_cbranch_execz .LBB118_19
; %bb.23:                               ;   in Loop: Header=BB118_20 Depth=1
	v_ashrrev_i32_e32 v21, 31, v20
	v_mov_b32_e32 v3, v28
	v_mov_b32_e32 v23, v27
	s_mov_b32 s41, 0
	s_mov_b32 s45, s10
	v_lshlrev_b64 v[9:10], 4, v[20:21]
	s_delay_alu instid0(VALU_DEP_1) | instskip(NEXT) | instid1(VALU_DEP_2)
	v_add_co_u32 v21, vcc_lo, s25, v9
	v_add_co_ci_u32_e32 v22, vcc_lo, s36, v10, vcc_lo
	s_branch .LBB118_25
.LBB118_24:                             ;   in Loop: Header=BB118_25 Depth=2
	v_mul_f64 v[11:12], v[11:12], v[11:12]
	s_add_i32 s45, s45, -1
	v_add_co_u32 v21, s3, v21, -16
	v_cmp_le_i32_e32 vcc_lo, s45, v14
	v_subrev_nc_u32_e32 v23, s15, v23
	v_add_co_ci_u32_e64 v22, s3, -1, v22, s3
	v_subrev_nc_u32_e32 v3, s11, v3
	s_or_b32 s41, vcc_lo, s41
	v_fma_f64 v[9:10], v[9:10], v[9:10], v[11:12]
	s_delay_alu instid0(VALU_DEP_1)
	v_fma_f64 v[16:17], v[9:10], 2.0, v[16:17]
	s_and_not1_b32 exec_lo, exec_lo, s41
	s_cbranch_execz .LBB118_18
.LBB118_25:                             ;   Parent Loop BB118_20 Depth=1
                                        ; =>  This Inner Loop Header: Depth=2
	v_ashrrev_i32_e32 v24, 31, v23
	v_ashrrev_i32_e32 v4, 31, v3
	s_delay_alu instid0(VALU_DEP_2) | instskip(NEXT) | instid1(VALU_DEP_2)
	v_lshlrev_b64 v[9:10], 4, v[23:24]
	v_lshlrev_b64 v[32:33], 4, v[3:4]
	s_delay_alu instid0(VALU_DEP_2) | instskip(NEXT) | instid1(VALU_DEP_3)
	v_add_co_u32 v24, vcc_lo, s34, v9
	v_add_co_ci_u32_e32 v25, vcc_lo, s35, v10, vcc_lo
	s_delay_alu instid0(VALU_DEP_3) | instskip(NEXT) | instid1(VALU_DEP_4)
	v_add_co_u32 v36, vcc_lo, s42, v32
	v_add_co_ci_u32_e32 v37, vcc_lo, s43, v33, vcc_lo
	global_load_b128 v[9:12], v[24:25], off
	s_and_not1_b32 vcc_lo, exec_lo, s13
	s_waitcnt vmcnt(0)
	v_xor_b32_e32 v4, 0x80000000, v12
	v_dual_mov_b32 v35, v12 :: v_dual_mov_b32 v34, v11
	v_dual_mov_b32 v33, v10 :: v_dual_mov_b32 v32, v9
	s_delay_alu instid0(VALU_DEP_3)
	v_mov_b32_e32 v35, v4
	global_store_b128 v[36:37], v[9:12], off
	global_store_b128 v[21:22], v[32:35], off offset:-8
	s_cbranch_vccnz .LBB118_24
; %bb.26:                               ;   in Loop: Header=BB118_25 Depth=2
	s_mov_b32 s5, s4
	s_mov_b32 s6, s4
	;; [unrolled: 1-line block ×3, first 2 shown]
	v_add_nc_u32_e32 v32, s45, v26
	s_delay_alu instid0(VALU_DEP_1) | instskip(NEXT) | instid1(VALU_DEP_1)
	v_ashrrev_i32_e32 v33, 31, v32
	v_lshlrev_b64 v[36:37], 4, v[32:33]
	v_dual_mov_b32 v35, s7 :: v_dual_mov_b32 v34, s6
	v_dual_mov_b32 v33, s5 :: v_dual_mov_b32 v32, s4
	s_delay_alu instid0(VALU_DEP_3) | instskip(NEXT) | instid1(VALU_DEP_4)
	v_add_co_u32 v36, vcc_lo, s34, v36
	v_add_co_ci_u32_e32 v37, vcc_lo, s35, v37, vcc_lo
	s_clause 0x1
	global_store_b128 v[24:25], v[32:35], off
	global_store_b128 v[36:37], v[32:35], off
	s_branch .LBB118_24
.LBB118_27:
	s_or_b32 exec_lo, exec_lo, s38
.LBB118_28:
	s_delay_alu instid0(SALU_CYCLE_1)
	s_or_b32 exec_lo, exec_lo, s12
.LBB118_29:
	v_mov_b32_e32 v1, 0
	v_lshl_add_u32 v3, v13, 3, 0
	v_lshl_add_u32 v4, v13, 4, s55
	v_cmp_gt_i32_e32 vcc_lo, s40, v13
	s_mov_b32 s3, 0
	v_mov_b32_e32 v2, v1
	ds_store_b64 v3, v[16:17]
	ds_store_2addr_b64 v4, v[18:19], v[1:2] offset1:1
	s_and_b32 exec_lo, exec_lo, vcc_lo
	s_cbranch_execz .LBB118_32
; %bb.30:
	s_mul_i32 s4, s14, 24
	v_lshlrev_b32_e32 v2, 1, v15
	v_lshl_add_u32 v1, v15, 2, s4
	s_lshl_b32 s4, s58, 2
	s_lshl_b32 s5, s14, 2
	;; [unrolled: 1-line block ×3, first 2 shown]
	s_delay_alu instid0(VALU_DEP_1) | instskip(SKIP_1) | instid1(SALU_CYCLE_1)
	v_subrev_nc_u32_e32 v3, s4, v1
	s_lshl_b32 s4, s58, 1
	v_subrev_nc_u32_e32 v1, s4, v2
	s_lshl_b32 s4, s40, 2
	s_delay_alu instid0(VALU_DEP_2)
	v_dual_mov_b32 v3, v13 :: v_dual_add_nc_u32 v2, 0, v3
.LBB118_31:                             ; =>This Inner Loop Header: Depth=1
	s_delay_alu instid0(VALU_DEP_1)
	v_add_nc_u32_e32 v3, s14, v3
	ds_store_b32 v2, v1
	v_add_nc_u32_e32 v4, 1, v1
	v_add_nc_u32_e32 v5, s4, v2
	v_add_nc_u32_e32 v2, s5, v2
	v_cmp_le_i32_e32 vcc_lo, s40, v3
	v_add_nc_u32_e32 v1, s6, v1
	ds_store_b32 v5, v4
	s_or_b32 s3, vcc_lo, s3
	s_delay_alu instid0(SALU_CYCLE_1)
	s_and_not1_b32 exec_lo, exec_lo, s3
	s_cbranch_execnz .LBB118_31
.LBB118_32:
	s_or_b32 exec_lo, exec_lo, s53
	v_mov_b32_e32 v4, 0
	v_mov_b32_e32 v5, 0
	s_delay_alu instid0(VALU_DEP_2)
	v_mov_b32_e32 v1, v4
	s_cmp_gt_i32 s14, 0
	s_mov_b32 s3, 0
	s_cselect_b32 s10, -1, 0
	v_mov_b32_e32 v2, v5
	s_cmp_lt_i32 s14, 1
	s_waitcnt lgkmcnt(0)
	s_waitcnt_vscnt null, 0x0
	s_barrier
	buffer_gl0_inv
	s_cbranch_scc1 .LBB118_40
; %bb.33:
	v_mov_b32_e32 v1, 0
	v_mov_b32_e32 v2, 0
	s_cmp_lt_u32 s14, 8
	s_cbranch_scc1 .LBB118_37
; %bb.34:
	v_mov_b32_e32 v4, 0
	v_mov_b32_e32 v5, 0
	s_delay_alu instid0(VALU_DEP_2)
	v_mov_b32_e32 v1, v4
	s_and_b32 s3, s14, 0x7ffffff8
	s_mov_b32 s4, 0
	s_mov_b32 s5, 0
	v_mov_b32_e32 v2, v5
	s_mov_b32 s6, s55
.LBB118_35:                             ; =>This Inner Loop Header: Depth=1
	v_mov_b32_e32 v10, s5
	v_mov_b32_e32 v14, s6
	s_add_i32 s4, s4, 8
	s_addk_i32 s6, 0x80
	s_add_i32 s5, s5, 64
	ds_load_2addr_b64 v[6:9], v10 offset1:1
	ds_load_2addr_b64 v[16:19], v14 offset1:2
	ds_load_2addr_b64 v[20:23], v10 offset0:2 offset1:3
	s_cmp_lg_u32 s3, s4
	s_waitcnt lgkmcnt(2)
	v_add_f64 v[3:4], v[4:5], v[6:7]
	s_waitcnt lgkmcnt(1)
	v_add_f64 v[1:2], v[1:2], v[16:17]
	s_delay_alu instid0(VALU_DEP_2) | instskip(NEXT) | instid1(VALU_DEP_2)
	v_add_f64 v[5:6], v[3:4], v[8:9]
	v_add_f64 v[7:8], v[1:2], v[18:19]
	ds_load_2addr_b64 v[1:4], v14 offset0:4 offset1:6
	s_waitcnt lgkmcnt(1)
	v_add_f64 v[5:6], v[5:6], v[20:21]
	s_waitcnt lgkmcnt(0)
	v_add_f64 v[1:2], v[7:8], v[1:2]
	s_delay_alu instid0(VALU_DEP_2) | instskip(NEXT) | instid1(VALU_DEP_2)
	v_add_f64 v[16:17], v[5:6], v[22:23]
	v_add_f64 v[18:19], v[1:2], v[3:4]
	ds_load_2addr_b64 v[1:4], v10 offset0:4 offset1:5
	ds_load_2addr_b64 v[5:8], v14 offset0:8 offset1:10
	;; [unrolled: 1-line block ×3, first 2 shown]
	s_waitcnt lgkmcnt(2)
	v_add_f64 v[1:2], v[16:17], v[1:2]
	s_waitcnt lgkmcnt(1)
	v_add_f64 v[5:6], v[18:19], v[5:6]
	s_delay_alu instid0(VALU_DEP_2) | instskip(NEXT) | instid1(VALU_DEP_2)
	v_add_f64 v[1:2], v[1:2], v[3:4]
	v_add_f64 v[16:17], v[5:6], v[7:8]
	ds_load_2addr_b64 v[4:7], v14 offset0:12 offset1:14
	s_waitcnt lgkmcnt(1)
	v_add_f64 v[1:2], v[1:2], v[9:10]
	s_waitcnt lgkmcnt(0)
	v_add_f64 v[8:9], v[16:17], v[4:5]
	s_delay_alu instid0(VALU_DEP_2) | instskip(NEXT) | instid1(VALU_DEP_2)
	v_add_f64 v[4:5], v[1:2], v[11:12]
	v_add_f64 v[1:2], v[8:9], v[6:7]
	s_cbranch_scc1 .LBB118_35
; %bb.36:
	s_and_b32 s4, s14, 7
	s_delay_alu instid0(SALU_CYCLE_1)
	s_cmp_eq_u32 s4, 0
	s_cbranch_scc0 .LBB118_38
	s_branch .LBB118_40
.LBB118_37:
	s_delay_alu instid0(VALU_DEP_1) | instskip(SKIP_1) | instid1(SALU_CYCLE_1)
	v_dual_mov_b32 v5, v2 :: v_dual_mov_b32 v4, v1
	s_and_b32 s4, s14, 7
	s_cmp_eq_u32 s4, 0
	s_cbranch_scc1 .LBB118_40
.LBB118_38:
	s_lshl_b32 s5, s3, 4
	s_lshl_b32 s6, s3, 3
	s_add_i32 s5, s5, s52
	s_delay_alu instid0(SALU_CYCLE_1)
	s_add_i32 s3, s5, 0
	s_add_i32 s5, s6, 0
.LBB118_39:                             ; =>This Inner Loop Header: Depth=1
	s_delay_alu instid0(SALU_CYCLE_1)
	v_dual_mov_b32 v3, s5 :: v_dual_mov_b32 v8, s3
	s_add_i32 s4, s4, -1
	s_add_i32 s3, s3, 16
	s_add_i32 s5, s5, 8
	ds_load_b64 v[6:7], v3
	ds_load_b64 v[8:9], v8
	s_cmp_lg_u32 s4, 0
	s_waitcnt lgkmcnt(1)
	v_add_f64 v[4:5], v[4:5], v[6:7]
	s_waitcnt lgkmcnt(0)
	v_add_f64 v[1:2], v[1:2], v[8:9]
	s_cbranch_scc1 .LBB118_39
.LBB118_40:
	s_delay_alu instid0(VALU_DEP_1)
	v_add_f64 v[1:2], v[1:2], v[4:5]
	s_load_b32 s52, s[0:1], 0x40
	s_mov_b32 s13, 0
	s_waitcnt lgkmcnt(0)
	s_cmp_gt_i32 s52, 0
	s_cselect_b32 s0, -1, 0
	s_delay_alu instid0(VALU_DEP_1) | instskip(NEXT) | instid1(VALU_DEP_1)
	v_mul_f64 v[1:2], v[1:2], s[26:27]
	v_mul_f64 v[8:9], v[1:2], s[26:27]
	s_delay_alu instid0(VALU_DEP_1) | instskip(SKIP_1) | instid1(SALU_CYCLE_1)
	v_cmp_gt_f64_e32 vcc_lo, v[4:5], v[8:9]
	s_and_b32 s0, s0, vcc_lo
	s_and_not1_b32 vcc_lo, exec_lo, s0
	s_cbranch_vccnz .LBB118_129
; %bb.41:
	v_div_scale_f64 v[1:2], null, s[28:29], s[28:29], 0x100000
	s_mov_b32 s0, 0
	s_mov_b32 s1, 0x100000
	s_add_i32 s5, s40, -1
	v_div_scale_f64 v[10:11], vcc_lo, s[0:1], s[28:29], s[0:1]
	s_abs_i32 s0, s14
	s_lshl_b32 s1, s14, 4
	v_cvt_f32_u32_e32 v7, s0
	s_sub_i32 s6, 0, s0
	s_add_i32 s53, s55, s1
	s_lshl_b32 s4, s40, 2
	v_lshl_add_u32 v33, v13, 4, s55
	v_rcp_iflag_f32_e32 v7, v7
	s_add_i32 s54, s53, s4
	v_ashrrev_i32_e32 v14, 31, v13
	v_lshl_add_u32 v32, v13, 3, 0
	s_mov_b32 s24, 0
                                        ; implicit-def: $vgpr20_vgpr21
                                        ; implicit-def: $vgpr24_vgpr25
                                        ; implicit-def: $vgpr18_vgpr19
	s_waitcnt_depctr 0xfff
	v_mul_f32_e32 v7, 0x4f7ffffe, v7
	v_rcp_f64_e32 v[3:4], v[1:2]
	s_waitcnt_depctr 0xfff
	v_fma_f64 v[5:6], -v[1:2], v[3:4], 1.0
	s_delay_alu instid0(VALU_DEP_1) | instskip(NEXT) | instid1(VALU_DEP_1)
	v_fma_f64 v[3:4], v[3:4], v[5:6], v[3:4]
	v_fma_f64 v[5:6], -v[1:2], v[3:4], 1.0
	s_delay_alu instid0(VALU_DEP_1) | instskip(NEXT) | instid1(VALU_DEP_1)
	v_fma_f64 v[3:4], v[3:4], v[5:6], v[3:4]
	v_mul_f64 v[5:6], v[10:11], v[3:4]
	s_delay_alu instid0(VALU_DEP_1) | instskip(NEXT) | instid1(VALU_DEP_1)
	v_fma_f64 v[1:2], -v[1:2], v[5:6], v[10:11]
	v_div_fmas_f64 v[1:2], v[1:2], v[3:4], v[5:6]
	v_lshlrev_b32_e32 v4, 1, v0
	v_cvt_u32_f32_e32 v7, v7
	v_sub_nc_u32_e32 v3, s58, v15
	v_lshlrev_b32_e32 v5, 1, v30
	s_delay_alu instid0(VALU_DEP_3) | instskip(NEXT) | instid1(VALU_DEP_2)
	v_readfirstlane_b32 s3, v7
	v_sub_nc_u32_e32 v12, v4, v5
	s_delay_alu instid0(VALU_DEP_2) | instskip(NEXT) | instid1(SALU_CYCLE_1)
	s_mul_i32 s6, s6, s3
	s_mul_hi_u32 s1, s3, s6
	s_abs_i32 s6, s5
	s_add_i32 s3, s3, s1
	s_xor_b32 s1, s5, s14
	s_mul_hi_u32 s3, s6, s3
	s_ashr_i32 s1, s1, 31
	s_mul_i32 s4, s3, s0
	s_add_i32 s5, s3, 1
	s_sub_i32 s4, s6, s4
	v_or_b32_e32 v34, 1, v12
	s_sub_i32 s6, s4, s0
	s_cmp_ge_u32 s4, s0
	v_mul_lo_u32 v36, s11, v12
	s_cselect_b32 s3, s5, s3
	s_cselect_b32 s4, s6, s4
	s_add_i32 s5, s3, 1
	s_cmp_ge_u32 s4, s0
	v_mul_lo_u32 v35, s11, v34
	s_cselect_b32 s3, s5, s3
	s_add_i32 s55, s57, -1
	s_xor_b32 s3, s3, s1
	v_cmp_gt_i32_e64 s0, s40, v31
	s_sub_i32 s56, s3, s1
	s_cmp_gt_i32 s57, 1
	v_div_fixup_f64 v[10:11], v[1:2], s[28:29], 0x100000
	s_cselect_b32 s57, -1, 0
	s_cmp_gt_i32 s56, -1
	v_mad_u64_u32 v[15:16], null, s33, v3, v[0:1]
	s_cselect_b32 s58, -1, 0
	s_add_i32 s59, s11, 1
	s_cmpk_lg_i32 s9, 0xd5
	v_lshlrev_b64 v[0:1], 4, v[13:14]
	s_cselect_b32 s60, -1, 0
	s_max_i32 s61, s55, 1
	s_and_b32 s62, s14, 7
	s_cmp_gt_u32 s14, 7
	s_mul_i32 s3, s11, s33
	s_cselect_b32 s63, -1, 0
	s_and_b32 s64, s14, 0x7ffffff8
	s_cmp_lg_u32 s62, 0
	v_cmp_gt_i32_e64 s1, s11, v13
	s_cselect_b32 s65, -1, 0
	s_lshl_b32 s12, s33, 1
	s_lshl_b32 s66, s3, 1
	s_ashr_i32 s13, s12, 31
	s_mov_b32 s6, s11
	s_lshl_b64 s[28:29], s[12:13], 4
	s_add_u32 s3, s48, s50
	s_addc_u32 s4, s49, s51
	s_ashr_i32 s41, s40, 31
	s_ashr_i32 s45, s44, 31
	v_add_co_u32 v0, vcc_lo, s3, v0
	v_cmp_lt_i64_e64 s3, s[40:41], s[44:45]
	v_add_co_ci_u32_e32 v1, vcc_lo, s4, v1, vcc_lo
	s_delay_alu instid0(VALU_DEP_3) | instskip(SKIP_1) | instid1(VALU_DEP_2)
	v_add_co_u32 v16, vcc_lo, v0, 8
	s_mov_b32 s13, 0
	v_add_co_ci_u32_e32 v17, vcc_lo, 0, v1, vcc_lo
	s_delay_alu instid0(VALU_DEP_4)
	s_and_b32 s3, s3, exec_lo
	s_cselect_b32 s5, s41, s45
	s_cselect_b32 s4, s40, s44
	s_ashr_i32 s7, s11, 31
	s_lshl_b64 s[36:37], s[4:5], 4
	s_lshl_b64 s[38:39], s[6:7], 4
                                        ; implicit-def: $vgpr2_vgpr3
	s_branch .LBB118_43
.LBB118_42:                             ;   in Loop: Header=BB118_43 Depth=1
	s_delay_alu instid0(VALU_DEP_1) | instskip(SKIP_1) | instid1(SALU_CYCLE_1)
	v_cmp_gt_f64_e32 vcc_lo, v[4:5], v[8:9]
	s_add_i32 s13, s13, 1
	s_cmp_lt_i32 s13, s52
	s_cselect_b32 s3, -1, 0
	s_delay_alu instid0(SALU_CYCLE_1) | instskip(NEXT) | instid1(SALU_CYCLE_1)
	s_and_b32 s3, s3, vcc_lo
	s_and_b32 vcc_lo, exec_lo, s3
	s_cbranch_vccz .LBB118_129
.LBB118_43:                             ; =>This Loop Header: Depth=1
                                        ;     Child Loop BB118_46 Depth 2
                                        ;       Child Loop BB118_48 Depth 3
                                        ;         Child Loop BB118_83 Depth 4
                                        ;         Child Loop BB118_93 Depth 4
                                        ;     Child Loop BB118_115 Depth 2
                                        ;       Child Loop BB118_117 Depth 3
                                        ;     Child Loop BB118_124 Depth 2
                                        ;     Child Loop BB118_128 Depth 2
	s_and_not1_b32 vcc_lo, exec_lo, s57
	s_cbranch_vccnz .LBB118_111
; %bb.44:                               ;   in Loop: Header=BB118_43 Depth=1
	s_mov_b32 s41, 0
	s_branch .LBB118_46
.LBB118_45:                             ;   in Loop: Header=BB118_46 Depth=2
	s_add_i32 s41, s41, 1
	s_delay_alu instid0(SALU_CYCLE_1)
	s_cmp_eq_u32 s41, s61
	s_cbranch_scc1 .LBB118_111
.LBB118_46:                             ;   Parent Loop BB118_43 Depth=1
                                        ; =>  This Loop Header: Depth=2
                                        ;       Child Loop BB118_48 Depth 3
                                        ;         Child Loop BB118_83 Depth 4
                                        ;         Child Loop BB118_93 Depth 4
	s_and_not1_b32 vcc_lo, exec_lo, s58
	s_cbranch_vccnz .LBB118_45
; %bb.47:                               ;   in Loop: Header=BB118_46 Depth=2
	s_mov_b32 s45, 0
.LBB118_48:                             ;   Parent Loop BB118_43 Depth=1
                                        ;     Parent Loop BB118_46 Depth=2
                                        ; =>    This Loop Header: Depth=3
                                        ;         Child Loop BB118_83 Depth 4
                                        ;         Child Loop BB118_93 Depth 4
	s_delay_alu instid0(SALU_CYCLE_1) | instskip(SKIP_1) | instid1(VALU_DEP_2)
	v_mad_u64_u32 v[22:23], null, s45, s14, v[13:14]
	v_mov_b32_e32 v23, s11
	v_cmp_gt_i32_e64 s3, s40, v22
	s_delay_alu instid0(VALU_DEP_1)
	s_and_saveexec_b32 s4, s3
	s_cbranch_execz .LBB118_50
; %bb.49:                               ;   in Loop: Header=BB118_48 Depth=3
	v_lshl_add_u32 v4, v22, 2, s53
	ds_load_b32 v23, v4
.LBB118_50:                             ;   in Loop: Header=BB118_48 Depth=3
	s_or_b32 exec_lo, exec_lo, s4
	v_mov_b32_e32 v14, s11
	v_lshl_add_u32 v37, v22, 2, s54
	s_and_saveexec_b32 s4, s3
	s_cbranch_execz .LBB118_52
; %bb.51:                               ;   in Loop: Header=BB118_48 Depth=3
	ds_load_b32 v14, v37
.LBB118_52:                             ;   in Loop: Header=BB118_48 Depth=3
	s_or_b32 exec_lo, exec_lo, s4
	s_waitcnt lgkmcnt(0)
	v_cmp_gt_i32_e64 s4, s11, v23
	v_cmp_gt_i32_e64 s5, s11, v14
	s_delay_alu instid0(VALU_DEP_2)
	s_and_b32 s6, s2, s4
	s_delay_alu instid0(VALU_DEP_1) | instid1(SALU_CYCLE_1)
	s_and_b32 s25, s6, s5
	s_delay_alu instid0(SALU_CYCLE_1)
	s_and_saveexec_b32 s7, s25
	s_cbranch_execz .LBB118_78
; %bb.53:                               ;   in Loop: Header=BB118_48 Depth=3
	v_mul_lo_u32 v28, v14, s11
	s_mov_b32 s6, exec_lo
                                        ; implicit-def: $vgpr26_vgpr27
	s_delay_alu instid0(VALU_DEP_1) | instskip(NEXT) | instid1(VALU_DEP_1)
	v_add_nc_u32_e32 v2, v28, v23
	v_ashrrev_i32_e32 v3, 31, v2
	s_delay_alu instid0(VALU_DEP_1) | instskip(NEXT) | instid1(VALU_DEP_1)
	v_lshlrev_b64 v[2:3], 4, v[2:3]
	v_add_co_u32 v2, vcc_lo, s42, v2
	s_delay_alu instid0(VALU_DEP_2)
	v_add_co_ci_u32_e32 v3, vcc_lo, s43, v3, vcc_lo
	global_load_b128 v[4:7], v[2:3], off
	s_waitcnt vmcnt(0)
	v_cmp_gt_f64_e32 vcc_lo, 0, v[4:5]
	v_xor_b32_e32 v3, 0x80000000, v5
	v_mov_b32_e32 v2, v4
	v_xor_b32_e32 v20, 0x80000000, v7
	s_delay_alu instid0(VALU_DEP_3) | instskip(SKIP_1) | instid1(VALU_DEP_3)
	v_cndmask_b32_e32 v3, v5, v3, vcc_lo
	v_cmp_gt_f64_e32 vcc_lo, 0, v[6:7]
	v_dual_cndmask_b32 v21, v7, v20 :: v_dual_mov_b32 v20, v6
	s_delay_alu instid0(VALU_DEP_1)
	v_cmpx_ngt_f64_e32 v[2:3], v[20:21]
	s_xor_b32 s6, exec_lo, s6
	s_cbranch_execz .LBB118_57
; %bb.54:                               ;   in Loop: Header=BB118_48 Depth=3
	v_mov_b32_e32 v26, 0
	v_mov_b32_e32 v27, 0
	s_mov_b32 s26, exec_lo
	v_cmpx_neq_f64_e32 0, v[6:7]
	s_cbranch_execz .LBB118_56
; %bb.55:                               ;   in Loop: Header=BB118_48 Depth=3
	v_div_scale_f64 v[24:25], null, v[20:21], v[20:21], v[2:3]
	v_div_scale_f64 v[38:39], vcc_lo, v[2:3], v[20:21], v[2:3]
	s_delay_alu instid0(VALU_DEP_2) | instskip(SKIP_2) | instid1(VALU_DEP_1)
	v_rcp_f64_e32 v[26:27], v[24:25]
	s_waitcnt_depctr 0xfff
	v_fma_f64 v[29:30], -v[24:25], v[26:27], 1.0
	v_fma_f64 v[26:27], v[26:27], v[29:30], v[26:27]
	s_delay_alu instid0(VALU_DEP_1) | instskip(NEXT) | instid1(VALU_DEP_1)
	v_fma_f64 v[29:30], -v[24:25], v[26:27], 1.0
	v_fma_f64 v[26:27], v[26:27], v[29:30], v[26:27]
	s_delay_alu instid0(VALU_DEP_1) | instskip(NEXT) | instid1(VALU_DEP_1)
	v_mul_f64 v[29:30], v[38:39], v[26:27]
	v_fma_f64 v[24:25], -v[24:25], v[29:30], v[38:39]
	s_delay_alu instid0(VALU_DEP_1) | instskip(NEXT) | instid1(VALU_DEP_1)
	v_div_fmas_f64 v[24:25], v[24:25], v[26:27], v[29:30]
	v_div_fixup_f64 v[2:3], v[24:25], v[20:21], v[2:3]
	s_delay_alu instid0(VALU_DEP_1) | instskip(NEXT) | instid1(VALU_DEP_1)
	v_fma_f64 v[2:3], v[2:3], v[2:3], 1.0
	v_cmp_gt_f64_e32 vcc_lo, 0x10000000, v[2:3]
	v_cndmask_b32_e64 v24, 0, 1, vcc_lo
	s_delay_alu instid0(VALU_DEP_1) | instskip(NEXT) | instid1(VALU_DEP_1)
	v_lshlrev_b32_e32 v24, 8, v24
	v_ldexp_f64 v[2:3], v[2:3], v24
	s_delay_alu instid0(VALU_DEP_1) | instskip(SKIP_3) | instid1(VALU_DEP_1)
	v_rsq_f64_e32 v[24:25], v[2:3]
	s_waitcnt_depctr 0xfff
	v_mul_f64 v[26:27], v[2:3], v[24:25]
	v_mul_f64 v[24:25], v[24:25], 0.5
	v_fma_f64 v[29:30], -v[24:25], v[26:27], 0.5
	s_delay_alu instid0(VALU_DEP_1) | instskip(SKIP_1) | instid1(VALU_DEP_2)
	v_fma_f64 v[26:27], v[26:27], v[29:30], v[26:27]
	v_fma_f64 v[24:25], v[24:25], v[29:30], v[24:25]
	v_fma_f64 v[29:30], -v[26:27], v[26:27], v[2:3]
	s_delay_alu instid0(VALU_DEP_1) | instskip(NEXT) | instid1(VALU_DEP_1)
	v_fma_f64 v[26:27], v[29:30], v[24:25], v[26:27]
	v_fma_f64 v[29:30], -v[26:27], v[26:27], v[2:3]
	s_delay_alu instid0(VALU_DEP_1) | instskip(SKIP_2) | instid1(VALU_DEP_2)
	v_fma_f64 v[24:25], v[29:30], v[24:25], v[26:27]
	v_cndmask_b32_e64 v26, 0, 0xffffff80, vcc_lo
	v_cmp_class_f64_e64 vcc_lo, v[2:3], 0x260
	v_ldexp_f64 v[24:25], v[24:25], v26
	s_delay_alu instid0(VALU_DEP_1) | instskip(NEXT) | instid1(VALU_DEP_1)
	v_dual_cndmask_b32 v3, v25, v3 :: v_dual_cndmask_b32 v2, v24, v2
	v_mul_f64 v[26:27], v[20:21], v[2:3]
.LBB118_56:                             ;   in Loop: Header=BB118_48 Depth=3
	s_or_b32 exec_lo, exec_lo, s26
                                        ; implicit-def: $vgpr2_vgpr3
                                        ; implicit-def: $vgpr20_vgpr21
.LBB118_57:                             ;   in Loop: Header=BB118_48 Depth=3
	s_and_not1_saveexec_b32 s6, s6
	s_cbranch_execz .LBB118_59
; %bb.58:                               ;   in Loop: Header=BB118_48 Depth=3
	v_div_scale_f64 v[24:25], null, v[2:3], v[2:3], v[20:21]
	v_div_scale_f64 v[38:39], vcc_lo, v[20:21], v[2:3], v[20:21]
	s_delay_alu instid0(VALU_DEP_2) | instskip(SKIP_2) | instid1(VALU_DEP_1)
	v_rcp_f64_e32 v[26:27], v[24:25]
	s_waitcnt_depctr 0xfff
	v_fma_f64 v[29:30], -v[24:25], v[26:27], 1.0
	v_fma_f64 v[26:27], v[26:27], v[29:30], v[26:27]
	s_delay_alu instid0(VALU_DEP_1) | instskip(NEXT) | instid1(VALU_DEP_1)
	v_fma_f64 v[29:30], -v[24:25], v[26:27], 1.0
	v_fma_f64 v[26:27], v[26:27], v[29:30], v[26:27]
	s_delay_alu instid0(VALU_DEP_1) | instskip(NEXT) | instid1(VALU_DEP_1)
	v_mul_f64 v[29:30], v[38:39], v[26:27]
	v_fma_f64 v[24:25], -v[24:25], v[29:30], v[38:39]
	s_delay_alu instid0(VALU_DEP_1) | instskip(NEXT) | instid1(VALU_DEP_1)
	v_div_fmas_f64 v[24:25], v[24:25], v[26:27], v[29:30]
	v_div_fixup_f64 v[20:21], v[24:25], v[2:3], v[20:21]
	s_delay_alu instid0(VALU_DEP_1) | instskip(NEXT) | instid1(VALU_DEP_1)
	v_fma_f64 v[20:21], v[20:21], v[20:21], 1.0
	v_cmp_gt_f64_e32 vcc_lo, 0x10000000, v[20:21]
	v_cndmask_b32_e64 v24, 0, 1, vcc_lo
	s_delay_alu instid0(VALU_DEP_1) | instskip(NEXT) | instid1(VALU_DEP_1)
	v_lshlrev_b32_e32 v24, 8, v24
	v_ldexp_f64 v[20:21], v[20:21], v24
	s_delay_alu instid0(VALU_DEP_1) | instskip(SKIP_3) | instid1(VALU_DEP_1)
	v_rsq_f64_e32 v[24:25], v[20:21]
	s_waitcnt_depctr 0xfff
	v_mul_f64 v[26:27], v[20:21], v[24:25]
	v_mul_f64 v[24:25], v[24:25], 0.5
	v_fma_f64 v[29:30], -v[24:25], v[26:27], 0.5
	s_delay_alu instid0(VALU_DEP_1) | instskip(SKIP_1) | instid1(VALU_DEP_2)
	v_fma_f64 v[26:27], v[26:27], v[29:30], v[26:27]
	v_fma_f64 v[24:25], v[24:25], v[29:30], v[24:25]
	v_fma_f64 v[29:30], -v[26:27], v[26:27], v[20:21]
	s_delay_alu instid0(VALU_DEP_1) | instskip(NEXT) | instid1(VALU_DEP_1)
	v_fma_f64 v[26:27], v[29:30], v[24:25], v[26:27]
	v_fma_f64 v[29:30], -v[26:27], v[26:27], v[20:21]
	s_delay_alu instid0(VALU_DEP_1) | instskip(SKIP_2) | instid1(VALU_DEP_2)
	v_fma_f64 v[24:25], v[29:30], v[24:25], v[26:27]
	v_cndmask_b32_e64 v26, 0, 0xffffff80, vcc_lo
	v_cmp_class_f64_e64 vcc_lo, v[20:21], 0x260
	v_ldexp_f64 v[24:25], v[24:25], v26
	s_delay_alu instid0(VALU_DEP_1) | instskip(NEXT) | instid1(VALU_DEP_1)
	v_dual_cndmask_b32 v21, v25, v21 :: v_dual_cndmask_b32 v20, v24, v20
	v_mul_f64 v[26:27], v[2:3], v[20:21]
.LBB118_59:                             ;   in Loop: Header=BB118_48 Depth=3
	s_or_b32 exec_lo, exec_lo, s6
	s_delay_alu instid0(VALU_DEP_1) | instskip(SKIP_2) | instid1(VALU_DEP_3)
	v_mul_f64 v[2:3], v[26:27], v[26:27]
	v_mov_b32_e32 v20, 0
	v_mov_b32_e32 v21, 0x3ff00000
	v_cmp_nlt_f64_e32 vcc_lo, v[2:3], v[10:11]
	v_mov_b32_e32 v2, 0
	v_mov_b32_e32 v3, 0
	s_delay_alu instid0(VALU_DEP_1)
	v_dual_mov_b32 v25, v3 :: v_dual_mov_b32 v24, v2
	s_and_saveexec_b32 s26, vcc_lo
	s_cbranch_execz .LBB118_77
; %bb.60:                               ;   in Loop: Header=BB118_48 Depth=3
	v_mul_lo_u32 v2, v23, s59
	v_add_nc_u32_e32 v20, v28, v14
	s_delay_alu instid0(VALU_DEP_1) | instskip(NEXT) | instid1(VALU_DEP_3)
	v_ashrrev_i32_e32 v21, 31, v20
	v_ashrrev_i32_e32 v3, 31, v2
	s_delay_alu instid0(VALU_DEP_2) | instskip(NEXT) | instid1(VALU_DEP_2)
	v_lshlrev_b64 v[20:21], 4, v[20:21]
	v_lshlrev_b64 v[2:3], 4, v[2:3]
	s_delay_alu instid0(VALU_DEP_1) | instskip(NEXT) | instid1(VALU_DEP_2)
	v_add_co_u32 v2, vcc_lo, s42, v2
	v_add_co_ci_u32_e32 v3, vcc_lo, s43, v3, vcc_lo
	s_delay_alu instid0(VALU_DEP_4)
	v_add_co_u32 v20, vcc_lo, s42, v20
	v_add_co_ci_u32_e32 v21, vcc_lo, s43, v21, vcc_lo
	s_clause 0x1
	global_load_b64 v[24:25], v[2:3], off
	global_load_b64 v[20:21], v[20:21], off
	v_add_f64 v[2:3], v[26:27], v[26:27]
	s_delay_alu instid0(VALU_DEP_1) | instskip(SKIP_2) | instid1(VALU_DEP_1)
	v_cmp_class_f64_e64 s27, v[2:3], 0x204
	s_waitcnt vmcnt(0)
	v_add_f64 v[24:25], v[20:21], -v[24:25]
	v_max_f64 v[20:21], |v[24:25]|, |v[2:3]|
	v_cmp_ngt_f64_e64 s6, 0, v[24:25]
	v_cmp_class_f64_e64 s48, v[24:25], 0x204
	s_delay_alu instid0(VALU_DEP_3) | instskip(NEXT) | instid1(VALU_DEP_1)
	v_frexp_exp_i32_f64_e32 v30, v[20:21]
	v_sub_nc_u32_e32 v28, 0, v30
	s_delay_alu instid0(VALU_DEP_1) | instskip(SKIP_1) | instid1(VALU_DEP_2)
	v_ldexp_f64 v[20:21], |v[2:3]|, v28
	v_ldexp_f64 v[28:29], |v[24:25]|, v28
	v_mul_f64 v[20:21], v[20:21], v[20:21]
	s_delay_alu instid0(VALU_DEP_1) | instskip(NEXT) | instid1(VALU_DEP_1)
	v_fma_f64 v[20:21], v[28:29], v[28:29], v[20:21]
	v_rsq_f64_e32 v[28:29], v[20:21]
	v_cmp_eq_f64_e32 vcc_lo, 0, v[20:21]
	s_waitcnt_depctr 0xfff
	v_mul_f64 v[38:39], v[20:21], v[28:29]
	v_mul_f64 v[28:29], v[28:29], 0.5
	s_delay_alu instid0(VALU_DEP_1) | instskip(NEXT) | instid1(VALU_DEP_1)
	v_fma_f64 v[40:41], -v[28:29], v[38:39], 0.5
	v_fma_f64 v[38:39], v[38:39], v[40:41], v[38:39]
	v_fma_f64 v[28:29], v[28:29], v[40:41], v[28:29]
	s_delay_alu instid0(VALU_DEP_2) | instskip(NEXT) | instid1(VALU_DEP_1)
	v_fma_f64 v[40:41], -v[38:39], v[38:39], v[20:21]
	v_fma_f64 v[28:29], v[40:41], v[28:29], v[38:39]
	s_delay_alu instid0(VALU_DEP_1) | instskip(SKIP_1) | instid1(SALU_CYCLE_1)
	v_dual_cndmask_b32 v21, v29, v21 :: v_dual_cndmask_b32 v20, v28, v20
                                        ; implicit-def: $vgpr28_vgpr29
	s_and_saveexec_b32 s49, s6
	s_xor_b32 s6, exec_lo, s49
; %bb.61:                               ;   in Loop: Header=BB118_48 Depth=3
	s_delay_alu instid0(VALU_DEP_1) | instskip(SKIP_2) | instid1(VALU_DEP_2)
	v_ldexp_f64 v[20:21], v[20:21], v30
	v_cmp_o_f64_e32 vcc_lo, v[24:25], v[2:3]
	s_or_b32 s49, s27, s48
                                        ; implicit-def: $vgpr30
	v_cndmask_b32_e32 v20, 0, v20, vcc_lo
	s_delay_alu instid0(VALU_DEP_3) | instskip(NEXT) | instid1(VALU_DEP_2)
	v_cndmask_b32_e32 v21, 0x7ff80000, v21, vcc_lo
	v_cndmask_b32_e64 v28, v20, 0, s49
	s_delay_alu instid0(VALU_DEP_2)
	v_cndmask_b32_e64 v29, v21, 0x7ff00000, s49
                                        ; implicit-def: $vgpr20_vgpr21
; %bb.62:                               ;   in Loop: Header=BB118_48 Depth=3
	s_and_not1_saveexec_b32 s6, s6
; %bb.63:                               ;   in Loop: Header=BB118_48 Depth=3
	v_ldexp_f64 v[20:21], -v[20:21], v30
	v_cmp_o_f64_e32 vcc_lo, v[2:3], v[2:3]
	s_or_b32 s27, s27, s48
	s_delay_alu instid0(VALU_DEP_2) | instskip(NEXT) | instid1(VALU_DEP_3)
	v_cndmask_b32_e32 v20, 0, v20, vcc_lo
	v_cndmask_b32_e32 v21, 0xfff80000, v21, vcc_lo
	s_delay_alu instid0(VALU_DEP_2) | instskip(NEXT) | instid1(VALU_DEP_2)
	v_cndmask_b32_e64 v28, v20, 0, s27
	v_cndmask_b32_e64 v29, v21, 0xfff00000, s27
; %bb.64:                               ;   in Loop: Header=BB118_48 Depth=3
	s_or_b32 exec_lo, exec_lo, s6
	v_mov_b32_e32 v30, 0
	v_dual_mov_b32 v31, 0 :: v_dual_mov_b32 v20, 0
	v_mov_b32_e32 v21, 0x3ff00000
	s_mov_b32 s6, exec_lo
	v_cmpx_neq_f64_e32 0, v[2:3]
	s_cbranch_execz .LBB118_72
; %bb.65:                               ;   in Loop: Header=BB118_48 Depth=3
	v_add_f64 v[24:25], v[24:25], v[28:29]
	v_mov_b32_e32 v20, 0
	v_dual_mov_b32 v21, 0 :: v_dual_mov_b32 v30, 0
	v_mov_b32_e32 v31, 0x3ff00000
	s_mov_b32 s27, exec_lo
	s_delay_alu instid0(VALU_DEP_4)
	v_cmpx_neq_f64_e32 0, v[24:25]
	s_cbranch_execz .LBB118_71
; %bb.66:                               ;   in Loop: Header=BB118_48 Depth=3
	v_cmp_ngt_f64_e64 s48, |v[2:3]|, |v[24:25]|
                                        ; implicit-def: $vgpr20_vgpr21
                                        ; implicit-def: $vgpr30_vgpr31
	s_delay_alu instid0(VALU_DEP_1) | instskip(NEXT) | instid1(SALU_CYCLE_1)
	s_and_saveexec_b32 s49, s48
	s_xor_b32 s48, exec_lo, s49
	s_cbranch_execz .LBB118_68
; %bb.67:                               ;   in Loop: Header=BB118_48 Depth=3
	v_div_scale_f64 v[20:21], null, v[24:25], v[24:25], -v[2:3]
	v_div_scale_f64 v[38:39], vcc_lo, -v[2:3], v[24:25], -v[2:3]
	s_delay_alu instid0(VALU_DEP_2) | instskip(SKIP_2) | instid1(VALU_DEP_1)
	v_rcp_f64_e32 v[28:29], v[20:21]
	s_waitcnt_depctr 0xfff
	v_fma_f64 v[30:31], -v[20:21], v[28:29], 1.0
	v_fma_f64 v[28:29], v[28:29], v[30:31], v[28:29]
	s_delay_alu instid0(VALU_DEP_1) | instskip(NEXT) | instid1(VALU_DEP_1)
	v_fma_f64 v[30:31], -v[20:21], v[28:29], 1.0
	v_fma_f64 v[28:29], v[28:29], v[30:31], v[28:29]
	s_delay_alu instid0(VALU_DEP_1) | instskip(NEXT) | instid1(VALU_DEP_1)
	v_mul_f64 v[30:31], v[38:39], v[28:29]
	v_fma_f64 v[20:21], -v[20:21], v[30:31], v[38:39]
	s_delay_alu instid0(VALU_DEP_1) | instskip(NEXT) | instid1(VALU_DEP_1)
	v_div_fmas_f64 v[20:21], v[20:21], v[28:29], v[30:31]
	v_div_fixup_f64 v[2:3], v[20:21], v[24:25], -v[2:3]
	s_delay_alu instid0(VALU_DEP_1) | instskip(NEXT) | instid1(VALU_DEP_1)
	v_fma_f64 v[20:21], v[2:3], v[2:3], 1.0
	v_cmp_gt_f64_e32 vcc_lo, 0x10000000, v[20:21]
	v_cndmask_b32_e64 v24, 0, 1, vcc_lo
	s_delay_alu instid0(VALU_DEP_1) | instskip(NEXT) | instid1(VALU_DEP_1)
	v_lshlrev_b32_e32 v24, 8, v24
	v_ldexp_f64 v[20:21], v[20:21], v24
	s_delay_alu instid0(VALU_DEP_1) | instskip(SKIP_3) | instid1(VALU_DEP_1)
	v_rsq_f64_e32 v[24:25], v[20:21]
	s_waitcnt_depctr 0xfff
	v_mul_f64 v[28:29], v[20:21], v[24:25]
	v_mul_f64 v[24:25], v[24:25], 0.5
	v_fma_f64 v[30:31], -v[24:25], v[28:29], 0.5
	s_delay_alu instid0(VALU_DEP_1) | instskip(SKIP_1) | instid1(VALU_DEP_2)
	v_fma_f64 v[28:29], v[28:29], v[30:31], v[28:29]
	v_fma_f64 v[24:25], v[24:25], v[30:31], v[24:25]
	v_fma_f64 v[30:31], -v[28:29], v[28:29], v[20:21]
	s_delay_alu instid0(VALU_DEP_1) | instskip(NEXT) | instid1(VALU_DEP_1)
	v_fma_f64 v[28:29], v[30:31], v[24:25], v[28:29]
	v_fma_f64 v[30:31], -v[28:29], v[28:29], v[20:21]
	s_delay_alu instid0(VALU_DEP_1) | instskip(SKIP_2) | instid1(VALU_DEP_2)
	v_fma_f64 v[24:25], v[30:31], v[24:25], v[28:29]
	v_cndmask_b32_e64 v28, 0, 0xffffff80, vcc_lo
	v_cmp_class_f64_e64 vcc_lo, v[20:21], 0x260
	v_ldexp_f64 v[24:25], v[24:25], v28
	s_delay_alu instid0(VALU_DEP_1) | instskip(NEXT) | instid1(VALU_DEP_1)
	v_dual_cndmask_b32 v21, v25, v21 :: v_dual_cndmask_b32 v20, v24, v20
	v_div_scale_f64 v[24:25], null, v[20:21], v[20:21], 1.0
	s_delay_alu instid0(VALU_DEP_1) | instskip(SKIP_2) | instid1(VALU_DEP_1)
	v_rcp_f64_e32 v[28:29], v[24:25]
	s_waitcnt_depctr 0xfff
	v_fma_f64 v[30:31], -v[24:25], v[28:29], 1.0
	v_fma_f64 v[28:29], v[28:29], v[30:31], v[28:29]
	s_delay_alu instid0(VALU_DEP_1) | instskip(NEXT) | instid1(VALU_DEP_1)
	v_fma_f64 v[30:31], -v[24:25], v[28:29], 1.0
	v_fma_f64 v[28:29], v[28:29], v[30:31], v[28:29]
	v_div_scale_f64 v[30:31], vcc_lo, 1.0, v[20:21], 1.0
	s_delay_alu instid0(VALU_DEP_1) | instskip(NEXT) | instid1(VALU_DEP_1)
	v_mul_f64 v[38:39], v[30:31], v[28:29]
	v_fma_f64 v[24:25], -v[24:25], v[38:39], v[30:31]
	s_delay_alu instid0(VALU_DEP_1) | instskip(NEXT) | instid1(VALU_DEP_1)
	v_div_fmas_f64 v[24:25], v[24:25], v[28:29], v[38:39]
	v_div_fixup_f64 v[20:21], v[24:25], v[20:21], 1.0
                                        ; implicit-def: $vgpr24_vgpr25
	s_delay_alu instid0(VALU_DEP_1)
	v_mul_f64 v[30:31], v[2:3], v[20:21]
                                        ; implicit-def: $vgpr2_vgpr3
.LBB118_68:                             ;   in Loop: Header=BB118_48 Depth=3
	s_and_not1_saveexec_b32 s48, s48
	s_cbranch_execz .LBB118_70
; %bb.69:                               ;   in Loop: Header=BB118_48 Depth=3
	v_div_scale_f64 v[20:21], null, v[2:3], v[2:3], -v[24:25]
	v_div_scale_f64 v[38:39], vcc_lo, -v[24:25], v[2:3], -v[24:25]
	s_delay_alu instid0(VALU_DEP_2) | instskip(SKIP_2) | instid1(VALU_DEP_1)
	v_rcp_f64_e32 v[28:29], v[20:21]
	s_waitcnt_depctr 0xfff
	v_fma_f64 v[30:31], -v[20:21], v[28:29], 1.0
	v_fma_f64 v[28:29], v[28:29], v[30:31], v[28:29]
	s_delay_alu instid0(VALU_DEP_1) | instskip(NEXT) | instid1(VALU_DEP_1)
	v_fma_f64 v[30:31], -v[20:21], v[28:29], 1.0
	v_fma_f64 v[28:29], v[28:29], v[30:31], v[28:29]
	s_delay_alu instid0(VALU_DEP_1) | instskip(NEXT) | instid1(VALU_DEP_1)
	v_mul_f64 v[30:31], v[38:39], v[28:29]
	v_fma_f64 v[20:21], -v[20:21], v[30:31], v[38:39]
	s_delay_alu instid0(VALU_DEP_1) | instskip(NEXT) | instid1(VALU_DEP_1)
	v_div_fmas_f64 v[20:21], v[20:21], v[28:29], v[30:31]
	v_div_fixup_f64 v[2:3], v[20:21], v[2:3], -v[24:25]
	s_delay_alu instid0(VALU_DEP_1) | instskip(NEXT) | instid1(VALU_DEP_1)
	v_fma_f64 v[20:21], v[2:3], v[2:3], 1.0
	v_cmp_gt_f64_e32 vcc_lo, 0x10000000, v[20:21]
	v_cndmask_b32_e64 v24, 0, 1, vcc_lo
	s_delay_alu instid0(VALU_DEP_1) | instskip(NEXT) | instid1(VALU_DEP_1)
	v_lshlrev_b32_e32 v24, 8, v24
	v_ldexp_f64 v[20:21], v[20:21], v24
	s_delay_alu instid0(VALU_DEP_1) | instskip(SKIP_3) | instid1(VALU_DEP_1)
	v_rsq_f64_e32 v[24:25], v[20:21]
	s_waitcnt_depctr 0xfff
	v_mul_f64 v[28:29], v[20:21], v[24:25]
	v_mul_f64 v[24:25], v[24:25], 0.5
	v_fma_f64 v[30:31], -v[24:25], v[28:29], 0.5
	s_delay_alu instid0(VALU_DEP_1) | instskip(SKIP_1) | instid1(VALU_DEP_2)
	v_fma_f64 v[28:29], v[28:29], v[30:31], v[28:29]
	v_fma_f64 v[24:25], v[24:25], v[30:31], v[24:25]
	v_fma_f64 v[30:31], -v[28:29], v[28:29], v[20:21]
	s_delay_alu instid0(VALU_DEP_1) | instskip(NEXT) | instid1(VALU_DEP_1)
	v_fma_f64 v[28:29], v[30:31], v[24:25], v[28:29]
	v_fma_f64 v[30:31], -v[28:29], v[28:29], v[20:21]
	s_delay_alu instid0(VALU_DEP_1) | instskip(SKIP_2) | instid1(VALU_DEP_2)
	v_fma_f64 v[24:25], v[30:31], v[24:25], v[28:29]
	v_cndmask_b32_e64 v28, 0, 0xffffff80, vcc_lo
	v_cmp_class_f64_e64 vcc_lo, v[20:21], 0x260
	v_ldexp_f64 v[24:25], v[24:25], v28
	s_delay_alu instid0(VALU_DEP_1) | instskip(NEXT) | instid1(VALU_DEP_1)
	v_dual_cndmask_b32 v21, v25, v21 :: v_dual_cndmask_b32 v20, v24, v20
	v_div_scale_f64 v[24:25], null, v[20:21], v[20:21], 1.0
	s_delay_alu instid0(VALU_DEP_1) | instskip(SKIP_2) | instid1(VALU_DEP_1)
	v_rcp_f64_e32 v[28:29], v[24:25]
	s_waitcnt_depctr 0xfff
	v_fma_f64 v[30:31], -v[24:25], v[28:29], 1.0
	v_fma_f64 v[28:29], v[28:29], v[30:31], v[28:29]
	s_delay_alu instid0(VALU_DEP_1) | instskip(NEXT) | instid1(VALU_DEP_1)
	v_fma_f64 v[30:31], -v[24:25], v[28:29], 1.0
	v_fma_f64 v[28:29], v[28:29], v[30:31], v[28:29]
	v_div_scale_f64 v[30:31], vcc_lo, 1.0, v[20:21], 1.0
	s_delay_alu instid0(VALU_DEP_1) | instskip(NEXT) | instid1(VALU_DEP_1)
	v_mul_f64 v[38:39], v[30:31], v[28:29]
	v_fma_f64 v[24:25], -v[24:25], v[38:39], v[30:31]
	s_delay_alu instid0(VALU_DEP_1) | instskip(NEXT) | instid1(VALU_DEP_1)
	v_div_fmas_f64 v[24:25], v[24:25], v[28:29], v[38:39]
	v_div_fixup_f64 v[30:31], v[24:25], v[20:21], 1.0
	s_delay_alu instid0(VALU_DEP_1)
	v_mul_f64 v[20:21], v[2:3], v[30:31]
.LBB118_70:                             ;   in Loop: Header=BB118_48 Depth=3
	s_or_b32 exec_lo, exec_lo, s48
.LBB118_71:                             ;   in Loop: Header=BB118_48 Depth=3
	s_delay_alu instid0(SALU_CYCLE_1)
	s_or_b32 exec_lo, exec_lo, s27
.LBB118_72:                             ;   in Loop: Header=BB118_48 Depth=3
	s_delay_alu instid0(SALU_CYCLE_1) | instskip(SKIP_1) | instid1(VALU_DEP_2)
	s_or_b32 exec_lo, exec_lo, s6
	v_cmp_gt_f64_e32 vcc_lo, 0, v[26:27]
	v_mul_f64 v[28:29], v[4:5], v[30:31]
	v_mul_f64 v[4:5], v[6:7], v[30:31]
	v_xor_b32_e32 v2, 0x80000000, v27
	s_mov_b32 s6, exec_lo
                                        ; implicit-def: $vgpr24_vgpr25
	s_delay_alu instid0(VALU_DEP_1) | instskip(SKIP_1) | instid1(VALU_DEP_1)
	v_cndmask_b32_e32 v3, v27, v2, vcc_lo
	v_cndmask_b32_e32 v2, v26, v26, vcc_lo
	v_cmpx_nlt_f64_e32 0, v[2:3]
	s_xor_b32 s6, exec_lo, s6
	s_cbranch_execz .LBB118_74
; %bb.73:                               ;   in Loop: Header=BB118_48 Depth=3
	v_div_scale_f64 v[2:3], null, 0, 0, v[26:27]
	v_div_scale_f64 v[30:31], vcc_lo, v[26:27], 0, v[26:27]
	s_delay_alu instid0(VALU_DEP_2) | instskip(SKIP_2) | instid1(VALU_DEP_1)
	v_rcp_f64_e32 v[6:7], v[2:3]
	s_waitcnt_depctr 0xfff
	v_fma_f64 v[24:25], -v[2:3], v[6:7], 1.0
	v_fma_f64 v[6:7], v[6:7], v[24:25], v[6:7]
	s_delay_alu instid0(VALU_DEP_1) | instskip(NEXT) | instid1(VALU_DEP_1)
	v_fma_f64 v[24:25], -v[2:3], v[6:7], 1.0
	v_fma_f64 v[6:7], v[6:7], v[24:25], v[6:7]
	s_delay_alu instid0(VALU_DEP_1) | instskip(NEXT) | instid1(VALU_DEP_1)
	v_mul_f64 v[24:25], v[30:31], v[6:7]
	v_fma_f64 v[2:3], -v[2:3], v[24:25], v[30:31]
	s_delay_alu instid0(VALU_DEP_1) | instskip(NEXT) | instid1(VALU_DEP_1)
	v_div_fmas_f64 v[2:3], v[2:3], v[6:7], v[24:25]
	v_div_fixup_f64 v[2:3], v[2:3], 0, v[26:27]
	s_delay_alu instid0(VALU_DEP_1) | instskip(NEXT) | instid1(VALU_DEP_1)
	v_fma_f64 v[6:7], v[26:27], v[2:3], 0
	v_div_scale_f64 v[24:25], null, v[6:7], v[6:7], 1.0
	v_div_scale_f64 v[38:39], vcc_lo, 1.0, v[6:7], 1.0
	s_delay_alu instid0(VALU_DEP_2) | instskip(SKIP_2) | instid1(VALU_DEP_1)
	v_rcp_f64_e32 v[26:27], v[24:25]
	s_waitcnt_depctr 0xfff
	v_fma_f64 v[30:31], -v[24:25], v[26:27], 1.0
	v_fma_f64 v[26:27], v[26:27], v[30:31], v[26:27]
	s_delay_alu instid0(VALU_DEP_1) | instskip(NEXT) | instid1(VALU_DEP_1)
	v_fma_f64 v[30:31], -v[24:25], v[26:27], 1.0
	v_fma_f64 v[26:27], v[26:27], v[30:31], v[26:27]
	s_delay_alu instid0(VALU_DEP_1) | instskip(NEXT) | instid1(VALU_DEP_1)
	v_mul_f64 v[30:31], v[38:39], v[26:27]
	v_fma_f64 v[24:25], -v[24:25], v[30:31], v[38:39]
	s_delay_alu instid0(VALU_DEP_1) | instskip(SKIP_2) | instid1(VALU_DEP_3)
	v_div_fmas_f64 v[24:25], v[24:25], v[26:27], v[30:31]
	v_fma_f64 v[26:27], v[2:3], v[28:29], v[4:5]
	v_fma_f64 v[2:3], v[2:3], v[4:5], -v[28:29]
                                        ; implicit-def: $vgpr4_vgpr5
                                        ; implicit-def: $vgpr28_vgpr29
	v_div_fixup_f64 v[6:7], v[24:25], v[6:7], 1.0
	s_delay_alu instid0(VALU_DEP_1) | instskip(NEXT) | instid1(VALU_DEP_3)
	v_mul_f64 v[24:25], v[6:7], v[26:27]
	v_mul_f64 v[2:3], v[6:7], v[2:3]
                                        ; implicit-def: $vgpr26_vgpr27
.LBB118_74:                             ;   in Loop: Header=BB118_48 Depth=3
	s_and_not1_saveexec_b32 s6, s6
	s_cbranch_execz .LBB118_76
; %bb.75:                               ;   in Loop: Header=BB118_48 Depth=3
	v_div_scale_f64 v[2:3], null, v[26:27], v[26:27], 0
	v_div_scale_f64 v[30:31], vcc_lo, 0, v[26:27], 0
	s_delay_alu instid0(VALU_DEP_2) | instskip(SKIP_2) | instid1(VALU_DEP_1)
	v_rcp_f64_e32 v[6:7], v[2:3]
	s_waitcnt_depctr 0xfff
	v_fma_f64 v[24:25], -v[2:3], v[6:7], 1.0
	v_fma_f64 v[6:7], v[6:7], v[24:25], v[6:7]
	s_delay_alu instid0(VALU_DEP_1) | instskip(NEXT) | instid1(VALU_DEP_1)
	v_fma_f64 v[24:25], -v[2:3], v[6:7], 1.0
	v_fma_f64 v[6:7], v[6:7], v[24:25], v[6:7]
	s_delay_alu instid0(VALU_DEP_1) | instskip(NEXT) | instid1(VALU_DEP_1)
	v_mul_f64 v[24:25], v[30:31], v[6:7]
	v_fma_f64 v[2:3], -v[2:3], v[24:25], v[30:31]
	s_delay_alu instid0(VALU_DEP_1) | instskip(NEXT) | instid1(VALU_DEP_1)
	v_div_fmas_f64 v[2:3], v[2:3], v[6:7], v[24:25]
	v_div_fixup_f64 v[2:3], v[2:3], v[26:27], 0
	s_delay_alu instid0(VALU_DEP_1) | instskip(NEXT) | instid1(VALU_DEP_1)
	v_fma_f64 v[6:7], v[2:3], 0, v[26:27]
	v_div_scale_f64 v[24:25], null, v[6:7], v[6:7], 1.0
	v_div_scale_f64 v[38:39], vcc_lo, 1.0, v[6:7], 1.0
	s_delay_alu instid0(VALU_DEP_2) | instskip(SKIP_2) | instid1(VALU_DEP_1)
	v_rcp_f64_e32 v[26:27], v[24:25]
	s_waitcnt_depctr 0xfff
	v_fma_f64 v[30:31], -v[24:25], v[26:27], 1.0
	v_fma_f64 v[26:27], v[26:27], v[30:31], v[26:27]
	s_delay_alu instid0(VALU_DEP_1) | instskip(NEXT) | instid1(VALU_DEP_1)
	v_fma_f64 v[30:31], -v[24:25], v[26:27], 1.0
	v_fma_f64 v[26:27], v[26:27], v[30:31], v[26:27]
	s_delay_alu instid0(VALU_DEP_1) | instskip(NEXT) | instid1(VALU_DEP_1)
	v_mul_f64 v[30:31], v[38:39], v[26:27]
	v_fma_f64 v[24:25], -v[24:25], v[30:31], v[38:39]
	s_delay_alu instid0(VALU_DEP_1) | instskip(SKIP_2) | instid1(VALU_DEP_3)
	v_div_fmas_f64 v[24:25], v[24:25], v[26:27], v[30:31]
	v_fma_f64 v[26:27], v[2:3], v[4:5], v[28:29]
	v_fma_f64 v[2:3], -v[2:3], v[28:29], v[4:5]
	v_div_fixup_f64 v[6:7], v[24:25], v[6:7], 1.0
	s_delay_alu instid0(VALU_DEP_1) | instskip(NEXT) | instid1(VALU_DEP_3)
	v_mul_f64 v[24:25], v[6:7], v[26:27]
	v_mul_f64 v[2:3], v[6:7], v[2:3]
.LBB118_76:                             ;   in Loop: Header=BB118_48 Depth=3
	s_or_b32 exec_lo, exec_lo, s6
.LBB118_77:                             ;   in Loop: Header=BB118_48 Depth=3
	s_delay_alu instid0(SALU_CYCLE_1) | instskip(NEXT) | instid1(VALU_DEP_1)
	s_or_b32 exec_lo, exec_lo, s26
	v_dual_mov_b32 v4, v2 :: v_dual_mov_b32 v5, v3
	ds_store_b64 v32, v[20:21]
	ds_store_2addr_b64 v33, v[24:25], v[4:5] offset1:1
.LBB118_78:                             ;   in Loop: Header=BB118_48 Depth=3
	s_or_b32 exec_lo, exec_lo, s7
	s_and_b32 s4, s4, s5
	s_mov_b32 s6, 0
	s_waitcnt lgkmcnt(0)
	s_barrier
	buffer_gl0_inv
	s_and_saveexec_b32 s5, s4
	s_cbranch_execz .LBB118_90
; %bb.79:                               ;   in Loop: Header=BB118_48 Depth=3
	ds_load_b64 v[20:21], v32
	ds_load_2addr_b64 v[0:3], v33 offset1:1
	s_mov_b32 s4, 0
	s_and_saveexec_b32 s26, s0
	s_cbranch_execz .LBB118_89
; %bb.80:                               ;   in Loop: Header=BB118_48 Depth=3
	v_mad_u64_u32 v[4:5], null, v23, s11, v[12:13]
	v_mad_u64_u32 v[6:7], null, v14, s11, v[12:13]
	v_mul_lo_u32 v26, v23, s15
	v_mul_lo_u32 v27, v14, s15
	v_dual_mov_b32 v28, v34 :: v_dual_mov_b32 v29, v15
	v_ashrrev_i32_e32 v5, 31, v4
	s_mov_b32 s27, 0
	v_ashrrev_i32_e32 v7, 31, v6
	s_mov_b64 s[6:7], s[42:43]
	s_delay_alu instid0(VALU_DEP_2) | instskip(NEXT) | instid1(VALU_DEP_2)
	v_lshlrev_b64 v[4:5], 4, v[4:5]
	v_lshlrev_b64 v[6:7], 4, v[6:7]
	s_branch .LBB118_83
.LBB118_81:                             ;   in Loop: Header=BB118_83 Depth=4
	s_or_b32 exec_lo, exec_lo, s48
.LBB118_82:                             ;   in Loop: Header=BB118_83 Depth=4
	v_add_nc_u32_e32 v29, s33, v29
	v_add_nc_u32_e32 v28, s12, v28
	s_add_u32 s6, s6, s28
	s_addc_u32 s7, s7, s29
	s_delay_alu instid0(VALU_DEP_2) | instskip(SKIP_1) | instid1(SALU_CYCLE_1)
	v_cmp_le_i32_e32 vcc_lo, s40, v29
	s_or_b32 s27, vcc_lo, s27
	s_and_not1_b32 exec_lo, exec_lo, s27
	s_cbranch_execz .LBB118_88
.LBB118_83:                             ;   Parent Loop BB118_43 Depth=1
                                        ;     Parent Loop BB118_46 Depth=2
                                        ;       Parent Loop BB118_48 Depth=3
                                        ; =>      This Inner Loop Header: Depth=4
	s_delay_alu instid0(VALU_DEP_1) | instskip(NEXT) | instid1(VALU_DEP_2)
	v_add_co_u32 v18, vcc_lo, s6, v6
	v_add_co_ci_u32_e32 v19, vcc_lo, s7, v7, vcc_lo
	s_delay_alu instid0(VALU_DEP_4)
	v_add_co_u32 v24, vcc_lo, s6, v4
	v_add_co_ci_u32_e32 v25, vcc_lo, s7, v5, vcc_lo
	v_cmp_gt_i32_e64 s4, s11, v28
	s_clause 0x1
	global_load_b128 v[38:41], v[18:19], off
	global_load_b128 v[42:45], v[24:25], off
	s_waitcnt vmcnt(1) lgkmcnt(0)
	v_mul_f64 v[30:31], v[2:3], v[40:41]
	v_mul_f64 v[46:47], v[2:3], v[38:39]
	s_waitcnt vmcnt(0)
	v_mul_f64 v[48:49], v[0:1], v[42:43]
	v_mul_f64 v[50:51], v[0:1], v[44:45]
	s_delay_alu instid0(VALU_DEP_4) | instskip(NEXT) | instid1(VALU_DEP_4)
	v_fma_f64 v[30:31], v[0:1], v[38:39], v[30:31]
	v_fma_f64 v[46:47], v[0:1], v[40:41], -v[46:47]
	s_delay_alu instid0(VALU_DEP_4) | instskip(NEXT) | instid1(VALU_DEP_4)
	v_fma_f64 v[48:49], v[2:3], v[44:45], -v[48:49]
	v_fma_f64 v[50:51], v[42:43], -v[2:3], -v[50:51]
	s_delay_alu instid0(VALU_DEP_4) | instskip(NEXT) | instid1(VALU_DEP_4)
	v_fma_f64 v[42:43], v[20:21], v[42:43], v[30:31]
	v_fma_f64 v[44:45], v[20:21], v[44:45], v[46:47]
	s_delay_alu instid0(VALU_DEP_4) | instskip(NEXT) | instid1(VALU_DEP_4)
	v_fma_f64 v[38:39], v[20:21], v[38:39], v[48:49]
	v_fma_f64 v[40:41], v[20:21], v[40:41], v[50:51]
	s_clause 0x1
	global_store_b128 v[24:25], v[42:45], off
	global_store_b128 v[18:19], v[38:41], off
	s_and_saveexec_b32 s48, s4
	s_cbranch_execz .LBB118_85
; %bb.84:                               ;   in Loop: Header=BB118_83 Depth=4
	s_clause 0x1
	global_load_b128 v[38:41], v[18:19], off offset:16
	global_load_b128 v[42:45], v[24:25], off offset:16
	s_waitcnt vmcnt(1)
	v_mul_f64 v[30:31], v[2:3], v[40:41]
	v_mul_f64 v[46:47], v[2:3], v[38:39]
	s_waitcnt vmcnt(0)
	v_mul_f64 v[48:49], v[0:1], v[42:43]
	v_mul_f64 v[50:51], v[0:1], v[44:45]
	s_delay_alu instid0(VALU_DEP_4) | instskip(NEXT) | instid1(VALU_DEP_4)
	v_fma_f64 v[30:31], v[0:1], v[38:39], v[30:31]
	v_fma_f64 v[46:47], v[0:1], v[40:41], -v[46:47]
	s_delay_alu instid0(VALU_DEP_4) | instskip(NEXT) | instid1(VALU_DEP_4)
	v_fma_f64 v[48:49], v[2:3], v[44:45], -v[48:49]
	v_fma_f64 v[50:51], v[42:43], -v[2:3], -v[50:51]
	s_delay_alu instid0(VALU_DEP_4) | instskip(NEXT) | instid1(VALU_DEP_4)
	v_fma_f64 v[42:43], v[20:21], v[42:43], v[30:31]
	v_fma_f64 v[44:45], v[20:21], v[44:45], v[46:47]
	s_delay_alu instid0(VALU_DEP_4) | instskip(NEXT) | instid1(VALU_DEP_4)
	v_fma_f64 v[38:39], v[20:21], v[38:39], v[48:49]
	v_fma_f64 v[40:41], v[20:21], v[40:41], v[50:51]
	s_clause 0x1
	global_store_b128 v[24:25], v[42:45], off offset:16
	global_store_b128 v[18:19], v[38:41], off offset:16
.LBB118_85:                             ;   in Loop: Header=BB118_83 Depth=4
	s_or_b32 exec_lo, exec_lo, s48
	s_delay_alu instid0(SALU_CYCLE_1)
	s_and_not1_b32 vcc_lo, exec_lo, s60
	s_cbranch_vccnz .LBB118_82
; %bb.86:                               ;   in Loop: Header=BB118_83 Depth=4
	v_add3_u32 v18, v27, v28, -1
	v_add3_u32 v24, v26, v28, -1
	s_delay_alu instid0(VALU_DEP_2) | instskip(NEXT) | instid1(VALU_DEP_2)
	v_ashrrev_i32_e32 v19, 31, v18
	v_ashrrev_i32_e32 v25, 31, v24
	s_delay_alu instid0(VALU_DEP_2) | instskip(NEXT) | instid1(VALU_DEP_2)
	v_lshlrev_b64 v[18:19], 4, v[18:19]
	v_lshlrev_b64 v[24:25], 4, v[24:25]
	s_delay_alu instid0(VALU_DEP_2) | instskip(NEXT) | instid1(VALU_DEP_3)
	v_add_co_u32 v18, vcc_lo, s34, v18
	v_add_co_ci_u32_e32 v19, vcc_lo, s35, v19, vcc_lo
	s_delay_alu instid0(VALU_DEP_3) | instskip(NEXT) | instid1(VALU_DEP_4)
	v_add_co_u32 v24, vcc_lo, s34, v24
	v_add_co_ci_u32_e32 v25, vcc_lo, s35, v25, vcc_lo
	s_clause 0x1
	global_load_b128 v[38:41], v[18:19], off
	global_load_b128 v[42:45], v[24:25], off
	s_waitcnt vmcnt(1)
	v_mul_f64 v[30:31], v[2:3], v[40:41]
	v_mul_f64 v[46:47], v[2:3], v[38:39]
	s_waitcnt vmcnt(0)
	v_mul_f64 v[48:49], v[0:1], v[42:43]
	v_mul_f64 v[50:51], v[0:1], v[44:45]
	s_delay_alu instid0(VALU_DEP_4) | instskip(NEXT) | instid1(VALU_DEP_4)
	v_fma_f64 v[30:31], v[0:1], v[38:39], v[30:31]
	v_fma_f64 v[46:47], v[0:1], v[40:41], -v[46:47]
	s_delay_alu instid0(VALU_DEP_4) | instskip(NEXT) | instid1(VALU_DEP_4)
	v_fma_f64 v[48:49], v[2:3], v[44:45], -v[48:49]
	v_fma_f64 v[50:51], v[42:43], -v[2:3], -v[50:51]
	s_delay_alu instid0(VALU_DEP_4) | instskip(NEXT) | instid1(VALU_DEP_4)
	v_fma_f64 v[42:43], v[20:21], v[42:43], v[30:31]
	v_fma_f64 v[44:45], v[20:21], v[44:45], v[46:47]
	s_delay_alu instid0(VALU_DEP_4) | instskip(NEXT) | instid1(VALU_DEP_4)
	v_fma_f64 v[38:39], v[20:21], v[38:39], v[48:49]
	v_fma_f64 v[40:41], v[20:21], v[40:41], v[50:51]
	s_clause 0x1
	global_store_b128 v[24:25], v[42:45], off
	global_store_b128 v[18:19], v[38:41], off
	s_and_saveexec_b32 s48, s4
	s_cbranch_execz .LBB118_81
; %bb.87:                               ;   in Loop: Header=BB118_83 Depth=4
	s_clause 0x1
	global_load_b128 v[38:41], v[18:19], off offset:16
	global_load_b128 v[42:45], v[24:25], off offset:16
	s_waitcnt vmcnt(1)
	v_mul_f64 v[30:31], v[2:3], v[40:41]
	v_mul_f64 v[46:47], v[2:3], v[38:39]
	s_waitcnt vmcnt(0)
	v_mul_f64 v[48:49], v[0:1], v[42:43]
	v_mul_f64 v[50:51], v[0:1], v[44:45]
	s_delay_alu instid0(VALU_DEP_4) | instskip(NEXT) | instid1(VALU_DEP_4)
	v_fma_f64 v[30:31], v[0:1], v[38:39], v[30:31]
	v_fma_f64 v[46:47], v[0:1], v[40:41], -v[46:47]
	s_delay_alu instid0(VALU_DEP_4) | instskip(NEXT) | instid1(VALU_DEP_4)
	v_fma_f64 v[48:49], v[2:3], v[44:45], -v[48:49]
	v_fma_f64 v[50:51], v[42:43], -v[2:3], -v[50:51]
	s_delay_alu instid0(VALU_DEP_4) | instskip(NEXT) | instid1(VALU_DEP_4)
	v_fma_f64 v[42:43], v[20:21], v[42:43], v[30:31]
	v_fma_f64 v[44:45], v[20:21], v[44:45], v[46:47]
	s_delay_alu instid0(VALU_DEP_4) | instskip(NEXT) | instid1(VALU_DEP_4)
	v_fma_f64 v[38:39], v[20:21], v[38:39], v[48:49]
	v_fma_f64 v[40:41], v[20:21], v[40:41], v[50:51]
	s_clause 0x1
	global_store_b128 v[24:25], v[42:45], off offset:16
	global_store_b128 v[18:19], v[38:41], off offset:16
	s_branch .LBB118_81
.LBB118_88:                             ;   in Loop: Header=BB118_48 Depth=3
	s_or_b32 exec_lo, exec_lo, s27
	s_delay_alu instid0(SALU_CYCLE_1)
	s_mov_b32 s4, exec_lo
.LBB118_89:                             ;   in Loop: Header=BB118_48 Depth=3
	s_or_b32 exec_lo, exec_lo, s26
	s_waitcnt lgkmcnt(0)
	v_dual_mov_b32 v18, v2 :: v_dual_mov_b32 v25, v1
	v_xor_b32_e32 v19, 0x80000000, v3
	v_mov_b32_e32 v24, v0
	s_and_b32 s6, s4, exec_lo
.LBB118_90:                             ;   in Loop: Header=BB118_48 Depth=3
	s_or_b32 exec_lo, exec_lo, s5
	s_waitcnt_vscnt null, 0x0
	s_barrier
	buffer_gl0_inv
	s_and_saveexec_b32 s4, s6
	s_cbranch_execz .LBB118_95
; %bb.91:                               ;   in Loop: Header=BB118_48 Depth=3
	v_add_nc_u32_e32 v4, v35, v23
	v_dual_mov_b32 v26, v34 :: v_dual_add_nc_u32 v5, v35, v14
	v_dual_mov_b32 v27, v15 :: v_dual_add_nc_u32 v6, v36, v14
	v_add_nc_u32_e32 v7, v36, v23
	s_mov_b32 s5, 0
	s_mov_b32 s6, 0
	s_branch .LBB118_93
.LBB118_92:                             ;   in Loop: Header=BB118_93 Depth=4
	s_or_b32 exec_lo, exec_lo, s7
	v_add_nc_u32_e32 v27, s33, v27
	v_add_nc_u32_e32 v26, s12, v26
	s_add_i32 s6, s6, s66
	s_delay_alu instid0(VALU_DEP_2) | instskip(SKIP_1) | instid1(SALU_CYCLE_1)
	v_cmp_le_i32_e32 vcc_lo, s40, v27
	s_or_b32 s5, vcc_lo, s5
	s_and_not1_b32 exec_lo, exec_lo, s5
	s_cbranch_execz .LBB118_95
.LBB118_93:                             ;   Parent Loop BB118_43 Depth=1
                                        ;     Parent Loop BB118_46 Depth=2
                                        ;       Parent Loop BB118_48 Depth=3
                                        ; =>      This Inner Loop Header: Depth=4
	v_add_nc_u32_e32 v28, s6, v6
	v_add_nc_u32_e32 v30, s6, v7
	s_mov_b32 s7, exec_lo
	s_delay_alu instid0(VALU_DEP_2) | instskip(NEXT) | instid1(VALU_DEP_2)
	v_ashrrev_i32_e32 v29, 31, v28
	v_ashrrev_i32_e32 v31, 31, v30
	s_delay_alu instid0(VALU_DEP_2) | instskip(NEXT) | instid1(VALU_DEP_2)
	v_lshlrev_b64 v[28:29], 4, v[28:29]
	v_lshlrev_b64 v[30:31], 4, v[30:31]
	s_delay_alu instid0(VALU_DEP_2) | instskip(NEXT) | instid1(VALU_DEP_3)
	v_add_co_u32 v42, vcc_lo, s42, v28
	v_add_co_ci_u32_e32 v43, vcc_lo, s43, v29, vcc_lo
	s_delay_alu instid0(VALU_DEP_3) | instskip(NEXT) | instid1(VALU_DEP_4)
	v_add_co_u32 v44, vcc_lo, s42, v30
	v_add_co_ci_u32_e32 v45, vcc_lo, s43, v31, vcc_lo
	s_clause 0x1
	global_load_b128 v[28:31], v[42:43], off
	global_load_b128 v[38:41], v[44:45], off
	s_waitcnt vmcnt(1)
	v_mul_f64 v[46:47], v[2:3], v[30:31]
	v_mul_f64 v[48:49], v[24:25], v[30:31]
	s_waitcnt vmcnt(0)
	v_mul_f64 v[50:51], v[0:1], v[38:39]
	v_mul_f64 v[52:53], v[0:1], v[40:41]
	s_delay_alu instid0(VALU_DEP_4) | instskip(NEXT) | instid1(VALU_DEP_4)
	v_fma_f64 v[46:47], v[24:25], v[28:29], -v[46:47]
	v_fma_f64 v[48:49], v[2:3], v[28:29], v[48:49]
	s_delay_alu instid0(VALU_DEP_4) | instskip(NEXT) | instid1(VALU_DEP_4)
	v_fma_f64 v[50:51], v[18:19], v[40:41], -v[50:51]
	v_fma_f64 v[52:53], v[38:39], -v[18:19], -v[52:53]
	s_delay_alu instid0(VALU_DEP_4) | instskip(NEXT) | instid1(VALU_DEP_4)
	v_fma_f64 v[38:39], v[20:21], v[38:39], v[46:47]
	v_fma_f64 v[40:41], v[20:21], v[40:41], v[48:49]
	s_delay_alu instid0(VALU_DEP_4) | instskip(NEXT) | instid1(VALU_DEP_4)
	v_fma_f64 v[28:29], v[20:21], v[28:29], v[50:51]
	v_fma_f64 v[30:31], v[20:21], v[30:31], v[52:53]
	s_clause 0x1
	global_store_b128 v[44:45], v[38:41], off
	global_store_b128 v[42:43], v[28:31], off
	v_cmpx_gt_i32_e64 s11, v26
	s_cbranch_execz .LBB118_92
; %bb.94:                               ;   in Loop: Header=BB118_93 Depth=4
	v_add_nc_u32_e32 v28, s6, v5
	v_add_nc_u32_e32 v30, s6, v4
	s_delay_alu instid0(VALU_DEP_2) | instskip(NEXT) | instid1(VALU_DEP_2)
	v_ashrrev_i32_e32 v29, 31, v28
	v_ashrrev_i32_e32 v31, 31, v30
	s_delay_alu instid0(VALU_DEP_2) | instskip(NEXT) | instid1(VALU_DEP_2)
	v_lshlrev_b64 v[28:29], 4, v[28:29]
	v_lshlrev_b64 v[30:31], 4, v[30:31]
	s_delay_alu instid0(VALU_DEP_2) | instskip(NEXT) | instid1(VALU_DEP_3)
	v_add_co_u32 v42, vcc_lo, s42, v28
	v_add_co_ci_u32_e32 v43, vcc_lo, s43, v29, vcc_lo
	s_delay_alu instid0(VALU_DEP_3) | instskip(NEXT) | instid1(VALU_DEP_4)
	v_add_co_u32 v44, vcc_lo, s42, v30
	v_add_co_ci_u32_e32 v45, vcc_lo, s43, v31, vcc_lo
	s_clause 0x1
	global_load_b128 v[28:31], v[42:43], off
	global_load_b128 v[38:41], v[44:45], off
	s_waitcnt vmcnt(1)
	v_mul_f64 v[46:47], v[2:3], v[30:31]
	v_mul_f64 v[48:49], v[24:25], v[30:31]
	s_waitcnt vmcnt(0)
	v_mul_f64 v[50:51], v[0:1], v[38:39]
	v_mul_f64 v[52:53], v[0:1], v[40:41]
	s_delay_alu instid0(VALU_DEP_4) | instskip(NEXT) | instid1(VALU_DEP_4)
	v_fma_f64 v[46:47], v[24:25], v[28:29], -v[46:47]
	v_fma_f64 v[48:49], v[2:3], v[28:29], v[48:49]
	s_delay_alu instid0(VALU_DEP_4) | instskip(NEXT) | instid1(VALU_DEP_4)
	v_fma_f64 v[50:51], v[18:19], v[40:41], -v[50:51]
	v_fma_f64 v[52:53], v[38:39], -v[18:19], -v[52:53]
	s_delay_alu instid0(VALU_DEP_4) | instskip(NEXT) | instid1(VALU_DEP_4)
	v_fma_f64 v[38:39], v[20:21], v[38:39], v[46:47]
	v_fma_f64 v[40:41], v[20:21], v[40:41], v[48:49]
	s_delay_alu instid0(VALU_DEP_4) | instskip(NEXT) | instid1(VALU_DEP_4)
	v_fma_f64 v[28:29], v[20:21], v[28:29], v[50:51]
	v_fma_f64 v[30:31], v[20:21], v[30:31], v[52:53]
	s_clause 0x1
	global_store_b128 v[44:45], v[38:41], off
	global_store_b128 v[42:43], v[28:31], off
	s_branch .LBB118_92
.LBB118_95:                             ;   in Loop: Header=BB118_48 Depth=3
	s_or_b32 exec_lo, exec_lo, s4
	s_waitcnt_vscnt null, 0x0
	s_barrier
	buffer_gl0_inv
	s_and_saveexec_b32 s4, s25
	s_cbranch_execz .LBB118_97
; %bb.96:                               ;   in Loop: Header=BB118_48 Depth=3
	v_mad_u64_u32 v[4:5], null, v14, s11, v[23:24]
	v_mad_u64_u32 v[26:27], null, v23, s11, v[14:15]
	s_mov_b32 s25, s24
	s_mov_b32 s26, s24
	;; [unrolled: 1-line block ×3, first 2 shown]
	s_delay_alu instid0(VALU_DEP_2) | instskip(NEXT) | instid1(VALU_DEP_2)
	v_ashrrev_i32_e32 v5, 31, v4
	v_ashrrev_i32_e32 v27, 31, v26
	s_delay_alu instid0(VALU_DEP_2) | instskip(SKIP_1) | instid1(VALU_DEP_3)
	v_lshlrev_b64 v[28:29], 4, v[4:5]
	v_dual_mov_b32 v4, s24 :: v_dual_mov_b32 v5, s25
	v_lshlrev_b64 v[26:27], 4, v[26:27]
	v_dual_mov_b32 v6, s26 :: v_dual_mov_b32 v7, s27
	s_delay_alu instid0(VALU_DEP_4) | instskip(SKIP_1) | instid1(VALU_DEP_4)
	v_add_co_u32 v28, vcc_lo, s42, v28
	v_add_co_ci_u32_e32 v29, vcc_lo, s43, v29, vcc_lo
	v_add_co_u32 v26, vcc_lo, s42, v26
	v_add_co_ci_u32_e32 v27, vcc_lo, s43, v27, vcc_lo
	s_clause 0x1
	global_store_b128 v[28:29], v[4:7], off
	global_store_b128 v[26:27], v[4:7], off
.LBB118_97:                             ;   in Loop: Header=BB118_48 Depth=3
	s_or_b32 exec_lo, exec_lo, s4
	s_and_b32 s3, s2, s3
	s_waitcnt_vscnt null, 0x0
	s_barrier
	buffer_gl0_inv
	s_and_saveexec_b32 s4, s3
	s_cbranch_execz .LBB118_109
; %bb.98:                               ;   in Loop: Header=BB118_48 Depth=3
	s_mov_b32 s5, exec_lo
	v_cmpx_lt_i32_e32 0, v23
	s_cbranch_execz .LBB118_104
; %bb.99:                               ;   in Loop: Header=BB118_48 Depth=3
	v_cmp_ne_u32_e32 vcc_lo, 2, v23
	v_cmp_ne_u32_e64 s3, s55, v23
                                        ; implicit-def: $vgpr4
	s_delay_alu instid0(VALU_DEP_1) | instskip(NEXT) | instid1(SALU_CYCLE_1)
	s_and_b32 s3, vcc_lo, s3
	s_and_saveexec_b32 s6, s3
	s_delay_alu instid0(SALU_CYCLE_1)
	s_xor_b32 s3, exec_lo, s6
; %bb.100:                              ;   in Loop: Header=BB118_48 Depth=3
	v_and_b32_e32 v4, 1, v23
	s_delay_alu instid0(VALU_DEP_1) | instskip(SKIP_1) | instid1(VALU_DEP_1)
	v_cmp_eq_u32_e32 vcc_lo, 0, v4
	v_cndmask_b32_e64 v4, 2, -2, vcc_lo
	v_add_nc_u32_e32 v4, v4, v23
                                        ; implicit-def: $vgpr23
; %bb.101:                              ;   in Loop: Header=BB118_48 Depth=3
	s_and_not1_saveexec_b32 s3, s3
; %bb.102:                              ;   in Loop: Header=BB118_48 Depth=3
	v_add_nc_u32_e32 v4, -1, v23
; %bb.103:                              ;   in Loop: Header=BB118_48 Depth=3
	s_or_b32 exec_lo, exec_lo, s3
	v_lshl_add_u32 v5, v22, 2, s53
	ds_store_b32 v5, v4
.LBB118_104:                            ;   in Loop: Header=BB118_48 Depth=3
	s_or_b32 exec_lo, exec_lo, s5
	v_cmp_ne_u32_e32 vcc_lo, 2, v14
	v_cmp_ne_u32_e64 s3, s55, v14
                                        ; implicit-def: $vgpr4
	s_delay_alu instid0(VALU_DEP_1) | instskip(NEXT) | instid1(SALU_CYCLE_1)
	s_and_b32 s3, vcc_lo, s3
	s_and_saveexec_b32 s5, s3
	s_delay_alu instid0(SALU_CYCLE_1)
	s_xor_b32 s3, exec_lo, s5
; %bb.105:                              ;   in Loop: Header=BB118_48 Depth=3
	v_and_b32_e32 v4, 1, v14
	s_delay_alu instid0(VALU_DEP_1) | instskip(SKIP_1) | instid1(VALU_DEP_1)
	v_cmp_eq_u32_e32 vcc_lo, 0, v4
	v_cndmask_b32_e64 v4, 2, -2, vcc_lo
	v_add_nc_u32_e32 v4, v4, v14
                                        ; implicit-def: $vgpr14
; %bb.106:                              ;   in Loop: Header=BB118_48 Depth=3
	s_and_not1_saveexec_b32 s3, s3
; %bb.107:                              ;   in Loop: Header=BB118_48 Depth=3
	v_add_nc_u32_e32 v4, -1, v14
; %bb.108:                              ;   in Loop: Header=BB118_48 Depth=3
	s_or_b32 exec_lo, exec_lo, s3
	ds_store_b32 v37, v4
.LBB118_109:                            ;   in Loop: Header=BB118_48 Depth=3
	s_or_b32 exec_lo, exec_lo, s4
	s_add_i32 s3, s45, 1
	s_cmp_eq_u32 s45, s56
	s_waitcnt lgkmcnt(0)
	s_barrier
	buffer_gl0_inv
	s_cbranch_scc1 .LBB118_45
; %bb.110:                              ;   in Loop: Header=BB118_48 Depth=3
	s_mov_b32 s45, s3
	s_branch .LBB118_48
.LBB118_111:                            ;   in Loop: Header=BB118_43 Depth=1
	s_and_saveexec_b32 s4, s2
	s_cbranch_execz .LBB118_121
; %bb.112:                              ;   in Loop: Header=BB118_43 Depth=1
	v_mov_b32_e32 v4, 0
	v_mov_b32_e32 v5, 0
	s_and_saveexec_b32 s5, s1
	s_cbranch_execz .LBB118_120
; %bb.113:                              ;   in Loop: Header=BB118_43 Depth=1
	v_mov_b32_e32 v4, 0
	v_dual_mov_b32 v5, 0 :: v_dual_mov_b32 v6, v16
	v_mov_b32_e32 v7, v17
	v_mov_b32_e32 v14, v13
	s_mov_b32 s6, 0
	s_set_inst_prefetch_distance 0x1
	s_branch .LBB118_115
	.p2align	6
.LBB118_114:                            ;   in Loop: Header=BB118_115 Depth=2
	s_or_b32 exec_lo, exec_lo, s7
	v_add_nc_u32_e32 v14, s14, v14
	v_add_co_u32 v6, s3, v6, s36
	s_delay_alu instid0(VALU_DEP_1) | instskip(NEXT) | instid1(VALU_DEP_3)
	v_add_co_ci_u32_e64 v7, s3, s37, v7, s3
	v_cmp_le_i32_e32 vcc_lo, s11, v14
	s_or_b32 s6, vcc_lo, s6
	s_delay_alu instid0(SALU_CYCLE_1)
	s_and_not1_b32 exec_lo, exec_lo, s6
	s_cbranch_execz .LBB118_119
.LBB118_115:                            ;   Parent Loop BB118_43 Depth=1
                                        ; =>  This Loop Header: Depth=2
                                        ;       Child Loop BB118_117 Depth 3
	s_mov_b32 s7, exec_lo
	v_cmpx_lt_i32_e32 0, v14
	s_cbranch_execz .LBB118_114
; %bb.116:                              ;   in Loop: Header=BB118_115 Depth=2
	v_dual_mov_b32 v23, v7 :: v_dual_mov_b32 v22, v6
	s_mov_b32 s25, 0
	s_mov_b32 s26, 0
	.p2align	6
.LBB118_117:                            ;   Parent Loop BB118_43 Depth=1
                                        ;     Parent Loop BB118_115 Depth=2
                                        ; =>    This Inner Loop Header: Depth=3
	global_load_b128 v[26:29], v[22:23], off offset:-8
	s_add_i32 s26, s26, 1
	v_add_co_u32 v22, s3, v22, s38
	v_cmp_ge_i32_e32 vcc_lo, s26, v14
	v_add_co_ci_u32_e64 v23, s3, s39, v23, s3
	s_or_b32 s25, vcc_lo, s25
	s_waitcnt vmcnt(0)
	v_mul_f64 v[28:29], v[28:29], v[28:29]
	s_delay_alu instid0(VALU_DEP_1) | instskip(NEXT) | instid1(VALU_DEP_1)
	v_fma_f64 v[26:27], v[26:27], v[26:27], v[28:29]
	v_fma_f64 v[4:5], v[26:27], 2.0, v[4:5]
	s_and_not1_b32 exec_lo, exec_lo, s25
	s_cbranch_execnz .LBB118_117
; %bb.118:                              ;   in Loop: Header=BB118_115 Depth=2
	s_or_b32 exec_lo, exec_lo, s25
	s_branch .LBB118_114
.LBB118_119:                            ;   in Loop: Header=BB118_43 Depth=1
	s_set_inst_prefetch_distance 0x2
	s_or_b32 exec_lo, exec_lo, s6
.LBB118_120:                            ;   in Loop: Header=BB118_43 Depth=1
	s_delay_alu instid0(SALU_CYCLE_1)
	s_or_b32 exec_lo, exec_lo, s5
	ds_store_b64 v32, v[4:5]
.LBB118_121:                            ;   in Loop: Header=BB118_43 Depth=1
	s_or_b32 exec_lo, exec_lo, s4
	v_mov_b32_e32 v4, 0
	v_mov_b32_e32 v5, 0
	s_and_not1_b32 vcc_lo, exec_lo, s10
	s_waitcnt lgkmcnt(0)
	s_barrier
	buffer_gl0_inv
	s_cbranch_vccnz .LBB118_42
; %bb.122:                              ;   in Loop: Header=BB118_43 Depth=1
	s_mov_b32 s3, 0
	s_and_not1_b32 vcc_lo, exec_lo, s63
	s_cbranch_vccnz .LBB118_126
; %bb.123:                              ;   in Loop: Header=BB118_43 Depth=1
	s_mov_b32 s4, 0
	.p2align	6
.LBB118_124:                            ;   Parent Loop BB118_43 Depth=1
                                        ; =>  This Inner Loop Header: Depth=2
	s_delay_alu instid0(SALU_CYCLE_1)
	v_mov_b32_e32 v14, s4
	s_add_i32 s3, s3, 8
	s_add_i32 s4, s4, 64
	s_cmp_lg_u32 s64, s3
	ds_load_2addr_b64 v[26:29], v14 offset1:1
	ds_load_2addr_b64 v[37:40], v14 offset0:2 offset1:3
	s_waitcnt lgkmcnt(1)
	v_add_f64 v[4:5], v[4:5], v[26:27]
	s_delay_alu instid0(VALU_DEP_1) | instskip(SKIP_1) | instid1(VALU_DEP_1)
	v_add_f64 v[4:5], v[4:5], v[28:29]
	s_waitcnt lgkmcnt(0)
	v_add_f64 v[4:5], v[4:5], v[37:38]
	s_delay_alu instid0(VALU_DEP_1) | instskip(SKIP_4) | instid1(VALU_DEP_1)
	v_add_f64 v[22:23], v[4:5], v[39:40]
	ds_load_2addr_b64 v[4:7], v14 offset0:4 offset1:5
	ds_load_2addr_b64 v[26:29], v14 offset0:6 offset1:7
	s_waitcnt lgkmcnt(1)
	v_add_f64 v[4:5], v[22:23], v[4:5]
	v_add_f64 v[4:5], v[4:5], v[6:7]
	s_waitcnt lgkmcnt(0)
	s_delay_alu instid0(VALU_DEP_1) | instskip(NEXT) | instid1(VALU_DEP_1)
	v_add_f64 v[4:5], v[4:5], v[26:27]
	v_add_f64 v[4:5], v[4:5], v[28:29]
	s_cbranch_scc1 .LBB118_124
; %bb.125:                              ;   in Loop: Header=BB118_43 Depth=1
	s_mov_b32 s3, s64
.LBB118_126:                            ;   in Loop: Header=BB118_43 Depth=1
	s_and_not1_b32 vcc_lo, exec_lo, s65
	s_cbranch_vccnz .LBB118_42
; %bb.127:                              ;   in Loop: Header=BB118_43 Depth=1
	s_lshl_b32 s3, s3, 3
	s_mov_b32 s4, s62
	s_add_i32 s3, s3, 0
.LBB118_128:                            ;   Parent Loop BB118_43 Depth=1
                                        ; =>  This Inner Loop Header: Depth=2
	s_delay_alu instid0(SALU_CYCLE_1)
	v_mov_b32_e32 v6, s3
	s_add_i32 s4, s4, -1
	s_add_i32 s3, s3, 8
	s_cmp_lg_u32 s4, 0
	ds_load_b64 v[6:7], v6
	s_waitcnt lgkmcnt(0)
	v_add_f64 v[4:5], v[4:5], v[6:7]
	s_cbranch_scc1 .LBB118_128
	s_branch .LBB118_42
.LBB118_129:
	s_mul_i32 s0, s46, s21
	s_mul_hi_u32 s1, s46, s20
	s_mul_i32 s3, s47, s20
	s_add_i32 s0, s1, s0
	s_mul_i32 s4, s46, s20
	s_add_i32 s5, s0, s3
	s_and_saveexec_b32 s1, s2
	s_cbranch_execz .LBB118_135
; %bb.130:
	s_mov_b32 s0, exec_lo
	v_cmpx_eq_u32_e32 0, v13
	s_cbranch_execz .LBB118_132
; %bb.131:
	v_cmp_gt_f64_e32 vcc_lo, 0x10000000, v[4:5]
	s_lshl_b64 s[6:7], s[46:47], 3
	s_delay_alu instid0(SALU_CYCLE_1) | instskip(SKIP_2) | instid1(SALU_CYCLE_1)
	s_add_u32 s6, s30, s6
	s_addc_u32 s7, s31, s7
	s_lshl_b64 s[20:21], s[46:47], 2
	s_add_u32 s16, s16, s20
	s_addc_u32 s17, s17, s21
	s_add_u32 s20, s22, s20
	s_addc_u32 s21, s23, s21
	s_cmp_gt_i32 s13, s52
	s_cselect_b32 s3, -1, 0
	s_min_i32 s10, s13, s52
	v_cndmask_b32_e64 v0, 0, 1, vcc_lo
	s_and_b32 s12, vcc_lo, exec_lo
	s_cselect_b32 s12, 0xffffff80, 0
	s_delay_alu instid0(VALU_DEP_1) | instskip(NEXT) | instid1(VALU_DEP_1)
	v_lshlrev_b32_e32 v0, 8, v0
	v_ldexp_f64 v[0:1], v[4:5], v0
	s_delay_alu instid0(VALU_DEP_1) | instskip(SKIP_4) | instid1(VALU_DEP_1)
	v_rsq_f64_e32 v[2:3], v[0:1]
	v_cmp_class_f64_e64 vcc_lo, v[0:1], 0x260
	s_waitcnt_depctr 0xfff
	v_mul_f64 v[4:5], v[0:1], v[2:3]
	v_mul_f64 v[2:3], v[2:3], 0.5
	v_fma_f64 v[6:7], -v[2:3], v[4:5], 0.5
	s_delay_alu instid0(VALU_DEP_1) | instskip(SKIP_1) | instid1(VALU_DEP_2)
	v_fma_f64 v[4:5], v[4:5], v[6:7], v[4:5]
	v_fma_f64 v[2:3], v[2:3], v[6:7], v[2:3]
	v_fma_f64 v[6:7], -v[4:5], v[4:5], v[0:1]
	s_delay_alu instid0(VALU_DEP_1) | instskip(NEXT) | instid1(VALU_DEP_1)
	v_fma_f64 v[4:5], v[6:7], v[2:3], v[4:5]
	v_fma_f64 v[6:7], -v[4:5], v[4:5], v[0:1]
	s_delay_alu instid0(VALU_DEP_1) | instskip(SKIP_1) | instid1(VALU_DEP_2)
	v_fma_f64 v[2:3], v[6:7], v[2:3], v[4:5]
	v_mov_b32_e32 v4, 0
	v_ldexp_f64 v[2:3], v[2:3], s12
	s_delay_alu instid0(VALU_DEP_1)
	v_dual_cndmask_b32 v1, v3, v1 :: v_dual_cndmask_b32 v0, v2, v0
	v_mov_b32_e32 v2, s10
	v_cndmask_b32_e64 v3, 0, 1, s3
	s_clause 0x2
	global_store_b64 v4, v[0:1], s[6:7]
	global_store_b32 v4, v2, s[16:17]
	global_store_b32 v4, v3, s[20:21]
.LBB118_132:
	s_or_b32 exec_lo, exec_lo, s0
	v_cmp_gt_i32_e32 vcc_lo, s11, v13
	s_and_b32 exec_lo, exec_lo, vcc_lo
	s_cbranch_execz .LBB118_135
; %bb.133:
	v_ashrrev_i32_e32 v14, 31, v13
	s_lshl_b64 s[6:7], s[4:5], 3
	s_add_i32 s0, s11, 1
	s_add_u32 s3, s18, s6
	s_addc_u32 s6, s19, s7
	v_lshlrev_b64 v[0:1], 3, v[13:14]
	s_ashr_i32 s41, s40, 31
	s_ashr_i32 s45, s44, 31
	v_mad_u64_u32 v[2:3], null, v13, s11, v[13:14]
	v_cmp_lt_i64_e64 s7, s[40:41], s[44:45]
	s_delay_alu instid0(VALU_DEP_3) | instskip(SKIP_2) | instid1(VALU_DEP_4)
	v_add_co_u32 v0, vcc_lo, s3, v0
	v_add_co_ci_u32_e32 v1, vcc_lo, s6, v1, vcc_lo
	v_mov_b32_e32 v4, v13
	s_and_b32 s3, s7, exec_lo
	s_cselect_b32 s7, s41, s45
	s_cselect_b32 s6, s40, s44
	s_mul_i32 s3, s14, s0
	s_lshl_b64 s[6:7], s[6:7], 3
	s_mov_b32 s10, 0
	.p2align	6
.LBB118_134:                            ; =>This Inner Loop Header: Depth=1
	v_ashrrev_i32_e32 v3, 31, v2
	v_add_nc_u32_e32 v4, s14, v4
	s_delay_alu instid0(VALU_DEP_2) | instskip(SKIP_1) | instid1(VALU_DEP_2)
	v_lshlrev_b64 v[5:6], 4, v[2:3]
	v_add_nc_u32_e32 v2, s3, v2
	v_add_co_u32 v5, vcc_lo, s42, v5
	s_delay_alu instid0(VALU_DEP_3)
	v_add_co_ci_u32_e32 v6, vcc_lo, s43, v6, vcc_lo
	v_cmp_le_i32_e32 vcc_lo, s11, v4
	global_load_b64 v[5:6], v[5:6], off
	s_or_b32 s10, vcc_lo, s10
	s_waitcnt vmcnt(0)
	global_store_b64 v[0:1], v[5:6], off
	v_add_co_u32 v0, s0, v0, s6
	s_delay_alu instid0(VALU_DEP_1)
	v_add_co_ci_u32_e64 v1, s0, s7, v1, s0
	s_and_not1_b32 exec_lo, exec_lo, s10
	s_cbranch_execnz .LBB118_134
.LBB118_135:
	s_or_b32 exec_lo, exec_lo, s1
	s_cmpk_eq_i32 s8, 0xfb
	s_waitcnt_vscnt null, 0x0
	s_cselect_b32 s0, -1, 0
	s_cmp_lt_i32 s11, 2
	s_barrier
	s_cselect_b32 s1, -1, 0
	buffer_gl0_inv
	s_or_b32 s0, s0, s1
	s_delay_alu instid0(SALU_CYCLE_1)
	s_and_b32 vcc_lo, exec_lo, s0
	s_cbranch_vccnz .LBB118_146
; %bb.136:
	s_lshl_b64 s[4:5], s[4:5], 3
	v_cmp_gt_i32_e32 vcc_lo, s11, v13
	s_add_u32 s1, s4, s18
	s_addc_u32 s3, s5, s19
	s_cmpk_lg_i32 s9, 0xd5
	v_dual_mov_b32 v5, 0 :: v_dual_mov_b32 v0, v13
	s_cselect_b32 s0, -1, 0
	s_add_i32 s10, s11, -2
	s_and_b32 s20, s0, vcc_lo
	s_add_u32 s4, s1, 8
	s_addc_u32 s5, s3, 0
	s_ashr_i32 s41, s40, 31
	s_ashr_i32 s45, s44, 31
	v_cmp_eq_u32_e32 vcc_lo, 0, v13
	v_cmp_lt_i64_e64 s0, s[40:41], s[44:45]
	s_mov_b32 s7, 0
	s_delay_alu instid0(SALU_CYCLE_1) | instskip(NEXT) | instid1(VALU_DEP_1)
	s_mov_b32 s6, s7
	s_and_b32 s0, s0, exec_lo
	s_cselect_b32 s9, s41, s45
	s_cselect_b32 s8, s40, s44
	s_delay_alu instid0(SALU_CYCLE_1)
	s_lshl_b64 s[8:9], s[8:9], 4
	s_branch .LBB118_138
.LBB118_137:                            ;   in Loop: Header=BB118_138 Depth=1
	s_or_b32 exec_lo, exec_lo, s18
	v_add_nc_u32_e32 v0, s15, v0
	s_add_u32 s4, s4, 8
	s_addc_u32 s5, s5, 0
	s_cmp_lg_u32 s6, s10
	s_mov_b32 s6, s21
	s_waitcnt_vscnt null, 0x0
	s_barrier
	buffer_gl0_inv
	s_cbranch_scc0 .LBB118_146
.LBB118_138:                            ; =>This Loop Header: Depth=1
                                        ;     Child Loop BB118_139 Depth 2
                                        ;     Child Loop BB118_145 Depth 2
	s_lshl_b64 s[12:13], s[6:7], 3
	s_mov_b64 s[18:19], s[4:5]
	s_add_u32 s16, s1, s12
	s_addc_u32 s17, s3, s13
	s_add_i32 s21, s6, 1
	global_load_b64 v[1:2], v5, s[16:17]
	s_mov_b32 s12, s6
	s_mov_b32 s13, s21
.LBB118_139:                            ;   Parent Loop BB118_138 Depth=1
                                        ; =>  This Inner Loop Header: Depth=2
	global_load_b64 v[3:4], v5, s[18:19]
	s_waitcnt vmcnt(0)
	v_cmp_lt_f64_e64 s0, v[3:4], v[1:2]
	s_delay_alu instid0(VALU_DEP_1)
	s_and_b32 s22, s0, exec_lo
	v_cndmask_b32_e64 v2, v2, v4, s0
	v_cndmask_b32_e64 v1, v1, v3, s0
	s_cselect_b32 s12, s13, s12
	s_add_i32 s13, s13, 1
	s_add_u32 s18, s18, 8
	s_addc_u32 s19, s19, 0
	s_cmp_lt_i32 s13, s11
	s_cbranch_scc1 .LBB118_139
; %bb.140:                              ;   in Loop: Header=BB118_138 Depth=1
	s_cmp_lg_u32 s12, s6
	s_cselect_b32 s0, -1, 0
	s_barrier
	s_and_b32 s0, s2, s0
	buffer_gl0_inv
	s_and_saveexec_b32 s18, s0
	s_cbranch_execz .LBB118_137
; %bb.141:                              ;   in Loop: Header=BB118_138 Depth=1
	s_and_saveexec_b32 s0, vcc_lo
	s_cbranch_execz .LBB118_143
; %bb.142:                              ;   in Loop: Header=BB118_138 Depth=1
	global_load_b64 v[3:4], v5, s[16:17]
	s_ashr_i32 s13, s12, 31
	s_delay_alu instid0(SALU_CYCLE_1) | instskip(NEXT) | instid1(SALU_CYCLE_1)
	s_lshl_b64 s[22:23], s[12:13], 3
	s_add_u32 s22, s1, s22
	s_addc_u32 s23, s3, s23
	s_waitcnt vmcnt(0)
	s_clause 0x1
	global_store_b64 v5, v[3:4], s[22:23]
	global_store_b64 v5, v[1:2], s[16:17]
.LBB118_143:                            ;   in Loop: Header=BB118_138 Depth=1
	s_or_b32 exec_lo, exec_lo, s0
	s_delay_alu instid0(SALU_CYCLE_1)
	s_and_b32 exec_lo, exec_lo, s20
	s_cbranch_execz .LBB118_137
; %bb.144:                              ;   in Loop: Header=BB118_138 Depth=1
	v_mad_u64_u32 v[3:4], null, s12, s15, v[13:14]
	v_ashrrev_i32_e32 v1, 31, v0
	v_mov_b32_e32 v6, v13
	s_mov_b32 s16, 0
	s_mov_b64 s[12:13], s[34:35]
	s_delay_alu instid0(VALU_DEP_2) | instskip(NEXT) | instid1(VALU_DEP_4)
	v_lshlrev_b64 v[1:2], 4, v[0:1]
	v_ashrrev_i32_e32 v4, 31, v3
	s_delay_alu instid0(VALU_DEP_1)
	v_lshlrev_b64 v[3:4], 4, v[3:4]
	.p2align	6
.LBB118_145:                            ;   Parent Loop BB118_138 Depth=1
                                        ; =>  This Inner Loop Header: Depth=2
	s_delay_alu instid0(VALU_DEP_3) | instskip(NEXT) | instid1(VALU_DEP_1)
	v_add_co_u32 v11, s0, s12, v1
	v_add_co_ci_u32_e64 v12, s0, s13, v2, s0
	s_delay_alu instid0(VALU_DEP_3) | instskip(NEXT) | instid1(VALU_DEP_1)
	v_add_co_u32 v18, s0, s12, v3
	v_add_co_ci_u32_e64 v19, s0, s13, v4, s0
	v_add_nc_u32_e32 v6, s14, v6
	s_clause 0x1
	global_load_b128 v[7:10], v[11:12], off
	global_load_b128 v[14:17], v[18:19], off
	s_add_u32 s12, s12, s8
	s_addc_u32 s13, s13, s9
	v_cmp_le_i32_e64 s0, s11, v6
	s_waitcnt vmcnt(1)
	global_store_b128 v[18:19], v[7:10], off
	s_waitcnt vmcnt(0)
	global_store_b128 v[11:12], v[14:17], off
	s_or_b32 s16, s0, s16
	s_delay_alu instid0(SALU_CYCLE_1)
	s_and_not1_b32 exec_lo, exec_lo, s16
	s_cbranch_execnz .LBB118_145
	s_branch .LBB118_137
.LBB118_146:
	s_endpgm
	.section	.rodata,"a",@progbits
	.p2align	6, 0x0
	.amdhsa_kernel _ZN9rocsolver6v33100L18syevj_small_kernelI19rocblas_complex_numIdEdPS3_EEv14rocblas_esort_14rocblas_evect_13rocblas_fill_iT1_iilT0_S9_PS9_iPiSA_lSB_PT_
		.amdhsa_group_segment_fixed_size 0
		.amdhsa_private_segment_fixed_size 24
		.amdhsa_kernarg_size 112
		.amdhsa_user_sgpr_count 14
		.amdhsa_user_sgpr_dispatch_ptr 0
		.amdhsa_user_sgpr_queue_ptr 0
		.amdhsa_user_sgpr_kernarg_segment_ptr 1
		.amdhsa_user_sgpr_dispatch_id 0
		.amdhsa_user_sgpr_private_segment_size 0
		.amdhsa_wavefront_size32 1
		.amdhsa_uses_dynamic_stack 0
		.amdhsa_enable_private_segment 1
		.amdhsa_system_sgpr_workgroup_id_x 1
		.amdhsa_system_sgpr_workgroup_id_y 0
		.amdhsa_system_sgpr_workgroup_id_z 1
		.amdhsa_system_sgpr_workgroup_info 0
		.amdhsa_system_vgpr_workitem_id 0
		.amdhsa_next_free_vgpr 54
		.amdhsa_next_free_sgpr 67
		.amdhsa_reserve_vcc 1
		.amdhsa_float_round_mode_32 0
		.amdhsa_float_round_mode_16_64 0
		.amdhsa_float_denorm_mode_32 3
		.amdhsa_float_denorm_mode_16_64 3
		.amdhsa_dx10_clamp 1
		.amdhsa_ieee_mode 1
		.amdhsa_fp16_overflow 0
		.amdhsa_workgroup_processor_mode 1
		.amdhsa_memory_ordered 1
		.amdhsa_forward_progress 0
		.amdhsa_shared_vgpr_count 0
		.amdhsa_exception_fp_ieee_invalid_op 0
		.amdhsa_exception_fp_denorm_src 0
		.amdhsa_exception_fp_ieee_div_zero 0
		.amdhsa_exception_fp_ieee_overflow 0
		.amdhsa_exception_fp_ieee_underflow 0
		.amdhsa_exception_fp_ieee_inexact 0
		.amdhsa_exception_int_div_zero 0
	.end_amdhsa_kernel
	.section	.text._ZN9rocsolver6v33100L18syevj_small_kernelI19rocblas_complex_numIdEdPS3_EEv14rocblas_esort_14rocblas_evect_13rocblas_fill_iT1_iilT0_S9_PS9_iPiSA_lSB_PT_,"axG",@progbits,_ZN9rocsolver6v33100L18syevj_small_kernelI19rocblas_complex_numIdEdPS3_EEv14rocblas_esort_14rocblas_evect_13rocblas_fill_iT1_iilT0_S9_PS9_iPiSA_lSB_PT_,comdat
.Lfunc_end118:
	.size	_ZN9rocsolver6v33100L18syevj_small_kernelI19rocblas_complex_numIdEdPS3_EEv14rocblas_esort_14rocblas_evect_13rocblas_fill_iT1_iilT0_S9_PS9_iPiSA_lSB_PT_, .Lfunc_end118-_ZN9rocsolver6v33100L18syevj_small_kernelI19rocblas_complex_numIdEdPS3_EEv14rocblas_esort_14rocblas_evect_13rocblas_fill_iT1_iilT0_S9_PS9_iPiSA_lSB_PT_
                                        ; -- End function
	.section	.AMDGPU.csdata,"",@progbits
; Kernel info:
; codeLenInByte = 9896
; NumSgprs: 69
; NumVgprs: 54
; ScratchSize: 24
; MemoryBound: 0
; FloatMode: 240
; IeeeMode: 1
; LDSByteSize: 0 bytes/workgroup (compile time only)
; SGPRBlocks: 8
; VGPRBlocks: 6
; NumSGPRsForWavesPerEU: 69
; NumVGPRsForWavesPerEU: 54
; Occupancy: 16
; WaveLimiterHint : 0
; COMPUTE_PGM_RSRC2:SCRATCH_EN: 1
; COMPUTE_PGM_RSRC2:USER_SGPR: 14
; COMPUTE_PGM_RSRC2:TRAP_HANDLER: 0
; COMPUTE_PGM_RSRC2:TGID_X_EN: 1
; COMPUTE_PGM_RSRC2:TGID_Y_EN: 0
; COMPUTE_PGM_RSRC2:TGID_Z_EN: 1
; COMPUTE_PGM_RSRC2:TIDIG_COMP_CNT: 0
	.section	.text._ZN9rocsolver6v33100L10syevj_initI19rocblas_complex_numIdEdPS3_EEv14rocblas_evect_13rocblas_fill_iiT1_iilT0_PS8_PT_S9_PiSC_SC_,"axG",@progbits,_ZN9rocsolver6v33100L10syevj_initI19rocblas_complex_numIdEdPS3_EEv14rocblas_evect_13rocblas_fill_iiT1_iilT0_PS8_PT_S9_PiSC_SC_,comdat
	.globl	_ZN9rocsolver6v33100L10syevj_initI19rocblas_complex_numIdEdPS3_EEv14rocblas_evect_13rocblas_fill_iiT1_iilT0_PS8_PT_S9_PiSC_SC_ ; -- Begin function _ZN9rocsolver6v33100L10syevj_initI19rocblas_complex_numIdEdPS3_EEv14rocblas_evect_13rocblas_fill_iiT1_iilT0_PS8_PT_S9_PiSC_SC_
	.p2align	8
	.type	_ZN9rocsolver6v33100L10syevj_initI19rocblas_complex_numIdEdPS3_EEv14rocblas_evect_13rocblas_fill_iiT1_iilT0_PS8_PT_S9_PiSC_SC_,@function
_ZN9rocsolver6v33100L10syevj_initI19rocblas_complex_numIdEdPS3_EEv14rocblas_evect_13rocblas_fill_iiT1_iilT0_PS8_PT_S9_PiSC_SC_: ; @_ZN9rocsolver6v33100L10syevj_initI19rocblas_complex_numIdEdPS3_EEv14rocblas_evect_13rocblas_fill_iiT1_iilT0_PS8_PT_S9_PiSC_SC_
; %bb.0:
	s_mov_b32 s28, s15
	s_clause 0x2
	s_load_b32 s24, s[0:1], 0x6c
	s_load_b256 s[16:23], s[0:1], 0x0
	s_load_b512 s[0:15], s[0:1], 0x20
	s_ashr_i32 s29, s28, 31
	s_waitcnt lgkmcnt(0)
	s_and_b32 s33, s24, 0xffff
	s_ashr_i32 s27, s22, 31
	s_mul_i32 s1, s28, s1
	s_mul_hi_u32 s24, s28, s0
	s_mul_i32 s25, s29, s0
	s_add_i32 s1, s24, s1
	s_mul_i32 s0, s28, s0
	s_add_i32 s1, s1, s25
	s_mov_b32 s26, s22
	s_lshl_b64 s[24:25], s[0:1], 4
	s_mul_i32 s0, s28, s19
	s_add_u32 s1, s20, s24
	s_addc_u32 s30, s21, s25
	s_lshl_b64 s[26:27], s[26:27], 4
	s_mul_i32 s0, s0, s19
	s_add_u32 s22, s1, s26
	s_addc_u32 s36, s30, s27
	s_ashr_i32 s1, s0, 31
	s_delay_alu instid0(SALU_CYCLE_1)
	s_lshl_b64 s[30:31], s[0:1], 4
	v_cmp_gt_i32_e64 s0, s19, v0
	s_add_u32 s37, s6, s30
	s_addc_u32 s38, s7, s31
	s_cmpk_eq_i32 s17, 0x79
	s_cbranch_scc1 .LBB119_12
; %bb.1:
	v_mov_b32_e32 v13, 0
	v_mov_b32_e32 v14, 0
	s_delay_alu instid0(VALU_DEP_1)
	v_dual_mov_b32 v16, v14 :: v_dual_mov_b32 v15, v13
	s_and_saveexec_b32 s17, s0
	s_cbranch_execz .LBB119_14
; %bb.2:
	s_add_i32 s39, s19, 1
	s_cmpk_lg_i32 s16, 0xd5
	v_lshlrev_b32_e32 v1, 4, v0
	s_cselect_b32 s40, -1, 0
	s_add_u32 s1, s24, s26
	s_addc_u32 s24, s25, s27
	s_add_u32 s1, s20, s1
	v_mov_b32_e32 v13, 0
	s_addc_u32 s20, s21, s24
	v_mov_b32_e32 v14, 0
	v_add_co_u32 v2, s1, s1, v1
	s_delay_alu instid0(VALU_DEP_1)
	v_add_co_ci_u32_e64 v3, null, s20, 0, s1
	s_ashr_i32 s21, s23, 31
	s_mov_b32 s20, s23
	s_lshl_b32 s42, s33, 4
	s_lshl_b64 s[20:21], s[20:21], 4
	s_add_u32 s1, s6, s30
	s_addc_u32 s25, s7, s31
	s_add_u32 s43, s1, 8
	v_mul_lo_u32 v28, v0, s23
	v_mul_lo_u32 v19, v0, s19
	v_add_co_u32 v17, vcc_lo, v2, 8
	v_mov_b32_e32 v2, 0x3ff00000
	s_addc_u32 s44, s25, 0
	v_add_co_u32 v21, s1, s43, v1
	v_dual_mov_b32 v1, 0 :: v_dual_mov_b32 v16, v14
	v_add_co_ci_u32_e32 v18, vcc_lo, 0, v3, vcc_lo
	v_add_co_ci_u32_e64 v22, null, s44, 0, s1
	v_mov_b32_e32 v23, v0
	v_mov_b32_e32 v15, v13
	s_ashr_i32 s27, s19, 31
	s_mov_b32 s26, s19
	s_mul_i32 s41, s23, s33
	s_mov_b32 s24, 0
	s_mul_i32 s45, s19, s33
	s_lshl_b64 s[34:35], s[26:27], 4
	s_mov_b32 s46, 0
	s_branch .LBB119_5
.LBB119_3:                              ;   in Loop: Header=BB119_5 Depth=1
	s_or_b32 exec_lo, exec_lo, s48
.LBB119_4:                              ;   in Loop: Header=BB119_5 Depth=1
	s_delay_alu instid0(SALU_CYCLE_1) | instskip(SKIP_4) | instid1(VALU_DEP_3)
	s_or_b32 exec_lo, exec_lo, s47
	v_mul_f64 v[3:4], v[7:8], v[7:8]
	v_add_nc_u32_e32 v23, s33, v23
	v_add_co_u32 v17, vcc_lo, v17, s42
	v_add_co_ci_u32_e32 v18, vcc_lo, 0, v18, vcc_lo
	v_cmp_le_i32_e32 vcc_lo, s19, v23
	v_add_co_u32 v21, s1, v21, s42
	v_add_nc_u32_e32 v28, s41, v28
	v_add_nc_u32_e32 v19, s45, v19
	v_add_co_ci_u32_e64 v22, s1, 0, v22, s1
	s_or_b32 s46, vcc_lo, s46
	v_fma_f64 v[3:4], v[5:6], v[5:6], v[3:4]
	s_delay_alu instid0(VALU_DEP_1)
	v_add_f64 v[15:16], v[15:16], v[3:4]
	s_and_not1_b32 exec_lo, exec_lo, s46
	s_cbranch_execz .LBB119_13
.LBB119_5:                              ; =>This Loop Header: Depth=1
                                        ;     Child Loop BB119_10 Depth 2
	v_mad_u64_u32 v[3:4], null, v23, s23, v[23:24]
	s_delay_alu instid0(VALU_DEP_1) | instskip(NEXT) | instid1(VALU_DEP_1)
	v_ashrrev_i32_e32 v4, 31, v3
	v_lshlrev_b64 v[3:4], 4, v[3:4]
	s_delay_alu instid0(VALU_DEP_1) | instskip(NEXT) | instid1(VALU_DEP_2)
	v_add_co_u32 v9, vcc_lo, s22, v3
	v_add_co_ci_u32_e32 v10, vcc_lo, s36, v4, vcc_lo
	v_mul_lo_u32 v3, v23, s39
	global_load_b128 v[5:8], v[9:10], off
	v_ashrrev_i32_e32 v4, 31, v3
	s_delay_alu instid0(VALU_DEP_1) | instskip(NEXT) | instid1(VALU_DEP_1)
	v_lshlrev_b64 v[3:4], 4, v[3:4]
	v_add_co_u32 v3, vcc_lo, s37, v3
	s_delay_alu instid0(VALU_DEP_2)
	v_add_co_ci_u32_e32 v4, vcc_lo, s38, v4, vcc_lo
	s_and_not1_b32 vcc_lo, exec_lo, s40
	s_waitcnt vmcnt(0)
	global_store_b128 v[3:4], v[5:8], off
	s_cbranch_vccnz .LBB119_7
; %bb.6:                                ;   in Loop: Header=BB119_5 Depth=1
	v_mov_b32_e32 v3, v1
	v_mov_b32_e32 v4, v1
	global_store_b128 v[9:10], v[1:4], off
.LBB119_7:                              ;   in Loop: Header=BB119_5 Depth=1
	s_mov_b32 s47, exec_lo
	v_cmpx_ne_u32_e32 0, v23
	s_cbranch_execz .LBB119_4
; %bb.8:                                ;   in Loop: Header=BB119_5 Depth=1
	v_ashrrev_i32_e32 v20, 31, v19
	v_dual_mov_b32 v3, v21 :: v_dual_mov_b32 v4, v22
	v_dual_mov_b32 v27, v18 :: v_dual_mov_b32 v26, v17
	s_delay_alu instid0(VALU_DEP_3) | instskip(SKIP_2) | instid1(VALU_DEP_1)
	v_lshlrev_b64 v[9:10], 4, v[19:20]
	s_mov_b32 s48, 0
	s_mov_b32 s49, 0
	v_add_co_u32 v24, vcc_lo, s43, v9
	s_delay_alu instid0(VALU_DEP_2)
	v_add_co_ci_u32_e32 v25, vcc_lo, s44, v10, vcc_lo
	s_branch .LBB119_10
.LBB119_9:                              ;   in Loop: Header=BB119_10 Depth=2
	v_mul_f64 v[11:12], v[11:12], v[11:12]
	v_add_co_u32 v26, vcc_lo, v26, s20
	v_add_co_ci_u32_e32 v27, vcc_lo, s21, v27, vcc_lo
	v_add_co_u32 v24, vcc_lo, v24, 16
	s_add_i32 s49, s49, 1
	v_add_co_ci_u32_e32 v25, vcc_lo, 0, v25, vcc_lo
	v_cmp_ge_u32_e32 vcc_lo, s49, v23
	v_add_co_u32 v3, s1, v3, s34
	s_delay_alu instid0(VALU_DEP_1) | instskip(SKIP_2) | instid1(VALU_DEP_1)
	v_add_co_ci_u32_e64 v4, s1, s35, v4, s1
	s_or_b32 s48, vcc_lo, s48
	v_fma_f64 v[9:10], v[9:10], v[9:10], v[11:12]
	v_fma_f64 v[13:14], v[9:10], 2.0, v[13:14]
	s_and_not1_b32 exec_lo, exec_lo, s48
	s_cbranch_execz .LBB119_3
.LBB119_10:                             ;   Parent Loop BB119_5 Depth=1
                                        ; =>  This Inner Loop Header: Depth=2
	global_load_b128 v[9:12], v[26:27], off offset:-8
	s_and_not1_b32 vcc_lo, exec_lo, s40
	s_waitcnt vmcnt(0)
	v_xor_b32_e32 v20, 0x80000000, v12
	v_dual_mov_b32 v32, v12 :: v_dual_mov_b32 v31, v11
	v_dual_mov_b32 v30, v10 :: v_dual_mov_b32 v29, v9
	s_delay_alu instid0(VALU_DEP_3)
	v_mov_b32_e32 v32, v20
	global_store_b128 v[3:4], v[9:12], off offset:-8
	global_store_b128 v[24:25], v[29:32], off offset:-8
	s_cbranch_vccnz .LBB119_9
; %bb.11:                               ;   in Loop: Header=BB119_10 Depth=2
	s_mov_b32 s25, s24
	s_mov_b32 s26, s24
	;; [unrolled: 1-line block ×3, first 2 shown]
	v_add_nc_u32_e32 v29, s49, v28
	s_delay_alu instid0(VALU_DEP_1) | instskip(NEXT) | instid1(VALU_DEP_1)
	v_ashrrev_i32_e32 v30, 31, v29
	v_lshlrev_b64 v[33:34], 4, v[29:30]
	v_dual_mov_b32 v32, s27 :: v_dual_mov_b32 v31, s26
	v_dual_mov_b32 v30, s25 :: v_dual_mov_b32 v29, s24
	s_delay_alu instid0(VALU_DEP_3) | instskip(NEXT) | instid1(VALU_DEP_4)
	v_add_co_u32 v33, vcc_lo, s22, v33
	v_add_co_ci_u32_e32 v34, vcc_lo, s36, v34, vcc_lo
	global_store_b128 v[26:27], v[29:32], off offset:-8
	global_store_b128 v[33:34], v[29:32], off
	s_branch .LBB119_9
.LBB119_12:
                                        ; implicit-def: $vgpr13_vgpr14
                                        ; implicit-def: $vgpr15_vgpr16
	s_branch .LBB119_15
.LBB119_13:
	s_or_b32 exec_lo, exec_lo, s46
.LBB119_14:
	s_delay_alu instid0(SALU_CYCLE_1)
	s_or_b32 exec_lo, exec_lo, s17
	s_cbranch_execnz .LBB119_28
.LBB119_15:
	v_mov_b32_e32 v13, 0
	v_mov_b32_e32 v14, 0
	s_delay_alu instid0(VALU_DEP_1)
	v_dual_mov_b32 v16, v14 :: v_dual_mov_b32 v15, v13
	s_and_saveexec_b32 s1, s0
	s_cbranch_execz .LBB119_27
; %bb.16:
	s_add_i32 s17, s19, 1
	s_cmpk_lg_i32 s16, 0xd5
	v_dual_mov_b32 v13, 0 :: v_dual_mov_b32 v2, 0x3ff00000
	s_cselect_b32 s20, -1, 0
	s_add_i32 s16, s19, -1
	v_mov_b32_e32 v14, 0
	v_mad_u64_u32 v[17:18], null, s23, s16, v[0:1]
	v_mad_u64_u32 v[18:19], null, s19, s16, v[0:1]
	v_mov_b32_e32 v1, 0
	v_mul_lo_u32 v27, v0, s23
	v_mad_u64_u32 v[19:20], null, s19, v0, s[16:17]
	v_dual_mov_b32 v21, v0 :: v_dual_mov_b32 v16, v14
	s_add_u32 s0, s30, s6
	v_mov_b32_e32 v15, v13
	s_addc_u32 s7, s31, s7
	s_add_u32 s6, s0, 8
	s_mul_i32 s21, s23, s33
	s_addc_u32 s7, s7, 0
	s_mul_i32 s30, s19, s33
	s_mov_b32 s24, 0
	s_mov_b32 s31, 0
	s_branch .LBB119_19
.LBB119_17:                             ;   in Loop: Header=BB119_19 Depth=1
	s_or_b32 exec_lo, exec_lo, s35
.LBB119_18:                             ;   in Loop: Header=BB119_19 Depth=1
	s_delay_alu instid0(SALU_CYCLE_1)
	s_or_b32 exec_lo, exec_lo, s34
	v_mul_f64 v[3:4], v[7:8], v[7:8]
	v_add_nc_u32_e32 v21, s33, v21
	v_add_nc_u32_e32 v17, s33, v17
	;; [unrolled: 1-line block ×5, first 2 shown]
	v_cmp_le_i32_e32 vcc_lo, s19, v21
	s_or_b32 s31, vcc_lo, s31
	v_fma_f64 v[3:4], v[5:6], v[5:6], v[3:4]
	s_delay_alu instid0(VALU_DEP_1)
	v_add_f64 v[15:16], v[15:16], v[3:4]
	s_and_not1_b32 exec_lo, exec_lo, s31
	s_cbranch_execz .LBB119_26
.LBB119_19:                             ; =>This Loop Header: Depth=1
                                        ;     Child Loop BB119_24 Depth 2
	v_mad_u64_u32 v[3:4], null, v21, s23, v[21:22]
	s_delay_alu instid0(VALU_DEP_1) | instskip(NEXT) | instid1(VALU_DEP_1)
	v_ashrrev_i32_e32 v4, 31, v3
	v_lshlrev_b64 v[3:4], 4, v[3:4]
	s_delay_alu instid0(VALU_DEP_1) | instskip(NEXT) | instid1(VALU_DEP_2)
	v_add_co_u32 v9, vcc_lo, s22, v3
	v_add_co_ci_u32_e32 v10, vcc_lo, s36, v4, vcc_lo
	v_mul_lo_u32 v3, v21, s17
	global_load_b128 v[5:8], v[9:10], off
	v_ashrrev_i32_e32 v4, 31, v3
	s_delay_alu instid0(VALU_DEP_1) | instskip(NEXT) | instid1(VALU_DEP_1)
	v_lshlrev_b64 v[3:4], 4, v[3:4]
	v_add_co_u32 v3, vcc_lo, s37, v3
	s_delay_alu instid0(VALU_DEP_2)
	v_add_co_ci_u32_e32 v4, vcc_lo, s38, v4, vcc_lo
	s_and_not1_b32 vcc_lo, exec_lo, s20
	s_waitcnt vmcnt(0)
	global_store_b128 v[3:4], v[5:8], off
	s_cbranch_vccnz .LBB119_21
; %bb.20:                               ;   in Loop: Header=BB119_19 Depth=1
	v_mov_b32_e32 v3, v1
	v_mov_b32_e32 v4, v1
	global_store_b128 v[9:10], v[1:4], off
.LBB119_21:                             ;   in Loop: Header=BB119_19 Depth=1
	s_mov_b32 s34, exec_lo
	v_cmpx_gt_i32_e64 s16, v21
	s_cbranch_execz .LBB119_18
; %bb.22:                               ;   in Loop: Header=BB119_19 Depth=1
	v_ashrrev_i32_e32 v20, 31, v19
	v_dual_mov_b32 v3, v18 :: v_dual_mov_b32 v24, v17
	s_mov_b32 s35, 0
	s_mov_b32 s39, s16
	s_delay_alu instid0(VALU_DEP_2) | instskip(NEXT) | instid1(VALU_DEP_1)
	v_lshlrev_b64 v[9:10], 4, v[19:20]
	v_add_co_u32 v22, vcc_lo, s6, v9
	s_delay_alu instid0(VALU_DEP_2)
	v_add_co_ci_u32_e32 v23, vcc_lo, s7, v10, vcc_lo
	s_branch .LBB119_24
.LBB119_23:                             ;   in Loop: Header=BB119_24 Depth=2
	v_mul_f64 v[11:12], v[11:12], v[11:12]
	s_add_i32 s39, s39, -1
	v_add_co_u32 v22, s0, v22, -16
	v_cmp_le_i32_e32 vcc_lo, s39, v21
	v_subrev_nc_u32_e32 v24, s23, v24
	v_subrev_nc_u32_e32 v3, s19, v3
	v_add_co_ci_u32_e64 v23, s0, -1, v23, s0
	s_or_b32 s35, vcc_lo, s35
	v_fma_f64 v[9:10], v[9:10], v[9:10], v[11:12]
	s_delay_alu instid0(VALU_DEP_1)
	v_fma_f64 v[13:14], v[9:10], 2.0, v[13:14]
	s_and_not1_b32 exec_lo, exec_lo, s35
	s_cbranch_execz .LBB119_17
.LBB119_24:                             ;   Parent Loop BB119_19 Depth=1
                                        ; =>  This Inner Loop Header: Depth=2
	v_ashrrev_i32_e32 v25, 31, v24
	v_ashrrev_i32_e32 v4, 31, v3
	s_delay_alu instid0(VALU_DEP_2) | instskip(NEXT) | instid1(VALU_DEP_2)
	v_lshlrev_b64 v[9:10], 4, v[24:25]
	v_lshlrev_b64 v[28:29], 4, v[3:4]
	s_delay_alu instid0(VALU_DEP_2) | instskip(NEXT) | instid1(VALU_DEP_3)
	v_add_co_u32 v25, vcc_lo, s22, v9
	v_add_co_ci_u32_e32 v26, vcc_lo, s36, v10, vcc_lo
	s_delay_alu instid0(VALU_DEP_3) | instskip(NEXT) | instid1(VALU_DEP_4)
	v_add_co_u32 v32, vcc_lo, s37, v28
	v_add_co_ci_u32_e32 v33, vcc_lo, s38, v29, vcc_lo
	global_load_b128 v[9:12], v[25:26], off
	s_and_not1_b32 vcc_lo, exec_lo, s20
	s_waitcnt vmcnt(0)
	v_xor_b32_e32 v4, 0x80000000, v12
	v_dual_mov_b32 v31, v12 :: v_dual_mov_b32 v30, v11
	v_dual_mov_b32 v29, v10 :: v_dual_mov_b32 v28, v9
	s_delay_alu instid0(VALU_DEP_3)
	v_mov_b32_e32 v31, v4
	global_store_b128 v[32:33], v[9:12], off
	global_store_b128 v[22:23], v[28:31], off offset:-8
	s_cbranch_vccnz .LBB119_23
; %bb.25:                               ;   in Loop: Header=BB119_24 Depth=2
	s_mov_b32 s25, s24
	s_mov_b32 s26, s24
	;; [unrolled: 1-line block ×3, first 2 shown]
	v_add_nc_u32_e32 v28, s39, v27
	s_delay_alu instid0(VALU_DEP_1) | instskip(NEXT) | instid1(VALU_DEP_1)
	v_ashrrev_i32_e32 v29, 31, v28
	v_lshlrev_b64 v[32:33], 4, v[28:29]
	v_dual_mov_b32 v31, s27 :: v_dual_mov_b32 v30, s26
	v_dual_mov_b32 v29, s25 :: v_dual_mov_b32 v28, s24
	s_delay_alu instid0(VALU_DEP_3) | instskip(NEXT) | instid1(VALU_DEP_4)
	v_add_co_u32 v32, vcc_lo, s22, v32
	v_add_co_ci_u32_e32 v33, vcc_lo, s36, v33, vcc_lo
	s_clause 0x1
	global_store_b128 v[25:26], v[28:31], off
	global_store_b128 v[32:33], v[28:31], off
	s_branch .LBB119_23
.LBB119_26:
	s_or_b32 exec_lo, exec_lo, s31
.LBB119_27:
	s_delay_alu instid0(SALU_CYCLE_1)
	s_or_b32 exec_lo, exec_lo, s1
.LBB119_28:
	v_lshlrev_b32_e32 v1, 3, v0
	s_lshl_b32 s1, s33, 3
	s_mov_b32 s0, exec_lo
	s_delay_alu instid0(VALU_DEP_1)
	v_add_nc_u32_e32 v2, 0, v1
	v_add3_u32 v1, 0, s1, v1
	ds_store_b64 v2, v[13:14]
	ds_store_b64 v1, v[15:16]
	s_waitcnt lgkmcnt(0)
	s_waitcnt_vscnt null, 0x0
	s_barrier
	buffer_gl0_inv
	v_cmpx_eq_u32_e32 0, v0
	s_cbranch_execz .LBB119_40
; %bb.29:
	s_min_i32 s6, s33, s19
	s_delay_alu instid0(SALU_CYCLE_1)
	s_cmp_lt_i32 s6, 2
	s_cbranch_scc1 .LBB119_37
; %bb.30:
	s_add_i32 s7, s6, -2
	s_add_i32 s6, s6, -1
	s_cmp_lt_u32 s7, 7
	s_cbranch_scc1 .LBB119_34
; %bb.31:
	s_and_b32 s7, s6, -8
	s_mov_b32 s17, 0
	s_add_i32 s16, 0, 8
.LBB119_32:                             ; =>This Inner Loop Header: Depth=1
	s_delay_alu instid0(SALU_CYCLE_1) | instskip(NEXT) | instid1(SALU_CYCLE_1)
	s_add_i32 s19, s16, s1
	v_dual_mov_b32 v21, s16 :: v_dual_mov_b32 v22, s19
	s_mov_b32 s19, s17
	s_add_i32 s17, s17, 8
	s_add_i32 s16, s16, 64
	ds_load_2addr_b64 v[1:4], v21 offset1:1
	ds_load_2addr_b64 v[5:8], v22 offset1:1
	ds_load_2addr_b64 v[9:12], v21 offset0:2 offset1:3
	ds_load_2addr_b64 v[17:20], v22 offset0:2 offset1:3
	s_cmp_lg_u32 s7, s17
	s_waitcnt lgkmcnt(3)
	v_add_f64 v[1:2], v[13:14], v[1:2]
	s_waitcnt lgkmcnt(2)
	v_add_f64 v[5:6], v[15:16], v[5:6]
	s_delay_alu instid0(VALU_DEP_2) | instskip(NEXT) | instid1(VALU_DEP_2)
	v_add_f64 v[1:2], v[1:2], v[3:4]
	v_add_f64 v[3:4], v[5:6], v[7:8]
	s_waitcnt lgkmcnt(1)
	s_delay_alu instid0(VALU_DEP_2) | instskip(SKIP_1) | instid1(VALU_DEP_2)
	v_add_f64 v[1:2], v[1:2], v[9:10]
	s_waitcnt lgkmcnt(0)
	v_add_f64 v[3:4], v[3:4], v[17:18]
	s_delay_alu instid0(VALU_DEP_2) | instskip(NEXT) | instid1(VALU_DEP_2)
	v_add_f64 v[17:18], v[1:2], v[11:12]
	v_add_f64 v[19:20], v[3:4], v[19:20]
	ds_load_2addr_b64 v[1:4], v21 offset0:4 offset1:5
	ds_load_2addr_b64 v[5:8], v22 offset0:4 offset1:5
	;; [unrolled: 1-line block ×4, first 2 shown]
	s_waitcnt lgkmcnt(3)
	v_add_f64 v[1:2], v[17:18], v[1:2]
	s_waitcnt lgkmcnt(2)
	v_add_f64 v[5:6], v[19:20], v[5:6]
	s_delay_alu instid0(VALU_DEP_2) | instskip(NEXT) | instid1(VALU_DEP_2)
	v_add_f64 v[1:2], v[1:2], v[3:4]
	v_add_f64 v[3:4], v[5:6], v[7:8]
	s_waitcnt lgkmcnt(1)
	s_delay_alu instid0(VALU_DEP_2) | instskip(SKIP_1) | instid1(VALU_DEP_2)
	v_add_f64 v[1:2], v[1:2], v[9:10]
	s_waitcnt lgkmcnt(0)
	v_add_f64 v[3:4], v[3:4], v[13:14]
	s_delay_alu instid0(VALU_DEP_2) | instskip(NEXT) | instid1(VALU_DEP_2)
	v_add_f64 v[13:14], v[1:2], v[11:12]
	v_add_f64 v[15:16], v[3:4], v[15:16]
	s_cbranch_scc1 .LBB119_32
; %bb.33:
	s_add_i32 s7, s19, 9
	s_and_b32 s6, s6, 7
	s_delay_alu instid0(SALU_CYCLE_1)
	s_cmp_eq_u32 s6, 0
	s_cbranch_scc0 .LBB119_35
	s_branch .LBB119_37
.LBB119_34:
	s_mov_b32 s7, 1
	s_and_b32 s6, s6, 7
	s_delay_alu instid0(SALU_CYCLE_1)
	s_cmp_eq_u32 s6, 0
	s_cbranch_scc1 .LBB119_37
.LBB119_35:
	s_lshl_b32 s7, s7, 3
	s_delay_alu instid0(SALU_CYCLE_1)
	s_add_i32 s7, s7, 0
.LBB119_36:                             ; =>This Inner Loop Header: Depth=1
	s_delay_alu instid0(SALU_CYCLE_1)
	s_add_i32 s16, s7, s1
	v_mov_b32_e32 v1, s7
	v_mov_b32_e32 v3, s16
	s_add_i32 s6, s6, -1
	s_add_i32 s7, s7, 8
	s_cmp_lg_u32 s6, 0
	ds_load_b64 v[1:2], v1
	ds_load_b64 v[3:4], v3
	s_waitcnt lgkmcnt(1)
	v_add_f64 v[13:14], v[13:14], v[1:2]
	s_waitcnt lgkmcnt(0)
	v_add_f64 v[15:16], v[15:16], v[3:4]
	s_cbranch_scc1 .LBB119_36
.LBB119_37:
	s_delay_alu instid0(VALU_DEP_1) | instskip(NEXT) | instid1(VALU_DEP_1)
	v_add_f64 v[1:2], v[15:16], v[13:14]
	v_mul_f64 v[1:2], v[1:2], s[2:3]
	s_delay_alu instid0(VALU_DEP_1)
	v_mul_f64 v[2:3], v[1:2], s[2:3]
	s_lshl_b64 s[2:3], s[28:29], 3
	v_mov_b32_e32 v1, 0
	s_add_u32 s6, s8, s2
	s_addc_u32 s7, s9, s3
	s_add_u32 s2, s4, s2
	s_addc_u32 s3, s5, s3
	s_clause 0x1
	global_store_b64 v1, v[2:3], s[6:7]
	global_store_b64 v1, v[13:14], s[2:3]
	global_load_b64 v[2:3], v1, s[6:7]
	s_waitcnt vmcnt(0)
	v_cmp_lt_f64_e32 vcc_lo, v[13:14], v[2:3]
	s_and_b32 exec_lo, exec_lo, vcc_lo
	s_cbranch_execz .LBB119_40
; %bb.38:
	s_mov_b32 s1, exec_lo
	s_lshl_b64 s[2:3], s[28:29], 2
	v_mbcnt_lo_u32_b32 v2, s1, 0
	v_mov_b32_e32 v3, 1
	s_add_u32 s2, s14, s2
	s_addc_u32 s3, s15, s3
	s_delay_alu instid0(VALU_DEP_2) | instskip(SKIP_2) | instid1(SALU_CYCLE_1)
	v_cmp_eq_u32_e32 vcc_lo, 0, v2
	global_store_b32 v1, v3, s[2:3] offset:4
	s_and_b32 s2, exec_lo, vcc_lo
	s_mov_b32 exec_lo, s2
	s_cbranch_execz .LBB119_40
; %bb.39:
	s_bcnt1_i32_b32 s1, s1
	s_delay_alu instid0(SALU_CYCLE_1)
	v_dual_mov_b32 v1, 0 :: v_dual_mov_b32 v2, s1
	global_atomic_add_u32 v1, v2, s[14:15]
.LBB119_40:
	s_or_b32 exec_lo, exec_lo, s0
	s_cmp_eq_u32 s28, 0
	v_cmp_gt_i32_e32 vcc_lo, s18, v0
	s_cselect_b32 s0, -1, 0
	s_cmp_lg_u64 s[10:11], 0
	s_cselect_b32 s1, -1, 0
	s_cmp_lg_u64 s[12:13], 0
	s_cselect_b32 s2, -1, 0
	s_delay_alu instid0(SALU_CYCLE_1) | instskip(NEXT) | instid1(SALU_CYCLE_1)
	s_and_b32 s1, s1, s2
	s_and_b32 s0, s1, s0
	s_mov_b32 s1, 0
	s_and_b32 s0, s0, vcc_lo
	s_delay_alu instid0(SALU_CYCLE_1)
	s_and_saveexec_b32 s2, s0
	s_cbranch_execz .LBB119_43
; %bb.41:
	v_lshlrev_b32_e32 v1, 1, v0
	v_dual_mov_b32 v3, 0 :: v_dual_lshlrev_b32 v2, 2, v0
	s_lshl_b32 s2, s33, 1
	s_lshl_b32 s3, s33, 2
	.p2align	6
.LBB119_42:                             ; =>This Inner Loop Header: Depth=1
	s_delay_alu instid0(VALU_DEP_1)
	v_add_co_u32 v4, vcc_lo, s10, v2
	v_add_nc_u32_e32 v0, s33, v0
	v_add_co_ci_u32_e32 v5, vcc_lo, s11, v3, vcc_lo
	v_add_co_u32 v6, vcc_lo, s12, v2
	v_add_co_ci_u32_e32 v7, vcc_lo, s13, v3, vcc_lo
	v_add_co_u32 v2, vcc_lo, v2, s3
	v_cmp_le_i32_e64 s0, s18, v0
	v_add_nc_u32_e32 v8, 1, v1
	v_add_co_ci_u32_e32 v3, vcc_lo, 0, v3, vcc_lo
	global_store_b32 v[4:5], v1, off
	v_add_nc_u32_e32 v1, s2, v1
	s_or_b32 s1, s0, s1
	global_store_b32 v[6:7], v8, off
	s_and_not1_b32 exec_lo, exec_lo, s1
	s_cbranch_execnz .LBB119_42
.LBB119_43:
	s_nop 0
	s_sendmsg sendmsg(MSG_DEALLOC_VGPRS)
	s_endpgm
	.section	.rodata,"a",@progbits
	.p2align	6, 0x0
	.amdhsa_kernel _ZN9rocsolver6v33100L10syevj_initI19rocblas_complex_numIdEdPS3_EEv14rocblas_evect_13rocblas_fill_iiT1_iilT0_PS8_PT_S9_PiSC_SC_
		.amdhsa_group_segment_fixed_size 0
		.amdhsa_private_segment_fixed_size 0
		.amdhsa_kernarg_size 352
		.amdhsa_user_sgpr_count 14
		.amdhsa_user_sgpr_dispatch_ptr 0
		.amdhsa_user_sgpr_queue_ptr 0
		.amdhsa_user_sgpr_kernarg_segment_ptr 1
		.amdhsa_user_sgpr_dispatch_id 0
		.amdhsa_user_sgpr_private_segment_size 0
		.amdhsa_wavefront_size32 1
		.amdhsa_uses_dynamic_stack 0
		.amdhsa_enable_private_segment 0
		.amdhsa_system_sgpr_workgroup_id_x 1
		.amdhsa_system_sgpr_workgroup_id_y 1
		.amdhsa_system_sgpr_workgroup_id_z 0
		.amdhsa_system_sgpr_workgroup_info 0
		.amdhsa_system_vgpr_workitem_id 0
		.amdhsa_next_free_vgpr 35
		.amdhsa_next_free_sgpr 50
		.amdhsa_reserve_vcc 1
		.amdhsa_float_round_mode_32 0
		.amdhsa_float_round_mode_16_64 0
		.amdhsa_float_denorm_mode_32 3
		.amdhsa_float_denorm_mode_16_64 3
		.amdhsa_dx10_clamp 1
		.amdhsa_ieee_mode 1
		.amdhsa_fp16_overflow 0
		.amdhsa_workgroup_processor_mode 1
		.amdhsa_memory_ordered 1
		.amdhsa_forward_progress 0
		.amdhsa_shared_vgpr_count 0
		.amdhsa_exception_fp_ieee_invalid_op 0
		.amdhsa_exception_fp_denorm_src 0
		.amdhsa_exception_fp_ieee_div_zero 0
		.amdhsa_exception_fp_ieee_overflow 0
		.amdhsa_exception_fp_ieee_underflow 0
		.amdhsa_exception_fp_ieee_inexact 0
		.amdhsa_exception_int_div_zero 0
	.end_amdhsa_kernel
	.section	.text._ZN9rocsolver6v33100L10syevj_initI19rocblas_complex_numIdEdPS3_EEv14rocblas_evect_13rocblas_fill_iiT1_iilT0_PS8_PT_S9_PiSC_SC_,"axG",@progbits,_ZN9rocsolver6v33100L10syevj_initI19rocblas_complex_numIdEdPS3_EEv14rocblas_evect_13rocblas_fill_iiT1_iilT0_PS8_PT_S9_PiSC_SC_,comdat
.Lfunc_end119:
	.size	_ZN9rocsolver6v33100L10syevj_initI19rocblas_complex_numIdEdPS3_EEv14rocblas_evect_13rocblas_fill_iiT1_iilT0_PS8_PT_S9_PiSC_SC_, .Lfunc_end119-_ZN9rocsolver6v33100L10syevj_initI19rocblas_complex_numIdEdPS3_EEv14rocblas_evect_13rocblas_fill_iiT1_iilT0_PS8_PT_S9_PiSC_SC_
                                        ; -- End function
	.section	.AMDGPU.csdata,"",@progbits
; Kernel info:
; codeLenInByte = 2524
; NumSgprs: 52
; NumVgprs: 35
; ScratchSize: 0
; MemoryBound: 0
; FloatMode: 240
; IeeeMode: 1
; LDSByteSize: 0 bytes/workgroup (compile time only)
; SGPRBlocks: 6
; VGPRBlocks: 4
; NumSGPRsForWavesPerEU: 52
; NumVGPRsForWavesPerEU: 35
; Occupancy: 16
; WaveLimiterHint : 0
; COMPUTE_PGM_RSRC2:SCRATCH_EN: 0
; COMPUTE_PGM_RSRC2:USER_SGPR: 14
; COMPUTE_PGM_RSRC2:TRAP_HANDLER: 0
; COMPUTE_PGM_RSRC2:TGID_X_EN: 1
; COMPUTE_PGM_RSRC2:TGID_Y_EN: 1
; COMPUTE_PGM_RSRC2:TGID_Z_EN: 0
; COMPUTE_PGM_RSRC2:TIDIG_COMP_CNT: 0
	.section	.text._ZN9rocsolver6v33100L17syevj_diag_kernelI19rocblas_complex_numIdEdPS3_EEviT1_iilT0_PT_Pi,"axG",@progbits,_ZN9rocsolver6v33100L17syevj_diag_kernelI19rocblas_complex_numIdEdPS3_EEviT1_iilT0_PT_Pi,comdat
	.globl	_ZN9rocsolver6v33100L17syevj_diag_kernelI19rocblas_complex_numIdEdPS3_EEviT1_iilT0_PT_Pi ; -- Begin function _ZN9rocsolver6v33100L17syevj_diag_kernelI19rocblas_complex_numIdEdPS3_EEviT1_iilT0_PT_Pi
	.p2align	8
	.type	_ZN9rocsolver6v33100L17syevj_diag_kernelI19rocblas_complex_numIdEdPS3_EEviT1_iilT0_PT_Pi,@function
_ZN9rocsolver6v33100L17syevj_diag_kernelI19rocblas_complex_numIdEdPS3_EEviT1_iilT0_PT_Pi: ; @_ZN9rocsolver6v33100L17syevj_diag_kernelI19rocblas_complex_numIdEdPS3_EEviT1_iilT0_PT_Pi
; %bb.0:
	s_load_b256 s[4:11], s[0:1], 0x18
	s_mov_b32 s12, s15
	s_ashr_i32 s13, s15, 31
	s_delay_alu instid0(SALU_CYCLE_1)
	s_lshl_b64 s[2:3], s[12:13], 2
	s_waitcnt lgkmcnt(0)
	s_add_u32 s2, s10, s2
	s_addc_u32 s3, s11, s3
	s_load_b32 s2, s[2:3], 0x4
	s_waitcnt lgkmcnt(0)
	s_cmp_lg_u32 s2, 0
	s_cbranch_scc1 .LBB120_56
; %bb.1:
	s_clause 0x1
	s_load_b32 s18, s[0:1], 0x0
	s_load_b32 s10, s[0:1], 0x44
	s_add_u32 s2, s0, 56
	s_addc_u32 s3, s1, 0
	v_and_b32_e32 v25, 0x3ff, v0
	v_bfe_u32 v1, v0, 10, 10
	s_delay_alu instid0(VALU_DEP_1)
	v_max_i32_e32 v0, v25, v1
	s_waitcnt lgkmcnt(0)
	s_add_i32 s11, s18, -1
	s_and_b32 s10, s10, 0xffff
	s_lshr_b32 s15, s11, 31
	s_lshl_b32 s10, s10, 1
	s_add_i32 s11, s11, s15
	s_mul_i32 s19, s10, s14
	s_and_b32 s11, s11, -2
	s_delay_alu instid0(SALU_CYCLE_1) | instskip(NEXT) | instid1(SALU_CYCLE_1)
	s_sub_i32 s11, s11, s19
	s_add_i32 s11, s11, 2
	s_delay_alu instid0(SALU_CYCLE_1) | instskip(SKIP_2) | instid1(SALU_CYCLE_1)
	s_min_i32 s15, s10, s11
	s_mov_b32 s11, exec_lo
	s_ashr_i32 s22, s15, 1
	v_cmpx_gt_i32_e64 s22, v0
	s_cbranch_execz .LBB120_56
; %bb.2:
	s_cmp_eq_u64 s[8:9], 0
	s_mov_b64 s[16:17], 0
	s_cbranch_scc1 .LBB120_4
; %bb.3:
	s_load_b32 s2, s[2:3], 0x0
	s_waitcnt lgkmcnt(0)
	s_mul_i32 s2, s2, s12
	s_delay_alu instid0(SALU_CYCLE_1) | instskip(NEXT) | instid1(SALU_CYCLE_1)
	s_add_i32 s2, s2, s14
	s_mul_i32 s2, s10, s2
	s_delay_alu instid0(SALU_CYCLE_1) | instskip(NEXT) | instid1(SALU_CYCLE_1)
	s_mul_i32 s2, s2, s10
	s_ashr_i32 s3, s2, 31
	s_delay_alu instid0(SALU_CYCLE_1) | instskip(NEXT) | instid1(SALU_CYCLE_1)
	s_lshl_b64 s[2:3], s[2:3], 4
	s_add_u32 s16, s8, s2
	s_addc_u32 s17, s9, s3
.LBB120_4:
	v_lshlrev_b32_e32 v0, 1, v1
	v_lshlrev_b32_e32 v2, 1, v25
	s_cmp_lg_u64 s[16:17], 0
	s_cselect_b32 s20, -1, 0
	s_delay_alu instid0(VALU_DEP_2)
	v_mul_u32_u24_e32 v26, s10, v0
	v_mad_u32_u24 v27, s10, v0, s10
	s_cmp_eq_u64 s[16:17], 0
	s_cbranch_scc1 .LBB120_6
; %bb.5:
	v_mad_u32_u24 v5, s10, v0, v2
	v_mov_b32_e32 v6, 0
	v_cmp_eq_u32_e32 vcc_lo, v2, v0
	s_mov_b32 s8, 0
	v_add_co_u32 v9, s2, v26, v2
	s_delay_alu instid0(VALU_DEP_3)
	v_lshlrev_b64 v[7:8], 4, v[5:6]
	v_cndmask_b32_e64 v4, 0, 0x3ff00000, vcc_lo
	s_mov_b32 s9, s8
	s_mov_b32 s10, s8
	;; [unrolled: 1-line block ×3, first 2 shown]
	v_add_co_ci_u32_e64 v10, null, 0, 0, s2
	v_add_co_u32 v11, vcc_lo, s16, v7
	v_add_nc_u32_e32 v7, v27, v2
	v_add_co_ci_u32_e32 v12, vcc_lo, s17, v8, vcc_lo
	v_mov_b32_e32 v8, v6
	v_add_co_u32 v15, s2, v27, v2
	s_delay_alu instid0(VALU_DEP_1) | instskip(NEXT) | instid1(VALU_DEP_3)
	v_add_co_ci_u32_e64 v16, null, 0, 0, s2
	v_lshlrev_b64 v[7:8], 4, v[7:8]
	v_lshlrev_b64 v[13:14], 4, v[9:10]
	v_mov_b32_e32 v3, v6
	s_delay_alu instid0(VALU_DEP_4)
	v_lshlrev_b64 v[15:16], 4, v[15:16]
	v_mov_b32_e32 v5, v6
	v_add_co_u32 v17, vcc_lo, s16, v7
	v_add_co_ci_u32_e32 v18, vcc_lo, s17, v8, vcc_lo
	v_add_co_u32 v13, vcc_lo, s16, v13
	v_dual_mov_b32 v7, s8 :: v_dual_mov_b32 v10, s11
	v_add_co_ci_u32_e32 v14, vcc_lo, s17, v14, vcc_lo
	v_dual_mov_b32 v8, s9 :: v_dual_mov_b32 v9, s10
	v_add_co_u32 v15, vcc_lo, s16, v15
	v_add_co_ci_u32_e32 v16, vcc_lo, s17, v16, vcc_lo
	s_clause 0x3
	flat_store_b128 v[11:12], v[3:6]
	flat_store_b128 v[17:18], v[7:10]
	flat_store_b128 v[13:14], v[7:10] offset:16
	flat_store_b128 v[15:16], v[3:6] offset:16
.LBB120_6:
	v_add_nc_u32_e32 v8, s19, v2
	s_lshl_b32 s2, s22, 3
	s_lshl_b32 s8, s22, 4
	s_add_i32 s3, s2, 0
	v_cmp_eq_u32_e64 s2, 0, v1
	v_or_b32_e32 v11, 1, v8
	v_lshlrev_b32_e32 v1, 2, v25
	s_add_i32 s14, s3, s8
	s_lshl_b32 s8, s22, 2
	s_delay_alu instid0(SALU_CYCLE_1)
	s_add_i32 s21, s14, s8
	s_and_saveexec_b32 s8, s2
	s_cbranch_execz .LBB120_8
; %bb.7:
	v_add_nc_u32_e32 v2, s14, v1
	v_add_nc_u32_e32 v3, s21, v1
	ds_store_b32 v2, v8
	ds_store_b32 v3, v11
.LBB120_8:
	s_or_b32 exec_lo, exec_lo, s8
	s_cmp_lt_i32 s15, 2
	s_cbranch_scc1 .LBB120_56
; %bb.9:
	v_div_scale_f64 v[2:3], null, s[6:7], s[6:7], 0x100000
	s_mov_b32 s8, 0
	s_mov_b32 s9, 0x100000
	v_add_nc_u32_e32 v12, s19, v0
	v_add_nc_u32_e32 v30, s21, v1
	;; [unrolled: 1-line block ×3, first 2 shown]
	v_lshl_add_u32 v29, v25, 3, 0
	v_lshl_add_u32 v32, v25, 4, s3
	v_or_b32_e32 v0, 1, v12
                                        ; implicit-def: $vgpr17_vgpr18
                                        ; implicit-def: $vgpr13_vgpr14
                                        ; implicit-def: $vgpr15_vgpr16
	s_delay_alu instid0(VALU_DEP_4) | instskip(SKIP_3) | instid1(VALU_DEP_1)
	v_add_nc_u32_e32 v34, -4, v31
	v_rcp_f64_e32 v[4:5], v[2:3]
	s_waitcnt_depctr 0xfff
	v_fma_f64 v[6:7], -v[2:3], v[4:5], 1.0
	v_fma_f64 v[4:5], v[4:5], v[6:7], v[4:5]
	s_delay_alu instid0(VALU_DEP_1) | instskip(NEXT) | instid1(VALU_DEP_1)
	v_fma_f64 v[6:7], -v[2:3], v[4:5], 1.0
	v_fma_f64 v[4:5], v[4:5], v[6:7], v[4:5]
	v_div_scale_f64 v[6:7], vcc_lo, s[8:9], s[6:7], s[8:9]
	s_load_b128 s[8:11], s[0:1], 0x8
	s_mul_i32 s0, s12, s5
	s_mul_hi_u32 s1, s12, s4
	s_delay_alu instid0(SALU_CYCLE_1) | instskip(SKIP_1) | instid1(SALU_CYCLE_1)
	s_add_i32 s0, s1, s0
	s_mul_i32 s1, s13, s4
	s_add_i32 s1, s0, s1
	s_mul_i32 s0, s12, s4
	s_mov_b32 s12, 0
	s_lshl_b64 s[0:1], s[0:1], 4
	s_waitcnt lgkmcnt(0)
	s_ashr_i32 s5, s10, 31
	s_mov_b32 s4, s10
	v_mul_lo_u32 v28, v12, s11
	s_delay_alu instid0(VALU_DEP_1) | instskip(NEXT) | instid1(VALU_DEP_3)
	v_add_nc_u32_e32 v33, s11, v28
	v_mul_f64 v[9:10], v[6:7], v[4:5]
	s_delay_alu instid0(VALU_DEP_1) | instskip(NEXT) | instid1(VALU_DEP_1)
	v_fma_f64 v[2:3], -v[2:3], v[9:10], v[6:7]
	v_div_fmas_f64 v[2:3], v[2:3], v[4:5], v[9:10]
	s_delay_alu instid0(VALU_DEP_1) | instskip(SKIP_3) | instid1(SALU_CYCLE_1)
	v_div_fixup_f64 v[9:10], v[2:3], s[6:7], 0x100000
	s_add_u32 s6, s8, s0
	s_addc_u32 s7, s9, s1
	s_lshl_b64 s[0:1], s[4:5], 4
                                        ; implicit-def: $vgpr2_vgpr3
	s_add_u32 s5, s6, s0
	s_addc_u32 s6, s7, s1
	s_add_i32 s22, s22, -1
	v_cmp_gt_i32_e64 s0, s18, v0
	v_add_nc_u32_e32 v0, 4, v30
	v_cmp_eq_u32_e32 vcc_lo, s22, v25
	s_add_i32 s1, s21, -4
	s_add_i32 s7, s11, 1
	s_add_i32 s8, s15, -1
	v_cndmask_b32_e64 v35, v0, s1, vcc_lo
	s_branch .LBB120_11
.LBB120_10:                             ;   in Loop: Header=BB120_11 Depth=1
	s_or_b32 exec_lo, exec_lo, s1
	s_add_i32 s8, s8, -1
	s_delay_alu instid0(SALU_CYCLE_1)
	s_cmp_lg_u32 s8, 0
	s_cbranch_scc0 .LBB120_56
.LBB120_11:                             ; =>This Inner Loop Header: Depth=1
	v_cmp_gt_i32_e64 s1, s18, v8
	v_cmp_gt_i32_e64 s3, s18, v11
	s_delay_alu instid0(VALU_DEP_2)
	s_and_b32 s4, s2, s1
	s_delay_alu instid0(VALU_DEP_1) | instid1(SALU_CYCLE_1)
	s_and_b32 s9, s4, s3
	s_delay_alu instid0(SALU_CYCLE_1)
	s_and_saveexec_b32 s10, s9
	s_cbranch_execz .LBB120_37
; %bb.12:                               ;   in Loop: Header=BB120_11 Depth=1
	v_mul_lo_u32 v21, v11, s11
	s_mov_b32 s4, exec_lo
                                        ; implicit-def: $vgpr19_vgpr20
	s_delay_alu instid0(VALU_DEP_1) | instskip(NEXT) | instid1(VALU_DEP_1)
	v_add_nc_u32_e32 v0, v8, v21
	v_ashrrev_i32_e32 v1, 31, v0
	s_delay_alu instid0(VALU_DEP_1) | instskip(NEXT) | instid1(VALU_DEP_1)
	v_lshlrev_b64 v[0:1], 4, v[0:1]
	v_add_co_u32 v0, vcc_lo, s5, v0
	s_delay_alu instid0(VALU_DEP_2)
	v_add_co_ci_u32_e32 v1, vcc_lo, s6, v1, vcc_lo
	global_load_b128 v[4:7], v[0:1], off
	s_waitcnt vmcnt(0)
	v_cmp_gt_f64_e32 vcc_lo, 0, v[4:5]
	v_xor_b32_e32 v1, 0x80000000, v5
	v_mov_b32_e32 v0, v4
	v_xor_b32_e32 v2, 0x80000000, v7
	s_delay_alu instid0(VALU_DEP_3) | instskip(SKIP_1) | instid1(VALU_DEP_3)
	v_cndmask_b32_e32 v1, v5, v1, vcc_lo
	v_cmp_gt_f64_e32 vcc_lo, 0, v[6:7]
	v_dual_cndmask_b32 v3, v7, v2 :: v_dual_mov_b32 v2, v6
	s_delay_alu instid0(VALU_DEP_1)
	v_cmpx_ngt_f64_e32 v[0:1], v[2:3]
	s_xor_b32 s4, exec_lo, s4
	s_cbranch_execz .LBB120_16
; %bb.13:                               ;   in Loop: Header=BB120_11 Depth=1
	v_mov_b32_e32 v19, 0
	v_mov_b32_e32 v20, 0
	s_mov_b32 s13, exec_lo
	v_cmpx_neq_f64_e32 0, v[6:7]
	s_cbranch_execz .LBB120_15
; %bb.14:                               ;   in Loop: Header=BB120_11 Depth=1
	v_div_scale_f64 v[17:18], null, v[2:3], v[2:3], v[0:1]
	v_div_scale_f64 v[36:37], vcc_lo, v[0:1], v[2:3], v[0:1]
	s_delay_alu instid0(VALU_DEP_2) | instskip(SKIP_2) | instid1(VALU_DEP_1)
	v_rcp_f64_e32 v[19:20], v[17:18]
	s_waitcnt_depctr 0xfff
	v_fma_f64 v[22:23], -v[17:18], v[19:20], 1.0
	v_fma_f64 v[19:20], v[19:20], v[22:23], v[19:20]
	s_delay_alu instid0(VALU_DEP_1) | instskip(NEXT) | instid1(VALU_DEP_1)
	v_fma_f64 v[22:23], -v[17:18], v[19:20], 1.0
	v_fma_f64 v[19:20], v[19:20], v[22:23], v[19:20]
	s_delay_alu instid0(VALU_DEP_1) | instskip(NEXT) | instid1(VALU_DEP_1)
	v_mul_f64 v[22:23], v[36:37], v[19:20]
	v_fma_f64 v[17:18], -v[17:18], v[22:23], v[36:37]
	s_delay_alu instid0(VALU_DEP_1) | instskip(NEXT) | instid1(VALU_DEP_1)
	v_div_fmas_f64 v[17:18], v[17:18], v[19:20], v[22:23]
	v_div_fixup_f64 v[0:1], v[17:18], v[2:3], v[0:1]
	s_delay_alu instid0(VALU_DEP_1) | instskip(NEXT) | instid1(VALU_DEP_1)
	v_fma_f64 v[0:1], v[0:1], v[0:1], 1.0
	v_cmp_gt_f64_e32 vcc_lo, 0x10000000, v[0:1]
	v_cndmask_b32_e64 v17, 0, 1, vcc_lo
	s_delay_alu instid0(VALU_DEP_1) | instskip(NEXT) | instid1(VALU_DEP_1)
	v_lshlrev_b32_e32 v17, 8, v17
	v_ldexp_f64 v[0:1], v[0:1], v17
	s_delay_alu instid0(VALU_DEP_1) | instskip(SKIP_3) | instid1(VALU_DEP_1)
	v_rsq_f64_e32 v[17:18], v[0:1]
	s_waitcnt_depctr 0xfff
	v_mul_f64 v[19:20], v[0:1], v[17:18]
	v_mul_f64 v[17:18], v[17:18], 0.5
	v_fma_f64 v[22:23], -v[17:18], v[19:20], 0.5
	s_delay_alu instid0(VALU_DEP_1) | instskip(SKIP_1) | instid1(VALU_DEP_2)
	v_fma_f64 v[19:20], v[19:20], v[22:23], v[19:20]
	v_fma_f64 v[17:18], v[17:18], v[22:23], v[17:18]
	v_fma_f64 v[22:23], -v[19:20], v[19:20], v[0:1]
	s_delay_alu instid0(VALU_DEP_1) | instskip(NEXT) | instid1(VALU_DEP_1)
	v_fma_f64 v[19:20], v[22:23], v[17:18], v[19:20]
	v_fma_f64 v[22:23], -v[19:20], v[19:20], v[0:1]
	s_delay_alu instid0(VALU_DEP_1) | instskip(SKIP_2) | instid1(VALU_DEP_2)
	v_fma_f64 v[17:18], v[22:23], v[17:18], v[19:20]
	v_cndmask_b32_e64 v19, 0, 0xffffff80, vcc_lo
	v_cmp_class_f64_e64 vcc_lo, v[0:1], 0x260
	v_ldexp_f64 v[17:18], v[17:18], v19
	s_delay_alu instid0(VALU_DEP_1) | instskip(NEXT) | instid1(VALU_DEP_1)
	v_dual_cndmask_b32 v1, v18, v1 :: v_dual_cndmask_b32 v0, v17, v0
	v_mul_f64 v[19:20], v[2:3], v[0:1]
.LBB120_15:                             ;   in Loop: Header=BB120_11 Depth=1
	s_or_b32 exec_lo, exec_lo, s13
                                        ; implicit-def: $vgpr0_vgpr1
                                        ; implicit-def: $vgpr2_vgpr3
.LBB120_16:                             ;   in Loop: Header=BB120_11 Depth=1
	s_and_not1_saveexec_b32 s4, s4
	s_cbranch_execz .LBB120_18
; %bb.17:                               ;   in Loop: Header=BB120_11 Depth=1
	v_div_scale_f64 v[17:18], null, v[0:1], v[0:1], v[2:3]
	v_div_scale_f64 v[36:37], vcc_lo, v[2:3], v[0:1], v[2:3]
	s_delay_alu instid0(VALU_DEP_2) | instskip(SKIP_2) | instid1(VALU_DEP_1)
	v_rcp_f64_e32 v[19:20], v[17:18]
	s_waitcnt_depctr 0xfff
	v_fma_f64 v[22:23], -v[17:18], v[19:20], 1.0
	v_fma_f64 v[19:20], v[19:20], v[22:23], v[19:20]
	s_delay_alu instid0(VALU_DEP_1) | instskip(NEXT) | instid1(VALU_DEP_1)
	v_fma_f64 v[22:23], -v[17:18], v[19:20], 1.0
	v_fma_f64 v[19:20], v[19:20], v[22:23], v[19:20]
	s_delay_alu instid0(VALU_DEP_1) | instskip(NEXT) | instid1(VALU_DEP_1)
	v_mul_f64 v[22:23], v[36:37], v[19:20]
	v_fma_f64 v[17:18], -v[17:18], v[22:23], v[36:37]
	s_delay_alu instid0(VALU_DEP_1) | instskip(NEXT) | instid1(VALU_DEP_1)
	v_div_fmas_f64 v[17:18], v[17:18], v[19:20], v[22:23]
	v_div_fixup_f64 v[2:3], v[17:18], v[0:1], v[2:3]
	s_delay_alu instid0(VALU_DEP_1) | instskip(NEXT) | instid1(VALU_DEP_1)
	v_fma_f64 v[2:3], v[2:3], v[2:3], 1.0
	v_cmp_gt_f64_e32 vcc_lo, 0x10000000, v[2:3]
	v_cndmask_b32_e64 v17, 0, 1, vcc_lo
	s_delay_alu instid0(VALU_DEP_1) | instskip(NEXT) | instid1(VALU_DEP_1)
	v_lshlrev_b32_e32 v17, 8, v17
	v_ldexp_f64 v[2:3], v[2:3], v17
	s_delay_alu instid0(VALU_DEP_1) | instskip(SKIP_3) | instid1(VALU_DEP_1)
	v_rsq_f64_e32 v[17:18], v[2:3]
	s_waitcnt_depctr 0xfff
	v_mul_f64 v[19:20], v[2:3], v[17:18]
	v_mul_f64 v[17:18], v[17:18], 0.5
	v_fma_f64 v[22:23], -v[17:18], v[19:20], 0.5
	s_delay_alu instid0(VALU_DEP_1) | instskip(SKIP_1) | instid1(VALU_DEP_2)
	v_fma_f64 v[19:20], v[19:20], v[22:23], v[19:20]
	v_fma_f64 v[17:18], v[17:18], v[22:23], v[17:18]
	v_fma_f64 v[22:23], -v[19:20], v[19:20], v[2:3]
	s_delay_alu instid0(VALU_DEP_1) | instskip(NEXT) | instid1(VALU_DEP_1)
	v_fma_f64 v[19:20], v[22:23], v[17:18], v[19:20]
	v_fma_f64 v[22:23], -v[19:20], v[19:20], v[2:3]
	s_delay_alu instid0(VALU_DEP_1) | instskip(SKIP_2) | instid1(VALU_DEP_2)
	v_fma_f64 v[17:18], v[22:23], v[17:18], v[19:20]
	v_cndmask_b32_e64 v19, 0, 0xffffff80, vcc_lo
	v_cmp_class_f64_e64 vcc_lo, v[2:3], 0x260
	v_ldexp_f64 v[17:18], v[17:18], v19
	s_delay_alu instid0(VALU_DEP_1) | instskip(NEXT) | instid1(VALU_DEP_1)
	v_dual_cndmask_b32 v3, v18, v3 :: v_dual_cndmask_b32 v2, v17, v2
	v_mul_f64 v[19:20], v[0:1], v[2:3]
.LBB120_18:                             ;   in Loop: Header=BB120_11 Depth=1
	s_or_b32 exec_lo, exec_lo, s4
	s_delay_alu instid0(VALU_DEP_1) | instskip(SKIP_2) | instid1(VALU_DEP_3)
	v_mul_f64 v[0:1], v[19:20], v[19:20]
	v_dual_mov_b32 v2, 0 :: v_dual_mov_b32 v17, 0
	v_dual_mov_b32 v3, 0 :: v_dual_mov_b32 v18, 0x3ff00000
	v_cmp_nlt_f64_e32 vcc_lo, v[0:1], v[9:10]
	s_delay_alu instid0(VALU_DEP_2)
	v_dual_mov_b32 v0, v2 :: v_dual_mov_b32 v1, v3
	s_and_saveexec_b32 s13, vcc_lo
	s_cbranch_execz .LBB120_36
; %bb.19:                               ;   in Loop: Header=BB120_11 Depth=1
	v_mul_lo_u32 v0, v8, s7
	v_add_nc_u32_e32 v2, v21, v11
	s_delay_alu instid0(VALU_DEP_1) | instskip(NEXT) | instid1(VALU_DEP_3)
	v_ashrrev_i32_e32 v3, 31, v2
	v_ashrrev_i32_e32 v1, 31, v0
	s_delay_alu instid0(VALU_DEP_2) | instskip(NEXT) | instid1(VALU_DEP_2)
	v_lshlrev_b64 v[2:3], 4, v[2:3]
	v_lshlrev_b64 v[0:1], 4, v[0:1]
	s_delay_alu instid0(VALU_DEP_1) | instskip(NEXT) | instid1(VALU_DEP_2)
	v_add_co_u32 v0, vcc_lo, s5, v0
	v_add_co_ci_u32_e32 v1, vcc_lo, s6, v1, vcc_lo
	s_delay_alu instid0(VALU_DEP_4)
	v_add_co_u32 v2, vcc_lo, s5, v2
	v_add_co_ci_u32_e32 v3, vcc_lo, s6, v3, vcc_lo
	s_clause 0x1
	global_load_b64 v[17:18], v[0:1], off
	global_load_b64 v[2:3], v[2:3], off
	v_add_f64 v[0:1], v[19:20], v[19:20]
	s_delay_alu instid0(VALU_DEP_1) | instskip(SKIP_2) | instid1(VALU_DEP_1)
	v_cmp_class_f64_e64 s14, v[0:1], 0x204
	s_waitcnt vmcnt(0)
	v_add_f64 v[2:3], v[2:3], -v[17:18]
	v_max_f64 v[17:18], |v[2:3]|, |v[0:1]|
	v_cmp_ngt_f64_e64 s4, 0, v[2:3]
	v_cmp_class_f64_e64 s15, v[2:3], 0x204
	s_delay_alu instid0(VALU_DEP_3) | instskip(NEXT) | instid1(VALU_DEP_1)
	v_frexp_exp_i32_f64_e32 v23, v[17:18]
	v_sub_nc_u32_e32 v21, 0, v23
	s_delay_alu instid0(VALU_DEP_1) | instskip(SKIP_1) | instid1(VALU_DEP_2)
	v_ldexp_f64 v[17:18], |v[0:1]|, v21
	v_ldexp_f64 v[21:22], |v[2:3]|, v21
	v_mul_f64 v[17:18], v[17:18], v[17:18]
	s_delay_alu instid0(VALU_DEP_1) | instskip(NEXT) | instid1(VALU_DEP_1)
	v_fma_f64 v[17:18], v[21:22], v[21:22], v[17:18]
	v_rsq_f64_e32 v[21:22], v[17:18]
	v_cmp_eq_f64_e32 vcc_lo, 0, v[17:18]
	s_waitcnt_depctr 0xfff
	v_mul_f64 v[36:37], v[17:18], v[21:22]
	v_mul_f64 v[21:22], v[21:22], 0.5
	s_delay_alu instid0(VALU_DEP_1) | instskip(NEXT) | instid1(VALU_DEP_1)
	v_fma_f64 v[38:39], -v[21:22], v[36:37], 0.5
	v_fma_f64 v[36:37], v[36:37], v[38:39], v[36:37]
	v_fma_f64 v[21:22], v[21:22], v[38:39], v[21:22]
	s_delay_alu instid0(VALU_DEP_2) | instskip(NEXT) | instid1(VALU_DEP_1)
	v_fma_f64 v[38:39], -v[36:37], v[36:37], v[17:18]
	v_fma_f64 v[21:22], v[38:39], v[21:22], v[36:37]
	s_delay_alu instid0(VALU_DEP_1) | instskip(SKIP_1) | instid1(SALU_CYCLE_1)
	v_dual_cndmask_b32 v18, v22, v18 :: v_dual_cndmask_b32 v17, v21, v17
                                        ; implicit-def: $vgpr21_vgpr22
	s_and_saveexec_b32 s22, s4
	s_xor_b32 s4, exec_lo, s22
; %bb.20:                               ;   in Loop: Header=BB120_11 Depth=1
	s_delay_alu instid0(VALU_DEP_1) | instskip(SKIP_2) | instid1(VALU_DEP_2)
	v_ldexp_f64 v[17:18], v[17:18], v23
	v_cmp_o_f64_e32 vcc_lo, v[2:3], v[0:1]
	s_or_b32 s22, s14, s15
                                        ; implicit-def: $vgpr23
	v_cndmask_b32_e32 v17, 0, v17, vcc_lo
	s_delay_alu instid0(VALU_DEP_3) | instskip(NEXT) | instid1(VALU_DEP_2)
	v_cndmask_b32_e32 v18, 0x7ff80000, v18, vcc_lo
	v_cndmask_b32_e64 v21, v17, 0, s22
	s_delay_alu instid0(VALU_DEP_2)
	v_cndmask_b32_e64 v22, v18, 0x7ff00000, s22
                                        ; implicit-def: $vgpr17_vgpr18
; %bb.21:                               ;   in Loop: Header=BB120_11 Depth=1
	s_and_not1_saveexec_b32 s4, s4
; %bb.22:                               ;   in Loop: Header=BB120_11 Depth=1
	v_ldexp_f64 v[17:18], -v[17:18], v23
	v_cmp_o_f64_e32 vcc_lo, v[0:1], v[0:1]
	s_or_b32 s14, s14, s15
	s_delay_alu instid0(VALU_DEP_2) | instskip(NEXT) | instid1(VALU_DEP_3)
	v_cndmask_b32_e32 v17, 0, v17, vcc_lo
	v_cndmask_b32_e32 v18, 0xfff80000, v18, vcc_lo
	s_delay_alu instid0(VALU_DEP_2) | instskip(NEXT) | instid1(VALU_DEP_2)
	v_cndmask_b32_e64 v21, v17, 0, s14
	v_cndmask_b32_e64 v22, v18, 0xfff00000, s14
; %bb.23:                               ;   in Loop: Header=BB120_11 Depth=1
	s_or_b32 exec_lo, exec_lo, s4
	v_mov_b32_e32 v23, 0
	v_dual_mov_b32 v24, 0 :: v_dual_mov_b32 v17, 0
	v_mov_b32_e32 v18, 0x3ff00000
	s_mov_b32 s4, exec_lo
	v_cmpx_neq_f64_e32 0, v[0:1]
	s_cbranch_execz .LBB120_31
; %bb.24:                               ;   in Loop: Header=BB120_11 Depth=1
	v_add_f64 v[2:3], v[2:3], v[21:22]
	v_mov_b32_e32 v17, 0
	v_dual_mov_b32 v18, 0 :: v_dual_mov_b32 v23, 0
	v_mov_b32_e32 v24, 0x3ff00000
	s_mov_b32 s14, exec_lo
	s_delay_alu instid0(VALU_DEP_4)
	v_cmpx_neq_f64_e32 0, v[2:3]
	s_cbranch_execz .LBB120_30
; %bb.25:                               ;   in Loop: Header=BB120_11 Depth=1
	v_cmp_ngt_f64_e64 s15, |v[0:1]|, |v[2:3]|
                                        ; implicit-def: $vgpr17_vgpr18
                                        ; implicit-def: $vgpr23_vgpr24
	s_delay_alu instid0(VALU_DEP_1) | instskip(NEXT) | instid1(SALU_CYCLE_1)
	s_and_saveexec_b32 s22, s15
	s_xor_b32 s15, exec_lo, s22
	s_cbranch_execz .LBB120_27
; %bb.26:                               ;   in Loop: Header=BB120_11 Depth=1
	v_div_scale_f64 v[17:18], null, v[2:3], v[2:3], -v[0:1]
	v_div_scale_f64 v[36:37], vcc_lo, -v[0:1], v[2:3], -v[0:1]
	s_delay_alu instid0(VALU_DEP_2) | instskip(SKIP_2) | instid1(VALU_DEP_1)
	v_rcp_f64_e32 v[21:22], v[17:18]
	s_waitcnt_depctr 0xfff
	v_fma_f64 v[23:24], -v[17:18], v[21:22], 1.0
	v_fma_f64 v[21:22], v[21:22], v[23:24], v[21:22]
	s_delay_alu instid0(VALU_DEP_1) | instskip(NEXT) | instid1(VALU_DEP_1)
	v_fma_f64 v[23:24], -v[17:18], v[21:22], 1.0
	v_fma_f64 v[21:22], v[21:22], v[23:24], v[21:22]
	s_delay_alu instid0(VALU_DEP_1) | instskip(NEXT) | instid1(VALU_DEP_1)
	v_mul_f64 v[23:24], v[36:37], v[21:22]
	v_fma_f64 v[17:18], -v[17:18], v[23:24], v[36:37]
	s_delay_alu instid0(VALU_DEP_1) | instskip(NEXT) | instid1(VALU_DEP_1)
	v_div_fmas_f64 v[17:18], v[17:18], v[21:22], v[23:24]
	v_div_fixup_f64 v[0:1], v[17:18], v[2:3], -v[0:1]
	s_delay_alu instid0(VALU_DEP_1) | instskip(NEXT) | instid1(VALU_DEP_1)
	v_fma_f64 v[2:3], v[0:1], v[0:1], 1.0
	v_cmp_gt_f64_e32 vcc_lo, 0x10000000, v[2:3]
	v_cndmask_b32_e64 v17, 0, 1, vcc_lo
	s_delay_alu instid0(VALU_DEP_1) | instskip(NEXT) | instid1(VALU_DEP_1)
	v_lshlrev_b32_e32 v17, 8, v17
	v_ldexp_f64 v[2:3], v[2:3], v17
	s_delay_alu instid0(VALU_DEP_1) | instskip(SKIP_3) | instid1(VALU_DEP_1)
	v_rsq_f64_e32 v[17:18], v[2:3]
	s_waitcnt_depctr 0xfff
	v_mul_f64 v[21:22], v[2:3], v[17:18]
	v_mul_f64 v[17:18], v[17:18], 0.5
	v_fma_f64 v[23:24], -v[17:18], v[21:22], 0.5
	s_delay_alu instid0(VALU_DEP_1) | instskip(SKIP_1) | instid1(VALU_DEP_2)
	v_fma_f64 v[21:22], v[21:22], v[23:24], v[21:22]
	v_fma_f64 v[17:18], v[17:18], v[23:24], v[17:18]
	v_fma_f64 v[23:24], -v[21:22], v[21:22], v[2:3]
	s_delay_alu instid0(VALU_DEP_1) | instskip(NEXT) | instid1(VALU_DEP_1)
	v_fma_f64 v[21:22], v[23:24], v[17:18], v[21:22]
	v_fma_f64 v[23:24], -v[21:22], v[21:22], v[2:3]
	s_delay_alu instid0(VALU_DEP_1) | instskip(SKIP_2) | instid1(VALU_DEP_2)
	v_fma_f64 v[17:18], v[23:24], v[17:18], v[21:22]
	v_cndmask_b32_e64 v21, 0, 0xffffff80, vcc_lo
	v_cmp_class_f64_e64 vcc_lo, v[2:3], 0x260
	v_ldexp_f64 v[17:18], v[17:18], v21
	s_delay_alu instid0(VALU_DEP_1) | instskip(NEXT) | instid1(VALU_DEP_1)
	v_dual_cndmask_b32 v3, v18, v3 :: v_dual_cndmask_b32 v2, v17, v2
	v_div_scale_f64 v[17:18], null, v[2:3], v[2:3], 1.0
	s_delay_alu instid0(VALU_DEP_1) | instskip(SKIP_2) | instid1(VALU_DEP_1)
	v_rcp_f64_e32 v[21:22], v[17:18]
	s_waitcnt_depctr 0xfff
	v_fma_f64 v[23:24], -v[17:18], v[21:22], 1.0
	v_fma_f64 v[21:22], v[21:22], v[23:24], v[21:22]
	s_delay_alu instid0(VALU_DEP_1) | instskip(NEXT) | instid1(VALU_DEP_1)
	v_fma_f64 v[23:24], -v[17:18], v[21:22], 1.0
	v_fma_f64 v[21:22], v[21:22], v[23:24], v[21:22]
	v_div_scale_f64 v[23:24], vcc_lo, 1.0, v[2:3], 1.0
	s_delay_alu instid0(VALU_DEP_1) | instskip(NEXT) | instid1(VALU_DEP_1)
	v_mul_f64 v[36:37], v[23:24], v[21:22]
	v_fma_f64 v[17:18], -v[17:18], v[36:37], v[23:24]
	s_delay_alu instid0(VALU_DEP_1) | instskip(NEXT) | instid1(VALU_DEP_1)
	v_div_fmas_f64 v[17:18], v[17:18], v[21:22], v[36:37]
	v_div_fixup_f64 v[17:18], v[17:18], v[2:3], 1.0
                                        ; implicit-def: $vgpr2_vgpr3
	s_delay_alu instid0(VALU_DEP_1)
	v_mul_f64 v[23:24], v[0:1], v[17:18]
                                        ; implicit-def: $vgpr0_vgpr1
.LBB120_27:                             ;   in Loop: Header=BB120_11 Depth=1
	s_and_not1_saveexec_b32 s15, s15
	s_cbranch_execz .LBB120_29
; %bb.28:                               ;   in Loop: Header=BB120_11 Depth=1
	v_div_scale_f64 v[17:18], null, v[0:1], v[0:1], -v[2:3]
	v_div_scale_f64 v[36:37], vcc_lo, -v[2:3], v[0:1], -v[2:3]
	s_delay_alu instid0(VALU_DEP_2) | instskip(SKIP_2) | instid1(VALU_DEP_1)
	v_rcp_f64_e32 v[21:22], v[17:18]
	s_waitcnt_depctr 0xfff
	v_fma_f64 v[23:24], -v[17:18], v[21:22], 1.0
	v_fma_f64 v[21:22], v[21:22], v[23:24], v[21:22]
	s_delay_alu instid0(VALU_DEP_1) | instskip(NEXT) | instid1(VALU_DEP_1)
	v_fma_f64 v[23:24], -v[17:18], v[21:22], 1.0
	v_fma_f64 v[21:22], v[21:22], v[23:24], v[21:22]
	s_delay_alu instid0(VALU_DEP_1) | instskip(NEXT) | instid1(VALU_DEP_1)
	v_mul_f64 v[23:24], v[36:37], v[21:22]
	v_fma_f64 v[17:18], -v[17:18], v[23:24], v[36:37]
	s_delay_alu instid0(VALU_DEP_1) | instskip(NEXT) | instid1(VALU_DEP_1)
	v_div_fmas_f64 v[17:18], v[17:18], v[21:22], v[23:24]
	v_div_fixup_f64 v[0:1], v[17:18], v[0:1], -v[2:3]
	s_delay_alu instid0(VALU_DEP_1) | instskip(NEXT) | instid1(VALU_DEP_1)
	v_fma_f64 v[2:3], v[0:1], v[0:1], 1.0
	v_cmp_gt_f64_e32 vcc_lo, 0x10000000, v[2:3]
	v_cndmask_b32_e64 v17, 0, 1, vcc_lo
	s_delay_alu instid0(VALU_DEP_1) | instskip(NEXT) | instid1(VALU_DEP_1)
	v_lshlrev_b32_e32 v17, 8, v17
	v_ldexp_f64 v[2:3], v[2:3], v17
	s_delay_alu instid0(VALU_DEP_1) | instskip(SKIP_3) | instid1(VALU_DEP_1)
	v_rsq_f64_e32 v[17:18], v[2:3]
	s_waitcnt_depctr 0xfff
	v_mul_f64 v[21:22], v[2:3], v[17:18]
	v_mul_f64 v[17:18], v[17:18], 0.5
	v_fma_f64 v[23:24], -v[17:18], v[21:22], 0.5
	s_delay_alu instid0(VALU_DEP_1) | instskip(SKIP_1) | instid1(VALU_DEP_2)
	v_fma_f64 v[21:22], v[21:22], v[23:24], v[21:22]
	v_fma_f64 v[17:18], v[17:18], v[23:24], v[17:18]
	v_fma_f64 v[23:24], -v[21:22], v[21:22], v[2:3]
	s_delay_alu instid0(VALU_DEP_1) | instskip(NEXT) | instid1(VALU_DEP_1)
	v_fma_f64 v[21:22], v[23:24], v[17:18], v[21:22]
	v_fma_f64 v[23:24], -v[21:22], v[21:22], v[2:3]
	s_delay_alu instid0(VALU_DEP_1) | instskip(SKIP_2) | instid1(VALU_DEP_2)
	v_fma_f64 v[17:18], v[23:24], v[17:18], v[21:22]
	v_cndmask_b32_e64 v21, 0, 0xffffff80, vcc_lo
	v_cmp_class_f64_e64 vcc_lo, v[2:3], 0x260
	v_ldexp_f64 v[17:18], v[17:18], v21
	s_delay_alu instid0(VALU_DEP_1) | instskip(NEXT) | instid1(VALU_DEP_1)
	v_dual_cndmask_b32 v3, v18, v3 :: v_dual_cndmask_b32 v2, v17, v2
	v_div_scale_f64 v[17:18], null, v[2:3], v[2:3], 1.0
	s_delay_alu instid0(VALU_DEP_1) | instskip(SKIP_2) | instid1(VALU_DEP_1)
	v_rcp_f64_e32 v[21:22], v[17:18]
	s_waitcnt_depctr 0xfff
	v_fma_f64 v[23:24], -v[17:18], v[21:22], 1.0
	v_fma_f64 v[21:22], v[21:22], v[23:24], v[21:22]
	s_delay_alu instid0(VALU_DEP_1) | instskip(NEXT) | instid1(VALU_DEP_1)
	v_fma_f64 v[23:24], -v[17:18], v[21:22], 1.0
	v_fma_f64 v[21:22], v[21:22], v[23:24], v[21:22]
	v_div_scale_f64 v[23:24], vcc_lo, 1.0, v[2:3], 1.0
	s_delay_alu instid0(VALU_DEP_1) | instskip(NEXT) | instid1(VALU_DEP_1)
	v_mul_f64 v[36:37], v[23:24], v[21:22]
	v_fma_f64 v[17:18], -v[17:18], v[36:37], v[23:24]
	s_delay_alu instid0(VALU_DEP_1) | instskip(NEXT) | instid1(VALU_DEP_1)
	v_div_fmas_f64 v[17:18], v[17:18], v[21:22], v[36:37]
	v_div_fixup_f64 v[23:24], v[17:18], v[2:3], 1.0
	s_delay_alu instid0(VALU_DEP_1)
	v_mul_f64 v[17:18], v[0:1], v[23:24]
.LBB120_29:                             ;   in Loop: Header=BB120_11 Depth=1
	s_or_b32 exec_lo, exec_lo, s15
.LBB120_30:                             ;   in Loop: Header=BB120_11 Depth=1
	s_delay_alu instid0(SALU_CYCLE_1)
	s_or_b32 exec_lo, exec_lo, s14
.LBB120_31:                             ;   in Loop: Header=BB120_11 Depth=1
	s_delay_alu instid0(SALU_CYCLE_1) | instskip(SKIP_1) | instid1(VALU_DEP_2)
	s_or_b32 exec_lo, exec_lo, s4
	v_cmp_gt_f64_e32 vcc_lo, 0, v[19:20]
	v_mul_f64 v[21:22], v[4:5], v[23:24]
	v_mul_f64 v[4:5], v[6:7], v[23:24]
	v_xor_b32_e32 v0, 0x80000000, v20
	s_mov_b32 s4, exec_lo
                                        ; implicit-def: $vgpr2_vgpr3
	s_delay_alu instid0(VALU_DEP_1) | instskip(NEXT) | instid1(VALU_DEP_1)
	v_dual_cndmask_b32 v1, v20, v0 :: v_dual_cndmask_b32 v0, v19, v19
	v_cmpx_nlt_f64_e32 0, v[0:1]
	s_xor_b32 s4, exec_lo, s4
	s_cbranch_execz .LBB120_33
; %bb.32:                               ;   in Loop: Header=BB120_11 Depth=1
	v_div_scale_f64 v[0:1], null, 0, 0, v[19:20]
	v_div_scale_f64 v[23:24], vcc_lo, v[19:20], 0, v[19:20]
	s_delay_alu instid0(VALU_DEP_2) | instskip(SKIP_2) | instid1(VALU_DEP_1)
	v_rcp_f64_e32 v[2:3], v[0:1]
	s_waitcnt_depctr 0xfff
	v_fma_f64 v[6:7], -v[0:1], v[2:3], 1.0
	v_fma_f64 v[2:3], v[2:3], v[6:7], v[2:3]
	s_delay_alu instid0(VALU_DEP_1) | instskip(NEXT) | instid1(VALU_DEP_1)
	v_fma_f64 v[6:7], -v[0:1], v[2:3], 1.0
	v_fma_f64 v[2:3], v[2:3], v[6:7], v[2:3]
	s_delay_alu instid0(VALU_DEP_1) | instskip(NEXT) | instid1(VALU_DEP_1)
	v_mul_f64 v[6:7], v[23:24], v[2:3]
	v_fma_f64 v[0:1], -v[0:1], v[6:7], v[23:24]
	s_delay_alu instid0(VALU_DEP_1) | instskip(NEXT) | instid1(VALU_DEP_1)
	v_div_fmas_f64 v[0:1], v[0:1], v[2:3], v[6:7]
	v_div_fixup_f64 v[0:1], v[0:1], 0, v[19:20]
	s_delay_alu instid0(VALU_DEP_1) | instskip(NEXT) | instid1(VALU_DEP_1)
	v_fma_f64 v[2:3], v[19:20], v[0:1], 0
	v_div_scale_f64 v[6:7], null, v[2:3], v[2:3], 1.0
	v_div_scale_f64 v[36:37], vcc_lo, 1.0, v[2:3], 1.0
	s_delay_alu instid0(VALU_DEP_2) | instskip(SKIP_2) | instid1(VALU_DEP_1)
	v_rcp_f64_e32 v[19:20], v[6:7]
	s_waitcnt_depctr 0xfff
	v_fma_f64 v[23:24], -v[6:7], v[19:20], 1.0
	v_fma_f64 v[19:20], v[19:20], v[23:24], v[19:20]
	s_delay_alu instid0(VALU_DEP_1) | instskip(NEXT) | instid1(VALU_DEP_1)
	v_fma_f64 v[23:24], -v[6:7], v[19:20], 1.0
	v_fma_f64 v[19:20], v[19:20], v[23:24], v[19:20]
	s_delay_alu instid0(VALU_DEP_1) | instskip(NEXT) | instid1(VALU_DEP_1)
	v_mul_f64 v[23:24], v[36:37], v[19:20]
	v_fma_f64 v[6:7], -v[6:7], v[23:24], v[36:37]
	s_delay_alu instid0(VALU_DEP_1) | instskip(SKIP_2) | instid1(VALU_DEP_3)
	v_div_fmas_f64 v[6:7], v[6:7], v[19:20], v[23:24]
	v_fma_f64 v[19:20], v[0:1], v[21:22], v[4:5]
	v_fma_f64 v[4:5], v[0:1], v[4:5], -v[21:22]
                                        ; implicit-def: $vgpr21_vgpr22
	v_div_fixup_f64 v[2:3], v[6:7], v[2:3], 1.0
	s_delay_alu instid0(VALU_DEP_1) | instskip(NEXT) | instid1(VALU_DEP_3)
	v_mul_f64 v[0:1], v[2:3], v[19:20]
	v_mul_f64 v[2:3], v[2:3], v[4:5]
                                        ; implicit-def: $vgpr19_vgpr20
                                        ; implicit-def: $vgpr4_vgpr5
.LBB120_33:                             ;   in Loop: Header=BB120_11 Depth=1
	s_and_not1_saveexec_b32 s4, s4
	s_cbranch_execz .LBB120_35
; %bb.34:                               ;   in Loop: Header=BB120_11 Depth=1
	v_div_scale_f64 v[0:1], null, v[19:20], v[19:20], 0
	v_div_scale_f64 v[23:24], vcc_lo, 0, v[19:20], 0
	s_delay_alu instid0(VALU_DEP_2) | instskip(SKIP_2) | instid1(VALU_DEP_1)
	v_rcp_f64_e32 v[2:3], v[0:1]
	s_waitcnt_depctr 0xfff
	v_fma_f64 v[6:7], -v[0:1], v[2:3], 1.0
	v_fma_f64 v[2:3], v[2:3], v[6:7], v[2:3]
	s_delay_alu instid0(VALU_DEP_1) | instskip(NEXT) | instid1(VALU_DEP_1)
	v_fma_f64 v[6:7], -v[0:1], v[2:3], 1.0
	v_fma_f64 v[2:3], v[2:3], v[6:7], v[2:3]
	s_delay_alu instid0(VALU_DEP_1) | instskip(NEXT) | instid1(VALU_DEP_1)
	v_mul_f64 v[6:7], v[23:24], v[2:3]
	v_fma_f64 v[0:1], -v[0:1], v[6:7], v[23:24]
	s_delay_alu instid0(VALU_DEP_1) | instskip(NEXT) | instid1(VALU_DEP_1)
	v_div_fmas_f64 v[0:1], v[0:1], v[2:3], v[6:7]
	v_div_fixup_f64 v[0:1], v[0:1], v[19:20], 0
	s_delay_alu instid0(VALU_DEP_1) | instskip(NEXT) | instid1(VALU_DEP_1)
	v_fma_f64 v[2:3], v[0:1], 0, v[19:20]
	v_div_scale_f64 v[6:7], null, v[2:3], v[2:3], 1.0
	v_div_scale_f64 v[36:37], vcc_lo, 1.0, v[2:3], 1.0
	s_delay_alu instid0(VALU_DEP_2) | instskip(SKIP_2) | instid1(VALU_DEP_1)
	v_rcp_f64_e32 v[19:20], v[6:7]
	s_waitcnt_depctr 0xfff
	v_fma_f64 v[23:24], -v[6:7], v[19:20], 1.0
	v_fma_f64 v[19:20], v[19:20], v[23:24], v[19:20]
	s_delay_alu instid0(VALU_DEP_1) | instskip(NEXT) | instid1(VALU_DEP_1)
	v_fma_f64 v[23:24], -v[6:7], v[19:20], 1.0
	v_fma_f64 v[19:20], v[19:20], v[23:24], v[19:20]
	s_delay_alu instid0(VALU_DEP_1) | instskip(NEXT) | instid1(VALU_DEP_1)
	v_mul_f64 v[23:24], v[36:37], v[19:20]
	v_fma_f64 v[6:7], -v[6:7], v[23:24], v[36:37]
	s_delay_alu instid0(VALU_DEP_1) | instskip(SKIP_2) | instid1(VALU_DEP_3)
	v_div_fmas_f64 v[6:7], v[6:7], v[19:20], v[23:24]
	v_fma_f64 v[19:20], v[0:1], v[4:5], v[21:22]
	v_fma_f64 v[4:5], -v[0:1], v[21:22], v[4:5]
	v_div_fixup_f64 v[2:3], v[6:7], v[2:3], 1.0
	s_delay_alu instid0(VALU_DEP_1) | instskip(NEXT) | instid1(VALU_DEP_3)
	v_mul_f64 v[0:1], v[2:3], v[19:20]
	v_mul_f64 v[2:3], v[2:3], v[4:5]
.LBB120_35:                             ;   in Loop: Header=BB120_11 Depth=1
	s_or_b32 exec_lo, exec_lo, s4
.LBB120_36:                             ;   in Loop: Header=BB120_11 Depth=1
	s_delay_alu instid0(SALU_CYCLE_1)
	s_or_b32 exec_lo, exec_lo, s13
	ds_store_b64 v29, v[17:18]
	ds_store_2addr_b64 v32, v[0:1], v[2:3] offset1:1
.LBB120_37:                             ;   in Loop: Header=BB120_11 Depth=1
	s_or_b32 exec_lo, exec_lo, s10
	s_and_b32 s1, s1, s3
	s_waitcnt lgkmcnt(0)
	s_waitcnt_vscnt null, 0x0
	s_barrier
	buffer_gl0_inv
	s_and_saveexec_b32 s3, s1
	s_cbranch_execz .LBB120_45
; %bb.38:                               ;   in Loop: Header=BB120_11 Depth=1
	ds_load_b64 v[17:18], v29
	ds_load_2addr_b64 v[0:3], v32 offset1:1
	s_and_not1_b32 vcc_lo, exec_lo, s20
	s_cbranch_vccnz .LBB120_42
; %bb.39:                               ;   in Loop: Header=BB120_11 Depth=1
	v_subrev_nc_u32_e32 v5, s19, v11
	v_subrev_nc_u32_e32 v4, s19, v8
	s_delay_alu instid0(VALU_DEP_2) | instskip(NEXT) | instid1(VALU_DEP_2)
	v_add_nc_u32_e32 v6, v5, v26
	v_add_nc_u32_e32 v13, v4, v26
	s_delay_alu instid0(VALU_DEP_2) | instskip(NEXT) | instid1(VALU_DEP_2)
	v_ashrrev_i32_e32 v7, 31, v6
	v_ashrrev_i32_e32 v14, 31, v13
	s_delay_alu instid0(VALU_DEP_2) | instskip(NEXT) | instid1(VALU_DEP_2)
	v_lshlrev_b64 v[6:7], 4, v[6:7]
	v_lshlrev_b64 v[13:14], 4, v[13:14]
	s_delay_alu instid0(VALU_DEP_2) | instskip(NEXT) | instid1(VALU_DEP_3)
	v_add_co_u32 v6, vcc_lo, s16, v6
	v_add_co_ci_u32_e32 v7, vcc_lo, s17, v7, vcc_lo
	s_delay_alu instid0(VALU_DEP_3) | instskip(NEXT) | instid1(VALU_DEP_4)
	v_add_co_u32 v23, vcc_lo, s16, v13
	v_add_co_ci_u32_e32 v24, vcc_lo, s17, v14, vcc_lo
	s_clause 0x1
	flat_load_b128 v[13:16], v[6:7]
	flat_load_b128 v[19:22], v[23:24]
	s_waitcnt vmcnt(1) lgkmcnt(1)
	v_mul_f64 v[36:37], v[2:3], v[15:16]
	v_mul_f64 v[38:39], v[2:3], v[13:14]
	s_waitcnt vmcnt(0) lgkmcnt(0)
	v_mul_f64 v[40:41], v[0:1], v[19:20]
	v_mul_f64 v[42:43], v[0:1], v[21:22]
	s_delay_alu instid0(VALU_DEP_4) | instskip(NEXT) | instid1(VALU_DEP_4)
	v_fma_f64 v[36:37], v[0:1], v[13:14], v[36:37]
	v_fma_f64 v[38:39], v[0:1], v[15:16], -v[38:39]
	s_delay_alu instid0(VALU_DEP_4) | instskip(NEXT) | instid1(VALU_DEP_4)
	v_fma_f64 v[40:41], v[2:3], v[21:22], -v[40:41]
	v_fma_f64 v[42:43], v[19:20], -v[2:3], -v[42:43]
	s_delay_alu instid0(VALU_DEP_4) | instskip(NEXT) | instid1(VALU_DEP_4)
	v_fma_f64 v[19:20], v[17:18], v[19:20], v[36:37]
	v_fma_f64 v[21:22], v[17:18], v[21:22], v[38:39]
	s_delay_alu instid0(VALU_DEP_4) | instskip(NEXT) | instid1(VALU_DEP_4)
	v_fma_f64 v[13:14], v[17:18], v[13:14], v[40:41]
	v_fma_f64 v[15:16], v[17:18], v[15:16], v[42:43]
	s_clause 0x1
	flat_store_b128 v[23:24], v[19:22]
	flat_store_b128 v[6:7], v[13:16]
	s_and_saveexec_b32 s4, s0
	s_cbranch_execz .LBB120_41
; %bb.40:                               ;   in Loop: Header=BB120_11 Depth=1
	v_add_nc_u32_e32 v5, v5, v27
	v_add_nc_u32_e32 v13, v4, v27
	s_delay_alu instid0(VALU_DEP_2) | instskip(NEXT) | instid1(VALU_DEP_2)
	v_ashrrev_i32_e32 v6, 31, v5
	v_ashrrev_i32_e32 v14, 31, v13
	s_delay_alu instid0(VALU_DEP_2) | instskip(NEXT) | instid1(VALU_DEP_2)
	v_lshlrev_b64 v[4:5], 4, v[5:6]
	v_lshlrev_b64 v[6:7], 4, v[13:14]
	s_delay_alu instid0(VALU_DEP_2) | instskip(NEXT) | instid1(VALU_DEP_3)
	v_add_co_u32 v19, vcc_lo, s16, v4
	v_add_co_ci_u32_e32 v20, vcc_lo, s17, v5, vcc_lo
	s_delay_alu instid0(VALU_DEP_3) | instskip(NEXT) | instid1(VALU_DEP_4)
	v_add_co_u32 v21, vcc_lo, s16, v6
	v_add_co_ci_u32_e32 v22, vcc_lo, s17, v7, vcc_lo
	s_clause 0x1
	flat_load_b128 v[4:7], v[19:20]
	flat_load_b128 v[13:16], v[21:22]
	s_waitcnt vmcnt(1) lgkmcnt(1)
	v_mul_f64 v[23:24], v[2:3], v[6:7]
	v_mul_f64 v[36:37], v[2:3], v[4:5]
	s_waitcnt vmcnt(0) lgkmcnt(0)
	v_mul_f64 v[38:39], v[0:1], v[13:14]
	v_mul_f64 v[40:41], v[0:1], v[15:16]
	s_delay_alu instid0(VALU_DEP_4) | instskip(NEXT) | instid1(VALU_DEP_4)
	v_fma_f64 v[23:24], v[0:1], v[4:5], v[23:24]
	v_fma_f64 v[36:37], v[0:1], v[6:7], -v[36:37]
	s_delay_alu instid0(VALU_DEP_4) | instskip(NEXT) | instid1(VALU_DEP_4)
	v_fma_f64 v[38:39], v[2:3], v[15:16], -v[38:39]
	v_fma_f64 v[40:41], v[13:14], -v[2:3], -v[40:41]
	s_delay_alu instid0(VALU_DEP_4) | instskip(NEXT) | instid1(VALU_DEP_4)
	v_fma_f64 v[13:14], v[17:18], v[13:14], v[23:24]
	v_fma_f64 v[15:16], v[17:18], v[15:16], v[36:37]
	s_delay_alu instid0(VALU_DEP_4) | instskip(NEXT) | instid1(VALU_DEP_4)
	v_fma_f64 v[4:5], v[17:18], v[4:5], v[38:39]
	v_fma_f64 v[6:7], v[17:18], v[6:7], v[40:41]
	s_clause 0x1
	flat_store_b128 v[21:22], v[13:16]
	flat_store_b128 v[19:20], v[4:7]
.LBB120_41:                             ;   in Loop: Header=BB120_11 Depth=1
	s_or_b32 exec_lo, exec_lo, s4
.LBB120_42:                             ;   in Loop: Header=BB120_11 Depth=1
	v_mad_u64_u32 v[4:5], null, v11, s11, v[12:13]
	v_mad_u64_u32 v[6:7], null, v8, s11, v[12:13]
	s_delay_alu instid0(VALU_DEP_2) | instskip(NEXT) | instid1(VALU_DEP_2)
	v_ashrrev_i32_e32 v5, 31, v4
	v_ashrrev_i32_e32 v7, 31, v6
	s_delay_alu instid0(VALU_DEP_2) | instskip(NEXT) | instid1(VALU_DEP_2)
	v_lshlrev_b64 v[4:5], 4, v[4:5]
	v_lshlrev_b64 v[6:7], 4, v[6:7]
	s_delay_alu instid0(VALU_DEP_2) | instskip(NEXT) | instid1(VALU_DEP_3)
	v_add_co_u32 v4, vcc_lo, s5, v4
	v_add_co_ci_u32_e32 v5, vcc_lo, s6, v5, vcc_lo
	s_delay_alu instid0(VALU_DEP_3) | instskip(NEXT) | instid1(VALU_DEP_4)
	v_add_co_u32 v6, vcc_lo, s5, v6
	v_add_co_ci_u32_e32 v7, vcc_lo, s6, v7, vcc_lo
	s_clause 0x1
	global_load_b128 v[13:16], v[4:5], off
	global_load_b128 v[19:22], v[6:7], off
	s_waitcnt vmcnt(1) lgkmcnt(0)
	v_mul_f64 v[23:24], v[2:3], v[15:16]
	v_mul_f64 v[36:37], v[2:3], v[13:14]
	s_waitcnt vmcnt(0)
	v_mul_f64 v[38:39], v[0:1], v[19:20]
	v_mul_f64 v[40:41], v[0:1], v[21:22]
	s_delay_alu instid0(VALU_DEP_4) | instskip(NEXT) | instid1(VALU_DEP_4)
	v_fma_f64 v[23:24], v[0:1], v[13:14], v[23:24]
	v_fma_f64 v[36:37], v[0:1], v[15:16], -v[36:37]
	s_delay_alu instid0(VALU_DEP_4) | instskip(NEXT) | instid1(VALU_DEP_4)
	v_fma_f64 v[38:39], v[2:3], v[21:22], -v[38:39]
	v_fma_f64 v[40:41], v[19:20], -v[2:3], -v[40:41]
	s_delay_alu instid0(VALU_DEP_4) | instskip(NEXT) | instid1(VALU_DEP_4)
	v_fma_f64 v[19:20], v[17:18], v[19:20], v[23:24]
	v_fma_f64 v[21:22], v[17:18], v[21:22], v[36:37]
	s_delay_alu instid0(VALU_DEP_4) | instskip(NEXT) | instid1(VALU_DEP_4)
	v_fma_f64 v[13:14], v[17:18], v[13:14], v[38:39]
	v_fma_f64 v[15:16], v[17:18], v[15:16], v[40:41]
	s_clause 0x1
	global_store_b128 v[6:7], v[19:22], off
	global_store_b128 v[4:5], v[13:16], off
	s_and_saveexec_b32 s4, s0
	s_cbranch_execz .LBB120_44
; %bb.43:                               ;   in Loop: Header=BB120_11 Depth=1
	s_clause 0x1
	global_load_b128 v[13:16], v[4:5], off offset:16
	global_load_b128 v[19:22], v[6:7], off offset:16
	s_waitcnt vmcnt(1)
	v_mul_f64 v[23:24], v[2:3], v[15:16]
	v_mul_f64 v[36:37], v[2:3], v[13:14]
	s_waitcnt vmcnt(0)
	v_mul_f64 v[38:39], v[0:1], v[19:20]
	v_mul_f64 v[40:41], v[0:1], v[21:22]
	s_delay_alu instid0(VALU_DEP_4) | instskip(NEXT) | instid1(VALU_DEP_4)
	v_fma_f64 v[23:24], v[0:1], v[13:14], v[23:24]
	v_fma_f64 v[36:37], v[0:1], v[15:16], -v[36:37]
	s_delay_alu instid0(VALU_DEP_4) | instskip(NEXT) | instid1(VALU_DEP_4)
	v_fma_f64 v[38:39], v[2:3], v[21:22], -v[38:39]
	v_fma_f64 v[40:41], v[19:20], -v[2:3], -v[40:41]
	s_delay_alu instid0(VALU_DEP_4) | instskip(NEXT) | instid1(VALU_DEP_4)
	v_fma_f64 v[19:20], v[17:18], v[19:20], v[23:24]
	v_fma_f64 v[21:22], v[17:18], v[21:22], v[36:37]
	s_delay_alu instid0(VALU_DEP_4) | instskip(NEXT) | instid1(VALU_DEP_4)
	v_fma_f64 v[13:14], v[17:18], v[13:14], v[38:39]
	v_fma_f64 v[15:16], v[17:18], v[15:16], v[40:41]
	s_clause 0x1
	global_store_b128 v[6:7], v[19:22], off offset:16
	global_store_b128 v[4:5], v[13:16], off offset:16
.LBB120_44:                             ;   in Loop: Header=BB120_11 Depth=1
	s_or_b32 exec_lo, exec_lo, s4
	v_dual_mov_b32 v13, v2 :: v_dual_mov_b32 v16, v1
	v_xor_b32_e32 v14, 0x80000000, v3
	v_mov_b32_e32 v15, v0
.LBB120_45:                             ;   in Loop: Header=BB120_11 Depth=1
	s_or_b32 exec_lo, exec_lo, s3
	s_waitcnt_vscnt null, 0x0
	s_barrier
	buffer_gl0_inv
	s_and_saveexec_b32 s3, s1
	s_cbranch_execz .LBB120_48
; %bb.46:                               ;   in Loop: Header=BB120_11 Depth=1
	v_add_nc_u32_e32 v4, v11, v28
	v_add_nc_u32_e32 v6, v8, v28
	s_delay_alu instid0(VALU_DEP_2) | instskip(NEXT) | instid1(VALU_DEP_2)
	v_ashrrev_i32_e32 v5, 31, v4
	v_ashrrev_i32_e32 v7, 31, v6
	s_delay_alu instid0(VALU_DEP_2) | instskip(NEXT) | instid1(VALU_DEP_2)
	v_lshlrev_b64 v[4:5], 4, v[4:5]
	v_lshlrev_b64 v[6:7], 4, v[6:7]
	s_delay_alu instid0(VALU_DEP_2) | instskip(NEXT) | instid1(VALU_DEP_3)
	v_add_co_u32 v23, vcc_lo, s5, v4
	v_add_co_ci_u32_e32 v24, vcc_lo, s6, v5, vcc_lo
	s_delay_alu instid0(VALU_DEP_3) | instskip(NEXT) | instid1(VALU_DEP_4)
	v_add_co_u32 v36, vcc_lo, s5, v6
	v_add_co_ci_u32_e32 v37, vcc_lo, s6, v7, vcc_lo
	s_clause 0x1
	global_load_b128 v[4:7], v[23:24], off
	global_load_b128 v[19:22], v[36:37], off
	s_waitcnt vmcnt(1)
	v_mul_f64 v[38:39], v[2:3], v[6:7]
	v_mul_f64 v[40:41], v[0:1], v[6:7]
	s_waitcnt vmcnt(0)
	v_mul_f64 v[42:43], v[15:16], v[19:20]
	v_mul_f64 v[44:45], v[15:16], v[21:22]
	s_delay_alu instid0(VALU_DEP_4) | instskip(NEXT) | instid1(VALU_DEP_4)
	v_fma_f64 v[38:39], v[0:1], v[4:5], -v[38:39]
	v_fma_f64 v[40:41], v[2:3], v[4:5], v[40:41]
	s_delay_alu instid0(VALU_DEP_4) | instskip(NEXT) | instid1(VALU_DEP_4)
	v_fma_f64 v[42:43], v[13:14], v[21:22], -v[42:43]
	v_fma_f64 v[44:45], v[19:20], -v[13:14], -v[44:45]
	s_delay_alu instid0(VALU_DEP_4) | instskip(NEXT) | instid1(VALU_DEP_4)
	v_fma_f64 v[19:20], v[17:18], v[19:20], v[38:39]
	v_fma_f64 v[21:22], v[17:18], v[21:22], v[40:41]
	s_delay_alu instid0(VALU_DEP_4) | instskip(NEXT) | instid1(VALU_DEP_4)
	v_fma_f64 v[4:5], v[17:18], v[4:5], v[42:43]
	v_fma_f64 v[6:7], v[17:18], v[6:7], v[44:45]
	s_clause 0x1
	global_store_b128 v[36:37], v[19:22], off
	global_store_b128 v[23:24], v[4:7], off
	s_and_b32 exec_lo, exec_lo, s0
	s_cbranch_execz .LBB120_48
; %bb.47:                               ;   in Loop: Header=BB120_11 Depth=1
	v_add_nc_u32_e32 v4, v11, v33
	v_add_nc_u32_e32 v6, v8, v33
	s_delay_alu instid0(VALU_DEP_2) | instskip(NEXT) | instid1(VALU_DEP_2)
	v_ashrrev_i32_e32 v5, 31, v4
	v_ashrrev_i32_e32 v7, 31, v6
	s_delay_alu instid0(VALU_DEP_2) | instskip(NEXT) | instid1(VALU_DEP_2)
	v_lshlrev_b64 v[4:5], 4, v[4:5]
	v_lshlrev_b64 v[6:7], 4, v[6:7]
	s_delay_alu instid0(VALU_DEP_2) | instskip(NEXT) | instid1(VALU_DEP_3)
	v_add_co_u32 v23, vcc_lo, s5, v4
	v_add_co_ci_u32_e32 v24, vcc_lo, s6, v5, vcc_lo
	s_delay_alu instid0(VALU_DEP_3) | instskip(NEXT) | instid1(VALU_DEP_4)
	v_add_co_u32 v36, vcc_lo, s5, v6
	v_add_co_ci_u32_e32 v37, vcc_lo, s6, v7, vcc_lo
	s_clause 0x1
	global_load_b128 v[4:7], v[23:24], off
	global_load_b128 v[19:22], v[36:37], off
	s_waitcnt vmcnt(1)
	v_mul_f64 v[38:39], v[2:3], v[6:7]
	v_mul_f64 v[40:41], v[0:1], v[6:7]
	s_waitcnt vmcnt(0)
	v_mul_f64 v[42:43], v[15:16], v[19:20]
	v_mul_f64 v[44:45], v[15:16], v[21:22]
	s_delay_alu instid0(VALU_DEP_4) | instskip(NEXT) | instid1(VALU_DEP_4)
	v_fma_f64 v[38:39], v[0:1], v[4:5], -v[38:39]
	v_fma_f64 v[40:41], v[2:3], v[4:5], v[40:41]
	s_delay_alu instid0(VALU_DEP_4) | instskip(NEXT) | instid1(VALU_DEP_4)
	v_fma_f64 v[42:43], v[13:14], v[21:22], -v[42:43]
	v_fma_f64 v[44:45], v[19:20], -v[13:14], -v[44:45]
	s_delay_alu instid0(VALU_DEP_4) | instskip(NEXT) | instid1(VALU_DEP_4)
	v_fma_f64 v[19:20], v[17:18], v[19:20], v[38:39]
	v_fma_f64 v[21:22], v[17:18], v[21:22], v[40:41]
	s_delay_alu instid0(VALU_DEP_4) | instskip(NEXT) | instid1(VALU_DEP_4)
	v_fma_f64 v[4:5], v[17:18], v[4:5], v[42:43]
	v_fma_f64 v[6:7], v[17:18], v[6:7], v[44:45]
	s_clause 0x1
	global_store_b128 v[36:37], v[19:22], off
	global_store_b128 v[23:24], v[4:7], off
.LBB120_48:                             ;   in Loop: Header=BB120_11 Depth=1
	s_or_b32 exec_lo, exec_lo, s3
	s_waitcnt_vscnt null, 0x0
	s_barrier
	buffer_gl0_inv
	s_and_saveexec_b32 s1, s9
	s_cbranch_execz .LBB120_50
; %bb.49:                               ;   in Loop: Header=BB120_11 Depth=1
	v_mad_u64_u32 v[4:5], null, v11, s11, v[8:9]
	v_mad_u64_u32 v[19:20], null, v8, s11, v[11:12]
	s_mov_b32 s13, s12
	s_mov_b32 s14, s12
	;; [unrolled: 1-line block ×3, first 2 shown]
	s_delay_alu instid0(VALU_DEP_2) | instskip(NEXT) | instid1(VALU_DEP_2)
	v_ashrrev_i32_e32 v5, 31, v4
	v_ashrrev_i32_e32 v20, 31, v19
	s_delay_alu instid0(VALU_DEP_2) | instskip(SKIP_1) | instid1(VALU_DEP_3)
	v_lshlrev_b64 v[21:22], 4, v[4:5]
	v_dual_mov_b32 v4, s12 :: v_dual_mov_b32 v5, s13
	v_lshlrev_b64 v[19:20], 4, v[19:20]
	v_dual_mov_b32 v6, s14 :: v_dual_mov_b32 v7, s15
	s_delay_alu instid0(VALU_DEP_4) | instskip(SKIP_1) | instid1(VALU_DEP_4)
	v_add_co_u32 v21, vcc_lo, s5, v21
	v_add_co_ci_u32_e32 v22, vcc_lo, s6, v22, vcc_lo
	v_add_co_u32 v19, vcc_lo, s5, v19
	v_add_co_ci_u32_e32 v20, vcc_lo, s6, v20, vcc_lo
	s_clause 0x1
	global_store_b128 v[21:22], v[4:7], off
	global_store_b128 v[19:20], v[4:7], off
.LBB120_50:                             ;   in Loop: Header=BB120_11 Depth=1
	s_or_b32 exec_lo, exec_lo, s1
	s_delay_alu instid0(SALU_CYCLE_1)
	s_mov_b32 s1, exec_lo
	v_cmpx_lt_i32_e32 0, v25
	s_cbranch_execz .LBB120_54
; %bb.51:                               ;   in Loop: Header=BB120_11 Depth=1
	v_mov_b32_e32 v4, s21
	s_mov_b32 s3, exec_lo
	v_cmpx_ne_u32_e32 1, v25
; %bb.52:                               ;   in Loop: Header=BB120_11 Depth=1
	v_mov_b32_e32 v4, v34
; %bb.53:                               ;   in Loop: Header=BB120_11 Depth=1
	s_or_b32 exec_lo, exec_lo, s3
	ds_load_b32 v8, v4
.LBB120_54:                             ;   in Loop: Header=BB120_11 Depth=1
	s_or_b32 exec_lo, exec_lo, s1
	ds_load_b32 v11, v35
	s_waitcnt lgkmcnt(0)
	s_waitcnt_vscnt null, 0x0
	s_barrier
	buffer_gl0_inv
	s_and_saveexec_b32 s1, s2
	s_cbranch_execz .LBB120_10
; %bb.55:                               ;   in Loop: Header=BB120_11 Depth=1
	ds_store_b32 v31, v8
	ds_store_b32 v30, v11
	s_branch .LBB120_10
.LBB120_56:
	s_endpgm
	.section	.rodata,"a",@progbits
	.p2align	6, 0x0
	.amdhsa_kernel _ZN9rocsolver6v33100L17syevj_diag_kernelI19rocblas_complex_numIdEdPS3_EEviT1_iilT0_PT_Pi
		.amdhsa_group_segment_fixed_size 0
		.amdhsa_private_segment_fixed_size 0
		.amdhsa_kernarg_size 312
		.amdhsa_user_sgpr_count 14
		.amdhsa_user_sgpr_dispatch_ptr 0
		.amdhsa_user_sgpr_queue_ptr 0
		.amdhsa_user_sgpr_kernarg_segment_ptr 1
		.amdhsa_user_sgpr_dispatch_id 0
		.amdhsa_user_sgpr_private_segment_size 0
		.amdhsa_wavefront_size32 1
		.amdhsa_uses_dynamic_stack 0
		.amdhsa_enable_private_segment 0
		.amdhsa_system_sgpr_workgroup_id_x 1
		.amdhsa_system_sgpr_workgroup_id_y 0
		.amdhsa_system_sgpr_workgroup_id_z 1
		.amdhsa_system_sgpr_workgroup_info 0
		.amdhsa_system_vgpr_workitem_id 1
		.amdhsa_next_free_vgpr 46
		.amdhsa_next_free_sgpr 23
		.amdhsa_reserve_vcc 1
		.amdhsa_float_round_mode_32 0
		.amdhsa_float_round_mode_16_64 0
		.amdhsa_float_denorm_mode_32 3
		.amdhsa_float_denorm_mode_16_64 3
		.amdhsa_dx10_clamp 1
		.amdhsa_ieee_mode 1
		.amdhsa_fp16_overflow 0
		.amdhsa_workgroup_processor_mode 1
		.amdhsa_memory_ordered 1
		.amdhsa_forward_progress 0
		.amdhsa_shared_vgpr_count 0
		.amdhsa_exception_fp_ieee_invalid_op 0
		.amdhsa_exception_fp_denorm_src 0
		.amdhsa_exception_fp_ieee_div_zero 0
		.amdhsa_exception_fp_ieee_overflow 0
		.amdhsa_exception_fp_ieee_underflow 0
		.amdhsa_exception_fp_ieee_inexact 0
		.amdhsa_exception_int_div_zero 0
	.end_amdhsa_kernel
	.section	.text._ZN9rocsolver6v33100L17syevj_diag_kernelI19rocblas_complex_numIdEdPS3_EEviT1_iilT0_PT_Pi,"axG",@progbits,_ZN9rocsolver6v33100L17syevj_diag_kernelI19rocblas_complex_numIdEdPS3_EEviT1_iilT0_PT_Pi,comdat
.Lfunc_end120:
	.size	_ZN9rocsolver6v33100L17syevj_diag_kernelI19rocblas_complex_numIdEdPS3_EEviT1_iilT0_PT_Pi, .Lfunc_end120-_ZN9rocsolver6v33100L17syevj_diag_kernelI19rocblas_complex_numIdEdPS3_EEviT1_iilT0_PT_Pi
                                        ; -- End function
	.section	.AMDGPU.csdata,"",@progbits
; Kernel info:
; codeLenInByte = 5504
; NumSgprs: 25
; NumVgprs: 46
; ScratchSize: 0
; MemoryBound: 0
; FloatMode: 240
; IeeeMode: 1
; LDSByteSize: 0 bytes/workgroup (compile time only)
; SGPRBlocks: 3
; VGPRBlocks: 5
; NumSGPRsForWavesPerEU: 25
; NumVGPRsForWavesPerEU: 46
; Occupancy: 16
; WaveLimiterHint : 0
; COMPUTE_PGM_RSRC2:SCRATCH_EN: 0
; COMPUTE_PGM_RSRC2:USER_SGPR: 14
; COMPUTE_PGM_RSRC2:TRAP_HANDLER: 0
; COMPUTE_PGM_RSRC2:TGID_X_EN: 1
; COMPUTE_PGM_RSRC2:TGID_Y_EN: 0
; COMPUTE_PGM_RSRC2:TGID_Z_EN: 1
; COMPUTE_PGM_RSRC2:TIDIG_COMP_CNT: 1
	.section	.text._ZN9rocsolver6v33100L21syevj_diag_rotate_orgILb0E19rocblas_complex_numIdEdPS3_EEvbiT2_iilPT0_Pi,"axG",@progbits,_ZN9rocsolver6v33100L21syevj_diag_rotate_orgILb0E19rocblas_complex_numIdEdPS3_EEvbiT2_iilPT0_Pi,comdat
	.globl	_ZN9rocsolver6v33100L21syevj_diag_rotate_orgILb0E19rocblas_complex_numIdEdPS3_EEvbiT2_iilPT0_Pi ; -- Begin function _ZN9rocsolver6v33100L21syevj_diag_rotate_orgILb0E19rocblas_complex_numIdEdPS3_EEvbiT2_iilPT0_Pi
	.p2align	8
	.type	_ZN9rocsolver6v33100L21syevj_diag_rotate_orgILb0E19rocblas_complex_numIdEdPS3_EEvbiT2_iilPT0_Pi,@function
_ZN9rocsolver6v33100L21syevj_diag_rotate_orgILb0E19rocblas_complex_numIdEdPS3_EEvbiT2_iilPT0_Pi: ; @_ZN9rocsolver6v33100L21syevj_diag_rotate_orgILb0E19rocblas_complex_numIdEdPS3_EEvbiT2_iilPT0_Pi
; %bb.0:
	s_clause 0x1
	s_load_b64 s[16:17], s[0:1], 0x0
	s_load_b64 s[2:3], s[0:1], 0x28
	s_mov_b32 s8, s15
	s_waitcnt lgkmcnt(0)
	s_bitcmp1_b32 s16, 0
	s_cselect_b32 s6, -1, 0
	s_ashr_i32 s9, s15, 31
	s_delay_alu instid0(SALU_CYCLE_1) | instskip(NEXT) | instid1(SALU_CYCLE_1)
	s_lshl_b64 s[4:5], s[8:9], 2
	s_add_u32 s2, s2, s4
	s_addc_u32 s3, s3, s5
	s_load_b32 s2, s[2:3], 0x4
	s_waitcnt lgkmcnt(0)
	s_cmp_lg_u32 s2, 0
	s_cselect_b32 s2, -1, 0
	s_cmp_eq_u32 s13, s14
	s_cselect_b32 s3, -1, 0
	s_delay_alu instid0(SALU_CYCLE_1) | instskip(NEXT) | instid1(SALU_CYCLE_1)
	s_and_b32 s3, s3, s6
	s_or_b32 s2, s3, s2
	s_delay_alu instid0(SALU_CYCLE_1)
	s_and_b32 vcc_lo, exec_lo, s2
	s_cbranch_vccnz .LBB121_6
; %bb.1:
	s_load_b32 s2, s[0:1], 0x3c
	v_and_b32_e32 v7, 0x3ff, v0
	v_bfe_u32 v6, v0, 10, 10
	s_add_u32 s10, s0, 48
	s_addc_u32 s11, s1, 0
	s_waitcnt lgkmcnt(0)
	s_and_b32 s15, s2, 0xffff
	s_mov_b32 s2, exec_lo
	v_mad_u64_u32 v[4:5], null, s14, s15, v[6:7]
	s_mul_i32 s12, s13, s15
	s_delay_alu instid0(SALU_CYCLE_1) | instskip(NEXT) | instid1(VALU_DEP_1)
	v_add_nc_u32_e32 v9, s12, v7
	v_max_i32_e32 v0, v9, v4
	s_delay_alu instid0(VALU_DEP_1)
	v_cmpx_gt_i32_e64 s17, v0
	s_cbranch_execz .LBB121_6
; %bb.2:
	s_load_b256 s[0:7], s[0:1], 0x8
	v_mov_b32_e32 v2, 0
	s_sub_i32 s12, s17, s12
	v_mov_b32_e32 v3, 0
	s_min_i32 s12, s12, s15
	s_delay_alu instid0(VALU_DEP_1)
	v_dual_mov_b32 v0, v2 :: v_dual_mov_b32 v1, v3
	s_waitcnt lgkmcnt(0)
	s_mul_i32 s5, s8, s5
	s_mul_hi_u32 s16, s8, s4
	s_mul_i32 s9, s9, s4
	s_add_i32 s5, s16, s5
	s_mul_i32 s4, s8, s4
	s_add_i32 s5, s5, s9
	s_ashr_i32 s17, s2, 31
	s_lshl_b64 s[4:5], s[4:5], 4
	s_mov_b32 s16, s2
	s_add_u32 s2, s0, s4
	s_addc_u32 s4, s1, s5
	s_lshl_b64 s[0:1], s[16:17], 4
	s_delay_alu instid0(SALU_CYCLE_1)
	s_add_u32 s0, s2, s0
	s_addc_u32 s1, s4, s1
	s_cmp_lt_i32 s12, 1
	s_cbranch_scc1 .LBB121_5
; %bb.3:
	s_load_b32 s2, s[10:11], 0x0
	v_lshlrev_b32_e32 v0, 4, v7
	v_mov_b32_e32 v2, 0
	v_mov_b32_e32 v3, 0
	s_waitcnt lgkmcnt(0)
	s_mul_i32 s2, s2, s8
	s_delay_alu instid0(SALU_CYCLE_1)
	s_add_i32 s2, s2, s13
	s_mul_i32 s13, s13, s3
	s_mul_i32 s2, s2, s15
	s_add_i32 s14, s14, s13
	s_mul_i32 s4, s2, s15
	v_mad_u64_u32 v[7:8], null, s14, s15, v[6:7]
	s_ashr_i32 s5, s4, 31
	s_delay_alu instid0(SALU_CYCLE_1) | instskip(NEXT) | instid1(SALU_CYCLE_1)
	s_lshl_b64 s[4:5], s[4:5], 4
	s_add_u32 s2, s6, s4
	s_addc_u32 s4, s7, s5
	v_add_co_u32 v0, s2, s2, v0
	s_delay_alu instid0(VALU_DEP_1) | instskip(SKIP_1) | instid1(VALU_DEP_2)
	v_add_co_ci_u32_e64 v1, null, s4, 0, s2
	s_lshl_b32 s2, s15, 4
	v_add_co_u32 v5, vcc_lo, v0, 8
	s_delay_alu instid0(VALU_DEP_2)
	v_add_co_ci_u32_e32 v6, vcc_lo, 0, v1, vcc_lo
	v_dual_mov_b32 v0, v2 :: v_dual_mov_b32 v1, v3
	.p2align	6
.LBB121_4:                              ; =>This Inner Loop Header: Depth=1
	v_ashrrev_i32_e32 v8, 31, v7
	s_add_i32 s12, s12, -1
	s_delay_alu instid0(SALU_CYCLE_1) | instskip(NEXT) | instid1(VALU_DEP_1)
	s_cmp_lg_u32 s12, 0
	v_lshlrev_b64 v[10:11], 4, v[7:8]
	v_add_nc_u32_e32 v7, s3, v7
	s_delay_alu instid0(VALU_DEP_2) | instskip(NEXT) | instid1(VALU_DEP_3)
	v_add_co_u32 v14, vcc_lo, s0, v10
	v_add_co_ci_u32_e32 v15, vcc_lo, s1, v11, vcc_lo
	global_load_b128 v[10:13], v[5:6], off offset:-8
	global_load_b128 v[14:17], v[14:15], off
	v_add_co_u32 v5, vcc_lo, v5, s2
	v_add_co_ci_u32_e32 v6, vcc_lo, 0, v6, vcc_lo
	s_waitcnt vmcnt(0)
	v_mul_f64 v[18:19], v[16:17], v[12:13]
	v_mul_f64 v[12:13], v[14:15], v[12:13]
	s_delay_alu instid0(VALU_DEP_2) | instskip(NEXT) | instid1(VALU_DEP_2)
	v_fma_f64 v[14:15], v[14:15], v[10:11], -v[18:19]
	v_fma_f64 v[10:11], v[16:17], v[10:11], v[12:13]
	s_delay_alu instid0(VALU_DEP_2) | instskip(NEXT) | instid1(VALU_DEP_2)
	v_add_f64 v[0:1], v[0:1], v[14:15]
	v_add_f64 v[2:3], v[2:3], v[10:11]
	s_cbranch_scc1 .LBB121_4
.LBB121_5:
	v_mad_u64_u32 v[5:6], null, v9, s3, v[4:5]
	s_barrier
	buffer_gl0_inv
	v_ashrrev_i32_e32 v6, 31, v5
	s_delay_alu instid0(VALU_DEP_1) | instskip(NEXT) | instid1(VALU_DEP_1)
	v_lshlrev_b64 v[4:5], 4, v[5:6]
	v_add_co_u32 v4, vcc_lo, s0, v4
	s_delay_alu instid0(VALU_DEP_2)
	v_add_co_ci_u32_e32 v5, vcc_lo, s1, v5, vcc_lo
	global_store_b128 v[4:5], v[0:3], off
.LBB121_6:
	s_nop 0
	s_sendmsg sendmsg(MSG_DEALLOC_VGPRS)
	s_endpgm
	.section	.rodata,"a",@progbits
	.p2align	6, 0x0
	.amdhsa_kernel _ZN9rocsolver6v33100L21syevj_diag_rotate_orgILb0E19rocblas_complex_numIdEdPS3_EEvbiT2_iilPT0_Pi
		.amdhsa_group_segment_fixed_size 0
		.amdhsa_private_segment_fixed_size 0
		.amdhsa_kernarg_size 304
		.amdhsa_user_sgpr_count 13
		.amdhsa_user_sgpr_dispatch_ptr 0
		.amdhsa_user_sgpr_queue_ptr 0
		.amdhsa_user_sgpr_kernarg_segment_ptr 1
		.amdhsa_user_sgpr_dispatch_id 0
		.amdhsa_user_sgpr_private_segment_size 0
		.amdhsa_wavefront_size32 1
		.amdhsa_uses_dynamic_stack 0
		.amdhsa_enable_private_segment 0
		.amdhsa_system_sgpr_workgroup_id_x 1
		.amdhsa_system_sgpr_workgroup_id_y 1
		.amdhsa_system_sgpr_workgroup_id_z 1
		.amdhsa_system_sgpr_workgroup_info 0
		.amdhsa_system_vgpr_workitem_id 1
		.amdhsa_next_free_vgpr 20
		.amdhsa_next_free_sgpr 18
		.amdhsa_reserve_vcc 1
		.amdhsa_float_round_mode_32 0
		.amdhsa_float_round_mode_16_64 0
		.amdhsa_float_denorm_mode_32 3
		.amdhsa_float_denorm_mode_16_64 3
		.amdhsa_dx10_clamp 1
		.amdhsa_ieee_mode 1
		.amdhsa_fp16_overflow 0
		.amdhsa_workgroup_processor_mode 1
		.amdhsa_memory_ordered 1
		.amdhsa_forward_progress 0
		.amdhsa_shared_vgpr_count 0
		.amdhsa_exception_fp_ieee_invalid_op 0
		.amdhsa_exception_fp_denorm_src 0
		.amdhsa_exception_fp_ieee_div_zero 0
		.amdhsa_exception_fp_ieee_overflow 0
		.amdhsa_exception_fp_ieee_underflow 0
		.amdhsa_exception_fp_ieee_inexact 0
		.amdhsa_exception_int_div_zero 0
	.end_amdhsa_kernel
	.section	.text._ZN9rocsolver6v33100L21syevj_diag_rotate_orgILb0E19rocblas_complex_numIdEdPS3_EEvbiT2_iilPT0_Pi,"axG",@progbits,_ZN9rocsolver6v33100L21syevj_diag_rotate_orgILb0E19rocblas_complex_numIdEdPS3_EEvbiT2_iilPT0_Pi,comdat
.Lfunc_end121:
	.size	_ZN9rocsolver6v33100L21syevj_diag_rotate_orgILb0E19rocblas_complex_numIdEdPS3_EEvbiT2_iilPT0_Pi, .Lfunc_end121-_ZN9rocsolver6v33100L21syevj_diag_rotate_orgILb0E19rocblas_complex_numIdEdPS3_EEvbiT2_iilPT0_Pi
                                        ; -- End function
	.section	.AMDGPU.csdata,"",@progbits
; Kernel info:
; codeLenInByte = 640
; NumSgprs: 20
; NumVgprs: 20
; ScratchSize: 0
; MemoryBound: 0
; FloatMode: 240
; IeeeMode: 1
; LDSByteSize: 0 bytes/workgroup (compile time only)
; SGPRBlocks: 2
; VGPRBlocks: 2
; NumSGPRsForWavesPerEU: 20
; NumVGPRsForWavesPerEU: 20
; Occupancy: 16
; WaveLimiterHint : 0
; COMPUTE_PGM_RSRC2:SCRATCH_EN: 0
; COMPUTE_PGM_RSRC2:USER_SGPR: 13
; COMPUTE_PGM_RSRC2:TRAP_HANDLER: 0
; COMPUTE_PGM_RSRC2:TGID_X_EN: 1
; COMPUTE_PGM_RSRC2:TGID_Y_EN: 1
; COMPUTE_PGM_RSRC2:TGID_Z_EN: 1
; COMPUTE_PGM_RSRC2:TIDIG_COMP_CNT: 1
	.section	.text._ZN9rocsolver6v33100L21syevj_diag_rotate_orgILb1E19rocblas_complex_numIdEdPS3_EEvbiT2_iilPT0_Pi,"axG",@progbits,_ZN9rocsolver6v33100L21syevj_diag_rotate_orgILb1E19rocblas_complex_numIdEdPS3_EEvbiT2_iilPT0_Pi,comdat
	.globl	_ZN9rocsolver6v33100L21syevj_diag_rotate_orgILb1E19rocblas_complex_numIdEdPS3_EEvbiT2_iilPT0_Pi ; -- Begin function _ZN9rocsolver6v33100L21syevj_diag_rotate_orgILb1E19rocblas_complex_numIdEdPS3_EEvbiT2_iilPT0_Pi
	.p2align	8
	.type	_ZN9rocsolver6v33100L21syevj_diag_rotate_orgILb1E19rocblas_complex_numIdEdPS3_EEvbiT2_iilPT0_Pi,@function
_ZN9rocsolver6v33100L21syevj_diag_rotate_orgILb1E19rocblas_complex_numIdEdPS3_EEvbiT2_iilPT0_Pi: ; @_ZN9rocsolver6v33100L21syevj_diag_rotate_orgILb1E19rocblas_complex_numIdEdPS3_EEvbiT2_iilPT0_Pi
; %bb.0:
	s_clause 0x1
	s_load_b64 s[16:17], s[0:1], 0x0
	s_load_b64 s[2:3], s[0:1], 0x28
	s_mov_b32 s8, s15
	s_waitcnt lgkmcnt(0)
	s_bitcmp1_b32 s16, 0
	s_cselect_b32 s6, -1, 0
	s_ashr_i32 s9, s15, 31
	s_delay_alu instid0(SALU_CYCLE_1) | instskip(NEXT) | instid1(SALU_CYCLE_1)
	s_lshl_b64 s[4:5], s[8:9], 2
	s_add_u32 s2, s2, s4
	s_addc_u32 s3, s3, s5
	s_load_b32 s2, s[2:3], 0x4
	s_waitcnt lgkmcnt(0)
	s_cmp_lg_u32 s2, 0
	s_cselect_b32 s2, -1, 0
	s_cmp_eq_u32 s13, s14
	s_cselect_b32 s3, -1, 0
	s_delay_alu instid0(SALU_CYCLE_1) | instskip(NEXT) | instid1(SALU_CYCLE_1)
	s_and_b32 s3, s3, s6
	s_or_b32 s2, s3, s2
	s_delay_alu instid0(SALU_CYCLE_1)
	s_and_b32 vcc_lo, exec_lo, s2
	s_cbranch_vccnz .LBB122_6
; %bb.1:
	s_load_b32 s2, s[0:1], 0x3c
	v_bfe_u32 v2, v0, 10, 10
	s_add_u32 s10, s0, 48
	v_and_b32_e32 v4, 0x3ff, v0
	s_addc_u32 s11, s1, 0
	s_waitcnt lgkmcnt(0)
	s_and_b32 s15, s2, 0xffff
	s_mov_b32 s2, exec_lo
	v_mad_u64_u32 v[0:1], null, s14, s15, v[2:3]
	s_mul_i32 s14, s13, s15
	s_delay_alu instid0(SALU_CYCLE_1) | instskip(NEXT) | instid1(VALU_DEP_1)
	v_add_nc_u32_e32 v8, s14, v4
	v_max_i32_e32 v1, v8, v0
	s_delay_alu instid0(VALU_DEP_1)
	v_cmpx_gt_i32_e64 s17, v1
	s_cbranch_execz .LBB122_6
; %bb.2:
	s_load_b256 s[0:7], s[0:1], 0x8
	v_mov_b32_e32 v2, 0
	s_sub_i32 s12, s17, s14
	v_mov_b32_e32 v3, 0
	s_min_i32 s12, s12, s15
	s_waitcnt lgkmcnt(0)
	s_mul_i32 s5, s8, s5
	s_mul_hi_u32 s16, s8, s4
	s_mul_i32 s9, s9, s4
	s_add_i32 s5, s16, s5
	s_mul_i32 s4, s8, s4
	s_add_i32 s5, s5, s9
	s_ashr_i32 s17, s2, 31
	s_lshl_b64 s[4:5], s[4:5], 4
	s_mov_b32 s16, s2
	v_mul_lo_u32 v9, v0, s3
	s_add_u32 s2, s0, s4
	s_addc_u32 s3, s1, s5
	s_lshl_b64 s[0:1], s[16:17], 4
	v_dual_mov_b32 v0, v2 :: v_dual_mov_b32 v1, v3
	s_add_u32 s0, s2, s0
	s_addc_u32 s1, s3, s1
	s_cmp_lt_i32 s12, 1
	s_cbranch_scc1 .LBB122_5
; %bb.3:
	s_load_b32 s2, s[10:11], 0x0
	v_lshlrev_b32_e32 v0, 4, v4
	v_mov_b32_e32 v2, 0
	v_dual_mov_b32 v3, 0 :: v_dual_add_nc_u32 v4, s14, v9
	s_waitcnt lgkmcnt(0)
	s_mul_i32 s2, s2, s8
	s_delay_alu instid0(SALU_CYCLE_1) | instskip(NEXT) | instid1(SALU_CYCLE_1)
	s_add_i32 s2, s2, s13
	s_mul_i32 s2, s2, s15
	s_delay_alu instid0(SALU_CYCLE_1) | instskip(NEXT) | instid1(SALU_CYCLE_1)
	s_mul_i32 s2, s2, s15
	s_ashr_i32 s3, s2, 31
	s_delay_alu instid0(SALU_CYCLE_1) | instskip(NEXT) | instid1(SALU_CYCLE_1)
	s_lshl_b64 s[2:3], s[2:3], 4
	s_add_u32 s2, s6, s2
	s_addc_u32 s3, s7, s3
	v_add_co_u32 v0, s2, s2, v0
	s_delay_alu instid0(VALU_DEP_1) | instskip(SKIP_1) | instid1(VALU_DEP_2)
	v_add_co_ci_u32_e64 v1, null, s3, 0, s2
	s_lshl_b32 s2, s15, 4
	v_add_co_u32 v6, vcc_lo, v0, 8
	s_delay_alu instid0(VALU_DEP_2)
	v_add_co_ci_u32_e32 v7, vcc_lo, 0, v1, vcc_lo
	v_dual_mov_b32 v0, v2 :: v_dual_mov_b32 v1, v3
	.p2align	6
.LBB122_4:                              ; =>This Inner Loop Header: Depth=1
	v_ashrrev_i32_e32 v5, 31, v4
	s_add_i32 s12, s12, -1
	s_delay_alu instid0(SALU_CYCLE_1) | instskip(NEXT) | instid1(VALU_DEP_1)
	s_cmp_lg_u32 s12, 0
	v_lshlrev_b64 v[10:11], 4, v[4:5]
	v_add_nc_u32_e32 v4, 1, v4
	s_delay_alu instid0(VALU_DEP_2) | instskip(NEXT) | instid1(VALU_DEP_3)
	v_add_co_u32 v14, vcc_lo, s0, v10
	v_add_co_ci_u32_e32 v15, vcc_lo, s1, v11, vcc_lo
	global_load_b128 v[10:13], v[6:7], off offset:-8
	global_load_b128 v[14:17], v[14:15], off
	v_add_co_u32 v6, vcc_lo, v6, s2
	v_add_co_ci_u32_e32 v7, vcc_lo, 0, v7, vcc_lo
	s_waitcnt vmcnt(0)
	v_mul_f64 v[18:19], v[12:13], v[16:17]
	v_mul_f64 v[12:13], v[12:13], v[14:15]
	s_delay_alu instid0(VALU_DEP_2) | instskip(NEXT) | instid1(VALU_DEP_2)
	v_fma_f64 v[14:15], v[10:11], v[14:15], v[18:19]
	v_fma_f64 v[10:11], v[10:11], v[16:17], -v[12:13]
	s_delay_alu instid0(VALU_DEP_2) | instskip(NEXT) | instid1(VALU_DEP_2)
	v_add_f64 v[0:1], v[0:1], v[14:15]
	v_add_f64 v[2:3], v[2:3], v[10:11]
	s_cbranch_scc1 .LBB122_4
.LBB122_5:
	v_add_nc_u32_e32 v4, v9, v8
	s_barrier
	buffer_gl0_inv
	v_ashrrev_i32_e32 v5, 31, v4
	s_delay_alu instid0(VALU_DEP_1) | instskip(NEXT) | instid1(VALU_DEP_1)
	v_lshlrev_b64 v[4:5], 4, v[4:5]
	v_add_co_u32 v4, vcc_lo, s0, v4
	s_delay_alu instid0(VALU_DEP_2)
	v_add_co_ci_u32_e32 v5, vcc_lo, s1, v5, vcc_lo
	global_store_b128 v[4:5], v[0:3], off
.LBB122_6:
	s_nop 0
	s_sendmsg sendmsg(MSG_DEALLOC_VGPRS)
	s_endpgm
	.section	.rodata,"a",@progbits
	.p2align	6, 0x0
	.amdhsa_kernel _ZN9rocsolver6v33100L21syevj_diag_rotate_orgILb1E19rocblas_complex_numIdEdPS3_EEvbiT2_iilPT0_Pi
		.amdhsa_group_segment_fixed_size 0
		.amdhsa_private_segment_fixed_size 0
		.amdhsa_kernarg_size 304
		.amdhsa_user_sgpr_count 13
		.amdhsa_user_sgpr_dispatch_ptr 0
		.amdhsa_user_sgpr_queue_ptr 0
		.amdhsa_user_sgpr_kernarg_segment_ptr 1
		.amdhsa_user_sgpr_dispatch_id 0
		.amdhsa_user_sgpr_private_segment_size 0
		.amdhsa_wavefront_size32 1
		.amdhsa_uses_dynamic_stack 0
		.amdhsa_enable_private_segment 0
		.amdhsa_system_sgpr_workgroup_id_x 1
		.amdhsa_system_sgpr_workgroup_id_y 1
		.amdhsa_system_sgpr_workgroup_id_z 1
		.amdhsa_system_sgpr_workgroup_info 0
		.amdhsa_system_vgpr_workitem_id 1
		.amdhsa_next_free_vgpr 20
		.amdhsa_next_free_sgpr 18
		.amdhsa_reserve_vcc 1
		.amdhsa_float_round_mode_32 0
		.amdhsa_float_round_mode_16_64 0
		.amdhsa_float_denorm_mode_32 3
		.amdhsa_float_denorm_mode_16_64 3
		.amdhsa_dx10_clamp 1
		.amdhsa_ieee_mode 1
		.amdhsa_fp16_overflow 0
		.amdhsa_workgroup_processor_mode 1
		.amdhsa_memory_ordered 1
		.amdhsa_forward_progress 0
		.amdhsa_shared_vgpr_count 0
		.amdhsa_exception_fp_ieee_invalid_op 0
		.amdhsa_exception_fp_denorm_src 0
		.amdhsa_exception_fp_ieee_div_zero 0
		.amdhsa_exception_fp_ieee_overflow 0
		.amdhsa_exception_fp_ieee_underflow 0
		.amdhsa_exception_fp_ieee_inexact 0
		.amdhsa_exception_int_div_zero 0
	.end_amdhsa_kernel
	.section	.text._ZN9rocsolver6v33100L21syevj_diag_rotate_orgILb1E19rocblas_complex_numIdEdPS3_EEvbiT2_iilPT0_Pi,"axG",@progbits,_ZN9rocsolver6v33100L21syevj_diag_rotate_orgILb1E19rocblas_complex_numIdEdPS3_EEvbiT2_iilPT0_Pi,comdat
.Lfunc_end122:
	.size	_ZN9rocsolver6v33100L21syevj_diag_rotate_orgILb1E19rocblas_complex_numIdEdPS3_EEvbiT2_iilPT0_Pi, .Lfunc_end122-_ZN9rocsolver6v33100L21syevj_diag_rotate_orgILb1E19rocblas_complex_numIdEdPS3_EEvbiT2_iilPT0_Pi
                                        ; -- End function
	.section	.AMDGPU.csdata,"",@progbits
; Kernel info:
; codeLenInByte = 628
; NumSgprs: 20
; NumVgprs: 20
; ScratchSize: 0
; MemoryBound: 0
; FloatMode: 240
; IeeeMode: 1
; LDSByteSize: 0 bytes/workgroup (compile time only)
; SGPRBlocks: 2
; VGPRBlocks: 2
; NumSGPRsForWavesPerEU: 20
; NumVGPRsForWavesPerEU: 20
; Occupancy: 16
; WaveLimiterHint : 0
; COMPUTE_PGM_RSRC2:SCRATCH_EN: 0
; COMPUTE_PGM_RSRC2:USER_SGPR: 13
; COMPUTE_PGM_RSRC2:TRAP_HANDLER: 0
; COMPUTE_PGM_RSRC2:TGID_X_EN: 1
; COMPUTE_PGM_RSRC2:TGID_Y_EN: 1
; COMPUTE_PGM_RSRC2:TGID_Z_EN: 1
; COMPUTE_PGM_RSRC2:TIDIG_COMP_CNT: 1
	.section	.text._ZN9rocsolver6v33100L17syevj_diag_rotateILb0E19rocblas_complex_numIdEdPS3_EEvbiiT2_iilPT0_Pii,"axG",@progbits,_ZN9rocsolver6v33100L17syevj_diag_rotateILb0E19rocblas_complex_numIdEdPS3_EEvbiiT2_iilPT0_Pii,comdat
	.globl	_ZN9rocsolver6v33100L17syevj_diag_rotateILb0E19rocblas_complex_numIdEdPS3_EEvbiiT2_iilPT0_Pii ; -- Begin function _ZN9rocsolver6v33100L17syevj_diag_rotateILb0E19rocblas_complex_numIdEdPS3_EEvbiiT2_iilPT0_Pii
	.p2align	8
	.type	_ZN9rocsolver6v33100L17syevj_diag_rotateILb0E19rocblas_complex_numIdEdPS3_EEvbiiT2_iilPT0_Pii,@function
_ZN9rocsolver6v33100L17syevj_diag_rotateILb0E19rocblas_complex_numIdEdPS3_EEvbiiT2_iilPT0_Pii: ; @_ZN9rocsolver6v33100L17syevj_diag_rotateILb0E19rocblas_complex_numIdEdPS3_EEvbiiT2_iilPT0_Pii
; %bb.0:
	s_load_b128 s[36:39], s[0:1], 0x0
	v_mov_b32_e32 v41, v0
	s_mov_b32 s26, s15
	s_mov_b64 s[22:23], s[0:1]
	s_mov_b32 s21, s14
	s_mov_b32 s24, s13
	s_mov_b32 s0, -1
	s_mov_b32 s32, 0
	s_waitcnt lgkmcnt(0)
	s_abs_i32 s27, s37
	s_mul_i32 s25, s37, s37
	v_cvt_f32_u32_e32 v0, s27
	s_cmpk_lt_u32 s25, 0x1001
	s_delay_alu instid0(VALU_DEP_1) | instskip(SKIP_2) | instid1(VALU_DEP_1)
	v_rcp_iflag_f32_e32 v0, v0
	s_waitcnt_depctr 0xfff
	v_mul_f32_e32 v0, 0x4f7ffffe, v0
	v_cvt_u32_f32_e32 v0, v0
	s_delay_alu instid0(VALU_DEP_1)
	v_readfirstlane_b32 s28, v0
	s_cbranch_scc1 .LBB123_2
; %bb.1:
	s_add_u32 s8, s22, 64
	s_addc_u32 s9, s23, 0
	s_getpc_b64 s[0:1]
	s_add_u32 s0, s0, __PRETTY_FUNCTION__._ZN9rocsolver6v33100L17syevj_diag_rotateILb0E19rocblas_complex_numIdEdPS3_EEvbiiT2_iilPT0_Pii@rel32@lo+4
	s_addc_u32 s1, s1, __PRETTY_FUNCTION__._ZN9rocsolver6v33100L17syevj_diag_rotateILb0E19rocblas_complex_numIdEdPS3_EEvbiiT2_iilPT0_Pii@rel32@hi+12
	s_delay_alu instid0(SALU_CYCLE_1) | instskip(SKIP_3) | instid1(SALU_CYCLE_1)
	v_dual_mov_b32 v0, s0 :: v_dual_mov_b32 v1, s1
	s_getpc_b64 s[2:3]
	s_add_u32 s2, s2, __assert_fail@rel32@lo+4
	s_addc_u32 s3, s3, __assert_fail@rel32@hi+12
	s_swappc_b64 s[30:31], s[2:3]
	; divergent unreachable
	s_mov_b32 s0, 0
.LBB123_2:
	s_delay_alu instid0(SALU_CYCLE_1)
	s_and_not1_b32 vcc_lo, exec_lo, s0
	s_cbranch_vccnz .LBB123_35
; %bb.3:
	s_load_b32 s18, s[22:23], 0x38
	s_waitcnt lgkmcnt(0)
	s_cmp_ge_u32 s26, s18
	s_cbranch_scc1 .LBB123_35
; %bb.4:
	s_load_b128 s[12:15], s[22:23], 0x40
	s_sub_i32 s0, 0, s27
	s_add_i32 s1, s38, -1
	s_mul_i32 s0, s0, s28
	s_abs_i32 s17, s1
	s_mul_hi_u32 s0, s28, s0
	s_ashr_i32 s16, s37, 31
	s_add_i32 s28, s28, s0
	s_ashr_i32 s1, s1, 31
	s_cmpk_lt_u32 s25, 0x801
	s_mul_hi_u32 s0, s17, s28
	s_clause 0x1
	s_load_b256 s[4:11], s[22:23], 0x10
	s_load_b64 s[2:3], s[22:23], 0x30
	s_cselect_b32 s19, -1, 0
	s_bitcmp1_b32 s36, 0
	s_mul_i32 s22, s0, s27
	s_cselect_b32 s20, -1, 0
	s_xor_b32 s1, s1, s16
	s_sub_i32 s16, s17, s22
	s_add_i32 s17, s0, 1
	s_sub_i32 s23, s16, s27
	s_waitcnt lgkmcnt(0)
	s_lshr_b32 s22, s15, 16
	s_and_b32 s15, s15, 0xffff
	s_cmp_ge_u32 s16, s27
	v_and_b32_e32 v4, 0x3ff, v41
	s_cselect_b32 s0, s17, s0
	s_cselect_b32 s16, s23, s16
	s_add_i32 s17, s0, 1
	s_cmp_ge_u32 s16, s27
	v_bfe_u32 v7, v41, 10, 10
	s_cselect_b32 s0, s17, s0
	s_lshl_b32 s16, s25, 4
	s_xor_b32 s0, s0, s1
	s_add_i32 s29, s16, 0
	s_sub_i32 s23, s0, s1
	s_mov_b64 s[0:1], src_shared_base
	s_add_i32 s28, s23, 1
	s_ashr_i32 s41, s6, 31
	v_mad_u64_u32 v[0:1], null, v7, s37, v[4:5]
	s_cmp_lt_u32 s24, s28
	s_mul_i32 s0, s23, s37
	s_mov_b32 s40, s6
	v_mad_u32_u24 v8, v7, s15, v4
	s_cselect_b32 s6, -1, 0
	s_sub_i32 s31, s38, s0
	s_cmp_lt_u32 s21, s28
	v_lshl_add_u32 v10, v0, 4, 0
	s_cselect_b32 s34, -1, 0
	s_ashr_i32 s35, s7, 31
	s_add_u32 s36, s2, 4
	v_cmp_gt_u32_e64 s0, s25, v8
	s_addc_u32 s38, s3, 0
	s_lshl_b64 s[2:3], s[40:41], 4
	v_lshl_add_u32 v9, v8, 4, s29
	v_lshl_add_u32 v11, v4, 4, 0
	v_mov_b32_e32 v6, 0
	s_mov_b32 s30, s1
	s_mul_i32 s33, s22, s15
	s_mul_i32 s1, s37, s22
	s_add_u32 s4, s4, s2
	s_mov_b32 s17, 0
	s_addc_u32 s5, s5, s3
	s_lshl_b32 s39, s33, 4
	s_mul_i32 s40, s21, s37
	s_mul_i32 s41, s13, s37
	s_lshl_b32 s42, s1, 4
	s_lshl_b32 s43, s15, 4
	;; [unrolled: 1-line block ×3, first 2 shown]
	s_branch .LBB123_6
.LBB123_5:                              ;   in Loop: Header=BB123_6 Depth=1
	s_add_i32 s26, s26, s14
	s_delay_alu instid0(SALU_CYCLE_1)
	s_cmp_lt_u32 s26, s18
	s_cbranch_scc0 .LBB123_35
.LBB123_6:                              ; =>This Loop Header: Depth=1
                                        ;     Child Loop BB123_10 Depth 2
                                        ;       Child Loop BB123_13 Depth 3
                                        ;       Child Loop BB123_19 Depth 3
                                        ;         Child Loop BB123_23 Depth 4
                                        ;           Child Loop BB123_25 Depth 5
                                        ;         Child Loop BB123_29 Depth 4
                                        ;           Child Loop BB123_32 Depth 5
                                        ;             Child Loop BB123_34 Depth 6
	s_mov_b32 s27, s17
	s_delay_alu instid0(SALU_CYCLE_1) | instskip(NEXT) | instid1(SALU_CYCLE_1)
	s_lshl_b64 s[2:3], s[26:27], 2
	s_add_u32 s2, s36, s2
	s_addc_u32 s3, s38, s3
	global_load_b32 v0, v6, s[2:3]
	s_waitcnt vmcnt(0)
	v_cmp_ne_u32_e32 vcc_lo, 0, v0
	s_cbranch_vccnz .LBB123_5
; %bb.7:                                ;   in Loop: Header=BB123_6 Depth=1
	s_and_not1_b32 vcc_lo, exec_lo, s6
	s_cbranch_vccnz .LBB123_5
; %bb.8:                                ;   in Loop: Header=BB123_6 Depth=1
	s_mul_i32 s1, s26, s9
	s_mul_hi_u32 s3, s26, s8
	s_mul_i32 s2, s26, s8
	s_add_i32 s3, s3, s1
	s_mul_i32 s27, s26, s28
	s_lshl_b64 s[2:3], s[2:3], 4
	s_mov_b32 s47, s24
	s_add_u32 s45, s4, s2
	s_addc_u32 s46, s5, s3
	s_branch .LBB123_10
.LBB123_9:                              ;   in Loop: Header=BB123_10 Depth=2
	s_add_i32 s47, s47, s12
	s_delay_alu instid0(SALU_CYCLE_1)
	s_cmp_ge_u32 s47, s28
	s_cbranch_scc1 .LBB123_5
.LBB123_10:                             ;   Parent Loop BB123_6 Depth=1
                                        ; =>  This Loop Header: Depth=2
                                        ;       Child Loop BB123_13 Depth 3
                                        ;       Child Loop BB123_19 Depth 3
                                        ;         Child Loop BB123_23 Depth 4
                                        ;           Child Loop BB123_25 Depth 5
                                        ;         Child Loop BB123_29 Depth 4
                                        ;           Child Loop BB123_32 Depth 5
                                        ;             Child Loop BB123_34 Depth 6
	s_add_i32 s1, s47, s27
	s_delay_alu instid0(SALU_CYCLE_1) | instskip(NEXT) | instid1(SALU_CYCLE_1)
	s_mul_i32 s16, s1, s25
	s_lshl_b64 s[2:3], s[16:17], 4
	s_delay_alu instid0(SALU_CYCLE_1)
	s_add_u32 s1, s10, s2
	s_addc_u32 s2, s11, s3
	s_and_not1_b32 vcc_lo, exec_lo, s19
	s_cbranch_vccnz .LBB123_15
; %bb.11:                               ;   in Loop: Header=BB123_10 Depth=2
	s_waitcnt_vscnt null, 0x0
	s_barrier
	buffer_gl0_inv
	s_and_saveexec_b32 s3, s0
	s_cbranch_execz .LBB123_14
; %bb.12:                               ;   in Loop: Header=BB123_10 Depth=2
	v_dual_mov_b32 v0, v9 :: v_dual_mov_b32 v5, v8
	s_mov_b32 s16, 0
.LBB123_13:                             ;   Parent Loop BB123_6 Depth=1
                                        ;     Parent Loop BB123_10 Depth=2
                                        ; =>    This Inner Loop Header: Depth=3
	s_delay_alu instid0(VALU_DEP_1) | instskip(SKIP_1) | instid1(VALU_DEP_2)
	v_lshlrev_b64 v[1:2], 4, v[5:6]
	v_add_nc_u32_e32 v5, s33, v5
	v_add_co_u32 v1, vcc_lo, s1, v1
	s_delay_alu instid0(VALU_DEP_3) | instskip(NEXT) | instid1(VALU_DEP_3)
	v_add_co_ci_u32_e32 v2, vcc_lo, s2, v2, vcc_lo
	v_cmp_le_u32_e32 vcc_lo, s25, v5
	global_load_b128 v[12:15], v[1:2], off
	s_or_b32 s16, vcc_lo, s16
	s_waitcnt vmcnt(0)
	ds_store_2addr_b64 v0, v[12:13], v[14:15] offset1:1
	v_add_nc_u32_e32 v0, s39, v0
	s_and_not1_b32 exec_lo, exec_lo, s16
	s_cbranch_execnz .LBB123_13
.LBB123_14:                             ;   in Loop: Header=BB123_10 Depth=2
	s_or_b32 exec_lo, exec_lo, s3
	s_waitcnt lgkmcnt(0)
	s_barrier
	buffer_gl0_inv
.LBB123_15:                             ;   in Loop: Header=BB123_10 Depth=2
	s_and_not1_b32 vcc_lo, exec_lo, s34
	s_cbranch_vccnz .LBB123_9
; %bb.16:                               ;   in Loop: Header=BB123_10 Depth=2
	s_and_b32 s3, s19, exec_lo
	s_cselect_b32 s16, s30, s2
	s_cselect_b32 s48, s29, s1
	s_cmp_eq_u32 s23, s47
	s_mul_i32 s51, s47, s37
	s_cselect_b32 s49, s31, s37
	s_mov_b32 s52, s40
	v_cmp_gt_u32_e64 s1, s49, v7
	s_cmp_gt_i32 s49, 0
	s_mov_b32 s53, s21
	s_cselect_b32 s50, -1, 0
	s_branch .LBB123_19
.LBB123_17:                             ;   in Loop: Header=BB123_19 Depth=3
	s_or_b32 exec_lo, exec_lo, s55
	s_waitcnt_vscnt null, 0x0
	s_barrier
	buffer_gl0_inv
.LBB123_18:                             ;   in Loop: Header=BB123_19 Depth=3
	s_add_i32 s53, s53, s13
	s_add_i32 s52, s52, s41
	s_cmp_ge_u32 s53, s28
	s_cbranch_scc1 .LBB123_9
.LBB123_19:                             ;   Parent Loop BB123_6 Depth=1
                                        ;     Parent Loop BB123_10 Depth=2
                                        ; =>    This Loop Header: Depth=3
                                        ;         Child Loop BB123_23 Depth 4
                                        ;           Child Loop BB123_25 Depth 5
                                        ;         Child Loop BB123_29 Depth 4
                                        ;           Child Loop BB123_32 Depth 5
                                        ;             Child Loop BB123_34 Depth 6
	s_cmp_eq_u32 s47, s53
	s_cselect_b32 s2, -1, 0
	s_delay_alu instid0(SALU_CYCLE_1) | instskip(NEXT) | instid1(SALU_CYCLE_1)
	s_and_b32 s2, s2, s20
	s_and_b32 vcc_lo, exec_lo, s2
	s_cbranch_vccnz .LBB123_18
; %bb.20:                               ;   in Loop: Header=BB123_19 Depth=3
	s_cmp_eq_u32 s23, s53
	s_waitcnt_vscnt null, 0x0
	s_cselect_b32 s54, s31, s37
	s_barrier
	buffer_gl0_inv
	s_and_saveexec_b32 s3, s1
	s_cbranch_execz .LBB123_26
; %bb.21:                               ;   in Loop: Header=BB123_19 Depth=3
	v_cmp_gt_u32_e32 vcc_lo, s54, v4
	v_dual_mov_b32 v0, v10 :: v_dual_mov_b32 v1, v7
	s_mov_b32 s55, 0
	s_set_inst_prefetch_distance 0x1
	s_branch .LBB123_23
	.p2align	6
.LBB123_22:                             ;   in Loop: Header=BB123_23 Depth=4
	s_or_b32 exec_lo, exec_lo, s56
	v_add_nc_u32_e32 v1, s22, v1
	v_add_nc_u32_e32 v0, s42, v0
	s_delay_alu instid0(VALU_DEP_2) | instskip(NEXT) | instid1(VALU_DEP_1)
	v_cmp_le_u32_e64 s2, s49, v1
	s_or_b32 s55, s2, s55
	s_delay_alu instid0(SALU_CYCLE_1)
	s_and_not1_b32 exec_lo, exec_lo, s55
	s_cbranch_execz .LBB123_26
.LBB123_23:                             ;   Parent Loop BB123_6 Depth=1
                                        ;     Parent Loop BB123_10 Depth=2
                                        ;       Parent Loop BB123_19 Depth=3
                                        ; =>      This Loop Header: Depth=4
                                        ;           Child Loop BB123_25 Depth 5
	s_and_saveexec_b32 s56, vcc_lo
	s_cbranch_execz .LBB123_22
; %bb.24:                               ;   in Loop: Header=BB123_23 Depth=4
	v_add_nc_u32_e32 v5, s51, v1
	s_mov_b32 s57, 0
	s_delay_alu instid0(VALU_DEP_1) | instskip(NEXT) | instid1(VALU_DEP_1)
	v_mad_u64_u32 v[2:3], null, v5, s7, 0
	v_mad_u64_u32 v[12:13], null, v5, s35, v[3:4]
	s_delay_alu instid0(VALU_DEP_1) | instskip(NEXT) | instid1(VALU_DEP_1)
	v_mov_b32_e32 v3, v12
	v_lshlrev_b64 v[12:13], 4, v[2:3]
	v_mov_b32_e32 v2, v0
	s_delay_alu instid0(VALU_DEP_2) | instskip(NEXT) | instid1(VALU_DEP_1)
	v_add_co_u32 v3, s2, s45, v12
	v_add_co_ci_u32_e64 v12, s2, s46, v13, s2
	v_mov_b32_e32 v13, v4
	.p2align	6
.LBB123_25:                             ;   Parent Loop BB123_6 Depth=1
                                        ;     Parent Loop BB123_10 Depth=2
                                        ;       Parent Loop BB123_19 Depth=3
                                        ;         Parent Loop BB123_23 Depth=4
                                        ; =>        This Inner Loop Header: Depth=5
	s_delay_alu instid0(VALU_DEP_1) | instskip(SKIP_1) | instid1(VALU_DEP_2)
	v_add_nc_u32_e32 v5, s52, v13
	v_add_nc_u32_e32 v13, s15, v13
	v_lshlrev_b64 v[14:15], 4, v[5:6]
	s_delay_alu instid0(VALU_DEP_1) | instskip(NEXT) | instid1(VALU_DEP_1)
	v_add_co_u32 v14, s2, v3, v14
	v_add_co_ci_u32_e64 v15, s2, v12, v15, s2
	s_delay_alu instid0(VALU_DEP_4)
	v_cmp_le_u32_e64 s2, s54, v13
	global_load_b128 v[14:17], v[14:15], off
	s_or_b32 s57, s2, s57
	s_waitcnt vmcnt(0)
	ds_store_2addr_b64 v2, v[14:15], v[16:17] offset1:1
	v_add_nc_u32_e32 v2, s43, v2
	s_and_not1_b32 exec_lo, exec_lo, s57
	s_cbranch_execnz .LBB123_25
	s_branch .LBB123_22
.LBB123_26:                             ;   in Loop: Header=BB123_19 Depth=3
	s_set_inst_prefetch_distance 0x2
	s_or_b32 exec_lo, exec_lo, s3
	s_waitcnt lgkmcnt(0)
	s_barrier
	buffer_gl0_inv
	s_and_saveexec_b32 s55, s1
	s_cbranch_execz .LBB123_17
; %bb.27:                               ;   in Loop: Header=BB123_19 Depth=3
	v_cmp_gt_u32_e64 s2, s54, v4
	v_mov_b32_e32 v12, v7
	s_mul_i32 s56, s53, s37
	s_mov_b32 s57, 0
	s_branch .LBB123_29
.LBB123_28:                             ;   in Loop: Header=BB123_29 Depth=4
	s_or_b32 exec_lo, exec_lo, s58
	v_add_nc_u32_e32 v12, s22, v12
	s_delay_alu instid0(VALU_DEP_1) | instskip(SKIP_1) | instid1(SALU_CYCLE_1)
	v_cmp_le_u32_e32 vcc_lo, s49, v12
	s_or_b32 s57, vcc_lo, s57
	s_and_not1_b32 exec_lo, exec_lo, s57
	s_cbranch_execz .LBB123_17
.LBB123_29:                             ;   Parent Loop BB123_6 Depth=1
                                        ;     Parent Loop BB123_10 Depth=2
                                        ;       Parent Loop BB123_19 Depth=3
                                        ; =>      This Loop Header: Depth=4
                                        ;           Child Loop BB123_32 Depth 5
                                        ;             Child Loop BB123_34 Depth 6
	s_and_saveexec_b32 s58, s2
	s_cbranch_execz .LBB123_28
; %bb.30:                               ;   in Loop: Header=BB123_29 Depth=4
	v_dual_mov_b32 v16, v4 :: v_dual_add_nc_u32 v5, s51, v12
	v_mov_b32_e32 v13, v11
	s_mov_b32 s59, 0
	s_delay_alu instid0(VALU_DEP_2) | instskip(NEXT) | instid1(VALU_DEP_1)
	v_mad_u64_u32 v[0:1], null, v5, s7, 0
	v_mad_u64_u32 v[2:3], null, v5, s35, v[1:2]
	s_delay_alu instid0(VALU_DEP_1) | instskip(NEXT) | instid1(VALU_DEP_1)
	v_mov_b32_e32 v1, v2
	v_lshlrev_b64 v[0:1], 4, v[0:1]
	s_delay_alu instid0(VALU_DEP_1) | instskip(NEXT) | instid1(VALU_DEP_2)
	v_add_co_u32 v14, vcc_lo, s45, v0
	v_add_co_ci_u32_e32 v15, vcc_lo, s46, v1, vcc_lo
	s_branch .LBB123_32
.LBB123_31:                             ;   in Loop: Header=BB123_32 Depth=5
	v_add_nc_u32_e32 v5, s56, v16
	v_add_nc_u32_e32 v16, s15, v16
	;; [unrolled: 1-line block ×3, first 2 shown]
	s_delay_alu instid0(VALU_DEP_3) | instskip(NEXT) | instid1(VALU_DEP_3)
	v_lshlrev_b64 v[17:18], 4, v[5:6]
	v_cmp_le_u32_e32 vcc_lo, s54, v16
	s_or_b32 s59, vcc_lo, s59
	s_delay_alu instid0(VALU_DEP_2) | instskip(NEXT) | instid1(VALU_DEP_1)
	v_add_co_u32 v17, s3, v14, v17
	v_add_co_ci_u32_e64 v18, s3, v15, v18, s3
	global_store_b128 v[17:18], v[0:3], off
	s_and_not1_b32 exec_lo, exec_lo, s59
	s_cbranch_execz .LBB123_28
.LBB123_32:                             ;   Parent Loop BB123_6 Depth=1
                                        ;     Parent Loop BB123_10 Depth=2
                                        ;       Parent Loop BB123_19 Depth=3
                                        ;         Parent Loop BB123_29 Depth=4
                                        ; =>        This Loop Header: Depth=5
                                        ;             Child Loop BB123_34 Depth 6
	v_mov_b32_e32 v2, 0
	v_mov_b32_e32 v3, 0
	s_delay_alu instid0(VALU_DEP_2) | instskip(SKIP_1) | instid1(VALU_DEP_2)
	v_mov_b32_e32 v0, v2
	s_and_not1_b32 vcc_lo, exec_lo, s50
	v_mov_b32_e32 v1, v3
	s_cbranch_vccnz .LBB123_31
; %bb.33:                               ;   in Loop: Header=BB123_32 Depth=5
	v_dual_mov_b32 v2, 0 :: v_dual_mov_b32 v17, v13
	v_mov_b32_e32 v3, 0
	s_delay_alu instid0(VALU_DEP_2) | instskip(SKIP_1) | instid1(VALU_DEP_2)
	v_dual_mov_b32 v5, v12 :: v_dual_mov_b32 v0, v2
	s_mov_b32 s3, s49
	v_mov_b32_e32 v1, v3
	.p2align	6
.LBB123_34:                             ;   Parent Loop BB123_6 Depth=1
                                        ;     Parent Loop BB123_10 Depth=2
                                        ;       Parent Loop BB123_19 Depth=3
                                        ;         Parent Loop BB123_29 Depth=4
                                        ;           Parent Loop BB123_32 Depth=5
                                        ; =>          This Inner Loop Header: Depth=6
	s_delay_alu instid0(VALU_DEP_2) | instskip(SKIP_4) | instid1(SALU_CYCLE_1)
	v_lshlrev_b64 v[18:19], 4, v[5:6]
	ds_load_2addr_b64 v[22:25], v17 offset1:1
	v_add_nc_u32_e32 v5, s37, v5
	v_add_nc_u32_e32 v17, s44, v17
	s_add_i32 s3, s3, -1
	s_cmp_eq_u32 s3, 0
	v_add_co_u32 v18, vcc_lo, s48, v18
	v_add_co_ci_u32_e32 v19, vcc_lo, s16, v19, vcc_lo
	flat_load_b128 v[18:21], v[18:19]
	s_waitcnt vmcnt(0) lgkmcnt(0)
	v_mul_f64 v[26:27], v[24:25], v[20:21]
	v_mul_f64 v[20:21], v[22:23], v[20:21]
	s_delay_alu instid0(VALU_DEP_2) | instskip(NEXT) | instid1(VALU_DEP_2)
	v_fma_f64 v[22:23], v[22:23], v[18:19], -v[26:27]
	v_fma_f64 v[18:19], v[24:25], v[18:19], v[20:21]
	s_delay_alu instid0(VALU_DEP_2) | instskip(NEXT) | instid1(VALU_DEP_2)
	v_add_f64 v[0:1], v[0:1], v[22:23]
	v_add_f64 v[2:3], v[2:3], v[18:19]
	s_cbranch_scc0 .LBB123_34
	s_branch .LBB123_31
.LBB123_35:
	s_endpgm
	.section	.rodata,"a",@progbits
	.p2align	6, 0x0
	.amdhsa_kernel _ZN9rocsolver6v33100L17syevj_diag_rotateILb0E19rocblas_complex_numIdEdPS3_EEvbiiT2_iilPT0_Pii
		.amdhsa_group_segment_fixed_size 0
		.amdhsa_private_segment_fixed_size 64
		.amdhsa_kernarg_size 320
		.amdhsa_user_sgpr_count 13
		.amdhsa_user_sgpr_dispatch_ptr 0
		.amdhsa_user_sgpr_queue_ptr 0
		.amdhsa_user_sgpr_kernarg_segment_ptr 1
		.amdhsa_user_sgpr_dispatch_id 0
		.amdhsa_user_sgpr_private_segment_size 0
		.amdhsa_wavefront_size32 1
		.amdhsa_uses_dynamic_stack 0
		.amdhsa_enable_private_segment 1
		.amdhsa_system_sgpr_workgroup_id_x 1
		.amdhsa_system_sgpr_workgroup_id_y 1
		.amdhsa_system_sgpr_workgroup_id_z 1
		.amdhsa_system_sgpr_workgroup_info 0
		.amdhsa_system_vgpr_workitem_id 1
		.amdhsa_next_free_vgpr 42
		.amdhsa_next_free_sgpr 60
		.amdhsa_reserve_vcc 1
		.amdhsa_float_round_mode_32 0
		.amdhsa_float_round_mode_16_64 0
		.amdhsa_float_denorm_mode_32 3
		.amdhsa_float_denorm_mode_16_64 3
		.amdhsa_dx10_clamp 1
		.amdhsa_ieee_mode 1
		.amdhsa_fp16_overflow 0
		.amdhsa_workgroup_processor_mode 1
		.amdhsa_memory_ordered 1
		.amdhsa_forward_progress 0
		.amdhsa_shared_vgpr_count 0
		.amdhsa_exception_fp_ieee_invalid_op 0
		.amdhsa_exception_fp_denorm_src 0
		.amdhsa_exception_fp_ieee_div_zero 0
		.amdhsa_exception_fp_ieee_overflow 0
		.amdhsa_exception_fp_ieee_underflow 0
		.amdhsa_exception_fp_ieee_inexact 0
		.amdhsa_exception_int_div_zero 0
	.end_amdhsa_kernel
	.section	.text._ZN9rocsolver6v33100L17syevj_diag_rotateILb0E19rocblas_complex_numIdEdPS3_EEvbiiT2_iilPT0_Pii,"axG",@progbits,_ZN9rocsolver6v33100L17syevj_diag_rotateILb0E19rocblas_complex_numIdEdPS3_EEvbiiT2_iilPT0_Pii,comdat
.Lfunc_end123:
	.size	_ZN9rocsolver6v33100L17syevj_diag_rotateILb0E19rocblas_complex_numIdEdPS3_EEvbiiT2_iilPT0_Pii, .Lfunc_end123-_ZN9rocsolver6v33100L17syevj_diag_rotateILb0E19rocblas_complex_numIdEdPS3_EEvbiiT2_iilPT0_Pii
                                        ; -- End function
	.section	.AMDGPU.csdata,"",@progbits
; Kernel info:
; codeLenInByte = 1616
; NumSgprs: 62
; NumVgprs: 42
; ScratchSize: 64
; MemoryBound: 0
; FloatMode: 240
; IeeeMode: 1
; LDSByteSize: 0 bytes/workgroup (compile time only)
; SGPRBlocks: 7
; VGPRBlocks: 5
; NumSGPRsForWavesPerEU: 62
; NumVGPRsForWavesPerEU: 42
; Occupancy: 16
; WaveLimiterHint : 1
; COMPUTE_PGM_RSRC2:SCRATCH_EN: 1
; COMPUTE_PGM_RSRC2:USER_SGPR: 13
; COMPUTE_PGM_RSRC2:TRAP_HANDLER: 0
; COMPUTE_PGM_RSRC2:TGID_X_EN: 1
; COMPUTE_PGM_RSRC2:TGID_Y_EN: 1
; COMPUTE_PGM_RSRC2:TGID_Z_EN: 1
; COMPUTE_PGM_RSRC2:TIDIG_COMP_CNT: 1
	.section	.text._ZN9rocsolver6v33100L17syevj_diag_rotateILb1E19rocblas_complex_numIdEdPS3_EEvbiiT2_iilPT0_Pii,"axG",@progbits,_ZN9rocsolver6v33100L17syevj_diag_rotateILb1E19rocblas_complex_numIdEdPS3_EEvbiiT2_iilPT0_Pii,comdat
	.globl	_ZN9rocsolver6v33100L17syevj_diag_rotateILb1E19rocblas_complex_numIdEdPS3_EEvbiiT2_iilPT0_Pii ; -- Begin function _ZN9rocsolver6v33100L17syevj_diag_rotateILb1E19rocblas_complex_numIdEdPS3_EEvbiiT2_iilPT0_Pii
	.p2align	8
	.type	_ZN9rocsolver6v33100L17syevj_diag_rotateILb1E19rocblas_complex_numIdEdPS3_EEvbiiT2_iilPT0_Pii,@function
_ZN9rocsolver6v33100L17syevj_diag_rotateILb1E19rocblas_complex_numIdEdPS3_EEvbiiT2_iilPT0_Pii: ; @_ZN9rocsolver6v33100L17syevj_diag_rotateILb1E19rocblas_complex_numIdEdPS3_EEvbiiT2_iilPT0_Pii
; %bb.0:
	s_load_b128 s[36:39], s[0:1], 0x0
	v_mov_b32_e32 v41, v0
	s_mov_b32 s26, s15
	s_mov_b64 s[22:23], s[0:1]
	s_mov_b32 s21, s14
	s_mov_b32 s24, s13
	s_mov_b32 s0, -1
	s_mov_b32 s32, 0
	s_waitcnt lgkmcnt(0)
	s_abs_i32 s27, s37
	s_mul_i32 s25, s37, s37
	v_cvt_f32_u32_e32 v0, s27
	s_cmpk_lt_u32 s25, 0x1001
	s_delay_alu instid0(VALU_DEP_1) | instskip(SKIP_2) | instid1(VALU_DEP_1)
	v_rcp_iflag_f32_e32 v0, v0
	s_waitcnt_depctr 0xfff
	v_mul_f32_e32 v0, 0x4f7ffffe, v0
	v_cvt_u32_f32_e32 v0, v0
	s_delay_alu instid0(VALU_DEP_1)
	v_readfirstlane_b32 s28, v0
	s_cbranch_scc1 .LBB124_2
; %bb.1:
	s_add_u32 s8, s22, 64
	s_addc_u32 s9, s23, 0
	s_getpc_b64 s[0:1]
	s_add_u32 s0, s0, __PRETTY_FUNCTION__._ZN9rocsolver6v33100L17syevj_diag_rotateILb1E19rocblas_complex_numIdEdPS3_EEvbiiT2_iilPT0_Pii@rel32@lo+4
	s_addc_u32 s1, s1, __PRETTY_FUNCTION__._ZN9rocsolver6v33100L17syevj_diag_rotateILb1E19rocblas_complex_numIdEdPS3_EEvbiiT2_iilPT0_Pii@rel32@hi+12
	s_delay_alu instid0(SALU_CYCLE_1) | instskip(SKIP_3) | instid1(SALU_CYCLE_1)
	v_dual_mov_b32 v0, s0 :: v_dual_mov_b32 v1, s1
	s_getpc_b64 s[2:3]
	s_add_u32 s2, s2, __assert_fail@rel32@lo+4
	s_addc_u32 s3, s3, __assert_fail@rel32@hi+12
	s_swappc_b64 s[30:31], s[2:3]
	; divergent unreachable
	s_mov_b32 s0, 0
.LBB124_2:
	s_delay_alu instid0(SALU_CYCLE_1)
	s_and_not1_b32 vcc_lo, exec_lo, s0
	s_cbranch_vccnz .LBB124_35
; %bb.3:
	s_load_b32 s16, s[22:23], 0x38
	s_waitcnt lgkmcnt(0)
	s_cmp_ge_u32 s26, s16
	s_cbranch_scc1 .LBB124_35
; %bb.4:
	s_load_b128 s[12:15], s[22:23], 0x40
	s_sub_i32 s0, 0, s27
	s_add_i32 s1, s38, -1
	s_mul_i32 s0, s0, s28
	s_abs_i32 s3, s1
	s_mul_hi_u32 s0, s28, s0
	s_ashr_i32 s2, s37, 31
	s_add_i32 s28, s28, s0
	s_ashr_i32 s1, s1, 31
	s_cmpk_lt_u32 s25, 0x801
	s_mul_hi_u32 s0, s3, s28
	s_clause 0x1
	s_load_b256 s[4:11], s[22:23], 0x10
	s_load_b64 s[34:35], s[22:23], 0x30
	s_cselect_b32 s17, -1, 0
	s_bitcmp1_b32 s36, 0
	s_mul_i32 s19, s0, s27
	s_cselect_b32 s18, -1, 0
	s_xor_b32 s1, s1, s2
	s_sub_i32 s2, s3, s19
	s_add_i32 s3, s0, 1
	s_sub_i32 s20, s2, s27
	s_waitcnt lgkmcnt(0)
	s_lshr_b32 s19, s15, 16
	s_and_b32 s15, s15, 0xffff
	s_cmp_ge_u32 s2, s27
	v_bfe_u32 v7, v41, 10, 10
	s_cselect_b32 s0, s3, s0
	s_cselect_b32 s2, s20, s2
	s_add_i32 s3, s0, 1
	s_cmp_ge_u32 s2, s27
	v_mul_lo_u32 v0, v7, s37
	s_cselect_b32 s0, s3, s0
	v_dual_mov_b32 v5, 0 :: v_dual_and_b32 v6, 0x3ff, v41
	s_xor_b32 s0, s0, s1
	s_lshl_b32 s2, s25, 4
	s_sub_i32 s20, s0, s1
	s_mov_b64 s[0:1], src_shared_base
	s_add_i32 s22, s20, 1
	s_add_i32 s23, s2, 0
	s_ashr_i32 s41, s6, 31
	s_cmp_lt_u32 s24, s22
	s_mul_i32 s0, s20, s37
	s_mov_b32 s40, s6
	v_mad_u32_u24 v8, v7, s15, v6
	s_cselect_b32 s6, -1, 0
	s_sub_i32 s29, s38, s0
	v_add_nc_u32_e32 v1, v6, v0
	s_cmp_lt_u32 s21, s22
	v_cmp_gt_u32_e64 s0, s25, v8
	s_cselect_b32 s31, -1, 0
	s_ashr_i32 s33, s7, 31
	s_add_u32 s34, s34, 4
	s_addc_u32 s35, s35, 0
	s_lshl_b64 s[38:39], s[40:41], 4
	v_lshl_add_u32 v9, v8, 4, s23
	v_lshl_add_u32 v10, v1, 4, 0
	v_lshl_add_u32 v11, v0, 4, 0
	s_mov_b32 s28, s1
	s_mul_i32 s30, s19, s15
	s_mul_i32 s1, s37, s19
	s_add_u32 s4, s4, s38
	s_mov_b32 s3, 0
	s_addc_u32 s5, s5, s39
	s_lshl_b32 s36, s30, 4
	s_mul_i32 s38, s24, s37
	s_mul_i32 s39, s12, s37
	s_lshl_b32 s40, s1, 4
	s_lshl_b32 s41, s15, 4
	s_branch .LBB124_6
.LBB124_5:                              ;   in Loop: Header=BB124_6 Depth=1
	s_add_i32 s26, s26, s14
	s_delay_alu instid0(SALU_CYCLE_1)
	s_cmp_lt_u32 s26, s16
	s_cbranch_scc0 .LBB124_35
.LBB124_6:                              ; =>This Loop Header: Depth=1
                                        ;     Child Loop BB124_10 Depth 2
                                        ;       Child Loop BB124_13 Depth 3
                                        ;       Child Loop BB124_19 Depth 3
                                        ;         Child Loop BB124_23 Depth 4
                                        ;           Child Loop BB124_25 Depth 5
                                        ;         Child Loop BB124_29 Depth 4
                                        ;           Child Loop BB124_32 Depth 5
                                        ;             Child Loop BB124_34 Depth 6
	s_mov_b32 s27, s3
	s_delay_alu instid0(SALU_CYCLE_1) | instskip(NEXT) | instid1(SALU_CYCLE_1)
	s_lshl_b64 s[42:43], s[26:27], 2
	s_add_u32 s42, s34, s42
	s_addc_u32 s43, s35, s43
	global_load_b32 v0, v5, s[42:43]
	s_waitcnt vmcnt(0)
	v_cmp_ne_u32_e32 vcc_lo, 0, v0
	s_cbranch_vccnz .LBB124_5
; %bb.7:                                ;   in Loop: Header=BB124_6 Depth=1
	s_and_not1_b32 vcc_lo, exec_lo, s6
	s_cbranch_vccnz .LBB124_5
; %bb.8:                                ;   in Loop: Header=BB124_6 Depth=1
	s_mul_i32 s1, s26, s9
	s_mul_hi_u32 s2, s26, s8
	s_mul_i32 s42, s26, s8
	s_add_i32 s43, s2, s1
	s_mul_i32 s27, s26, s22
	s_lshl_b64 s[42:43], s[42:43], 4
	s_mov_b32 s44, s38
	s_add_u32 s42, s4, s42
	s_addc_u32 s43, s5, s43
	s_mov_b32 s45, s24
	s_branch .LBB124_10
.LBB124_9:                              ;   in Loop: Header=BB124_10 Depth=2
	s_add_i32 s45, s45, s12
	s_add_i32 s44, s44, s39
	s_cmp_ge_u32 s45, s22
	s_cbranch_scc1 .LBB124_5
.LBB124_10:                             ;   Parent Loop BB124_6 Depth=1
                                        ; =>  This Loop Header: Depth=2
                                        ;       Child Loop BB124_13 Depth 3
                                        ;       Child Loop BB124_19 Depth 3
                                        ;         Child Loop BB124_23 Depth 4
                                        ;           Child Loop BB124_25 Depth 5
                                        ;         Child Loop BB124_29 Depth 4
                                        ;           Child Loop BB124_32 Depth 5
                                        ;             Child Loop BB124_34 Depth 6
	s_add_i32 s1, s45, s27
	s_delay_alu instid0(SALU_CYCLE_1) | instskip(NEXT) | instid1(SALU_CYCLE_1)
	s_mul_i32 s2, s1, s25
	s_lshl_b64 s[46:47], s[2:3], 4
	s_delay_alu instid0(SALU_CYCLE_1)
	s_add_u32 s1, s10, s46
	s_addc_u32 s2, s11, s47
	s_and_not1_b32 vcc_lo, exec_lo, s17
	s_cbranch_vccnz .LBB124_15
; %bb.11:                               ;   in Loop: Header=BB124_10 Depth=2
	s_waitcnt_vscnt null, 0x0
	s_barrier
	buffer_gl0_inv
	s_and_saveexec_b32 s46, s0
	s_cbranch_execz .LBB124_14
; %bb.12:                               ;   in Loop: Header=BB124_10 Depth=2
	v_mov_b32_e32 v0, v9
	v_mov_b32_e32 v4, v8
	s_mov_b32 s47, 0
.LBB124_13:                             ;   Parent Loop BB124_6 Depth=1
                                        ;     Parent Loop BB124_10 Depth=2
                                        ; =>    This Inner Loop Header: Depth=3
	s_delay_alu instid0(VALU_DEP_1) | instskip(SKIP_1) | instid1(VALU_DEP_2)
	v_lshlrev_b64 v[1:2], 4, v[4:5]
	v_add_nc_u32_e32 v4, s30, v4
	v_add_co_u32 v1, vcc_lo, s1, v1
	s_delay_alu instid0(VALU_DEP_3) | instskip(NEXT) | instid1(VALU_DEP_3)
	v_add_co_ci_u32_e32 v2, vcc_lo, s2, v2, vcc_lo
	v_cmp_le_u32_e32 vcc_lo, s25, v4
	global_load_b128 v[12:15], v[1:2], off
	s_or_b32 s47, vcc_lo, s47
	s_waitcnt vmcnt(0)
	ds_store_2addr_b64 v0, v[12:13], v[14:15] offset1:1
	v_add_nc_u32_e32 v0, s36, v0
	s_and_not1_b32 exec_lo, exec_lo, s47
	s_cbranch_execnz .LBB124_13
.LBB124_14:                             ;   in Loop: Header=BB124_10 Depth=2
	s_or_b32 exec_lo, exec_lo, s46
	s_waitcnt lgkmcnt(0)
	s_barrier
	buffer_gl0_inv
.LBB124_15:                             ;   in Loop: Header=BB124_10 Depth=2
	s_and_not1_b32 vcc_lo, exec_lo, s31
	s_cbranch_vccnz .LBB124_9
; %bb.16:                               ;   in Loop: Header=BB124_10 Depth=2
	s_and_b32 s46, s17, exec_lo
	s_cselect_b32 s46, s28, s2
	s_cselect_b32 s47, s23, s1
	s_cmp_eq_u32 s20, s45
	s_mul_i32 s50, s45, s37
	s_cselect_b32 s48, s29, s37
	s_mov_b32 s51, s21
	v_cmp_gt_u32_e64 s1, s48, v6
	s_cmp_gt_i32 s48, 0
	s_cselect_b32 s49, -1, 0
	s_branch .LBB124_19
.LBB124_17:                             ;   in Loop: Header=BB124_19 Depth=3
	s_or_b32 exec_lo, exec_lo, s54
	s_waitcnt_vscnt null, 0x0
	s_barrier
	buffer_gl0_inv
.LBB124_18:                             ;   in Loop: Header=BB124_19 Depth=3
	s_add_i32 s51, s51, s13
	s_delay_alu instid0(SALU_CYCLE_1)
	s_cmp_ge_u32 s51, s22
	s_cbranch_scc1 .LBB124_9
.LBB124_19:                             ;   Parent Loop BB124_6 Depth=1
                                        ;     Parent Loop BB124_10 Depth=2
                                        ; =>    This Loop Header: Depth=3
                                        ;         Child Loop BB124_23 Depth 4
                                        ;           Child Loop BB124_25 Depth 5
                                        ;         Child Loop BB124_29 Depth 4
                                        ;           Child Loop BB124_32 Depth 5
                                        ;             Child Loop BB124_34 Depth 6
	s_cmp_eq_u32 s45, s51
	s_cselect_b32 s2, -1, 0
	s_delay_alu instid0(SALU_CYCLE_1) | instskip(NEXT) | instid1(SALU_CYCLE_1)
	s_and_b32 s2, s2, s18
	s_and_b32 vcc_lo, exec_lo, s2
	s_cbranch_vccnz .LBB124_18
; %bb.20:                               ;   in Loop: Header=BB124_19 Depth=3
	s_cmp_eq_u32 s20, s51
	s_mul_i32 s53, s51, s37
	s_cselect_b32 s52, s29, s37
	s_waitcnt_vscnt null, 0x0
	v_cmp_gt_u32_e32 vcc_lo, s52, v7
	s_barrier
	buffer_gl0_inv
	s_and_saveexec_b32 s54, vcc_lo
	s_cbranch_execz .LBB124_26
; %bb.21:                               ;   in Loop: Header=BB124_19 Depth=3
	v_dual_mov_b32 v0, v10 :: v_dual_mov_b32 v1, v7
	s_mov_b32 s55, 0
	s_set_inst_prefetch_distance 0x1
	s_branch .LBB124_23
	.p2align	6
.LBB124_22:                             ;   in Loop: Header=BB124_23 Depth=4
	s_or_b32 exec_lo, exec_lo, s56
	v_add_nc_u32_e32 v1, s19, v1
	v_add_nc_u32_e32 v0, s40, v0
	s_delay_alu instid0(VALU_DEP_2) | instskip(NEXT) | instid1(VALU_DEP_1)
	v_cmp_le_u32_e64 s2, s52, v1
	s_or_b32 s55, s2, s55
	s_delay_alu instid0(SALU_CYCLE_1)
	s_and_not1_b32 exec_lo, exec_lo, s55
	s_cbranch_execz .LBB124_26
.LBB124_23:                             ;   Parent Loop BB124_6 Depth=1
                                        ;     Parent Loop BB124_10 Depth=2
                                        ;       Parent Loop BB124_19 Depth=3
                                        ; =>      This Loop Header: Depth=4
                                        ;           Child Loop BB124_25 Depth 5
	s_and_saveexec_b32 s56, s1
	s_cbranch_execz .LBB124_22
; %bb.24:                               ;   in Loop: Header=BB124_23 Depth=4
	v_add_nc_u32_e32 v4, s53, v1
	s_mov_b32 s57, 0
	s_delay_alu instid0(VALU_DEP_1) | instskip(NEXT) | instid1(VALU_DEP_1)
	v_mad_u64_u32 v[2:3], null, v4, s7, 0
	v_mad_u64_u32 v[12:13], null, v4, s33, v[3:4]
	v_mov_b32_e32 v13, v6
	s_delay_alu instid0(VALU_DEP_2) | instskip(NEXT) | instid1(VALU_DEP_1)
	v_mov_b32_e32 v3, v12
	v_lshlrev_b64 v[3:4], 4, v[2:3]
	v_mov_b32_e32 v2, v0
	s_delay_alu instid0(VALU_DEP_2) | instskip(NEXT) | instid1(VALU_DEP_1)
	v_add_co_u32 v3, s2, s42, v3
	v_add_co_ci_u32_e64 v12, s2, s43, v4, s2
	.p2align	6
.LBB124_25:                             ;   Parent Loop BB124_6 Depth=1
                                        ;     Parent Loop BB124_10 Depth=2
                                        ;       Parent Loop BB124_19 Depth=3
                                        ;         Parent Loop BB124_23 Depth=4
                                        ; =>        This Inner Loop Header: Depth=5
	v_add_nc_u32_e32 v4, s44, v13
	v_add_nc_u32_e32 v13, s15, v13
	s_delay_alu instid0(VALU_DEP_2) | instskip(NEXT) | instid1(VALU_DEP_1)
	v_lshlrev_b64 v[14:15], 4, v[4:5]
	v_add_co_u32 v14, s2, v3, v14
	s_delay_alu instid0(VALU_DEP_1) | instskip(NEXT) | instid1(VALU_DEP_4)
	v_add_co_ci_u32_e64 v15, s2, v12, v15, s2
	v_cmp_le_u32_e64 s2, s48, v13
	global_load_b128 v[14:17], v[14:15], off
	s_or_b32 s57, s2, s57
	s_waitcnt vmcnt(0)
	ds_store_2addr_b64 v2, v[14:15], v[16:17] offset1:1
	v_add_nc_u32_e32 v2, s41, v2
	s_and_not1_b32 exec_lo, exec_lo, s57
	s_cbranch_execnz .LBB124_25
	s_branch .LBB124_22
.LBB124_26:                             ;   in Loop: Header=BB124_19 Depth=3
	s_set_inst_prefetch_distance 0x2
	s_or_b32 exec_lo, exec_lo, s54
	s_waitcnt lgkmcnt(0)
	s_barrier
	buffer_gl0_inv
	s_and_saveexec_b32 s54, vcc_lo
	s_cbranch_execz .LBB124_17
; %bb.27:                               ;   in Loop: Header=BB124_19 Depth=3
	v_mov_b32_e32 v12, v11
	v_mov_b32_e32 v13, v7
	s_mov_b32 s55, 0
	s_branch .LBB124_29
.LBB124_28:                             ;   in Loop: Header=BB124_29 Depth=4
	s_or_b32 exec_lo, exec_lo, s56
	v_add_nc_u32_e32 v13, s19, v13
	v_add_nc_u32_e32 v12, s40, v12
	s_delay_alu instid0(VALU_DEP_2) | instskip(SKIP_1) | instid1(SALU_CYCLE_1)
	v_cmp_le_u32_e32 vcc_lo, s52, v13
	s_or_b32 s55, vcc_lo, s55
	s_and_not1_b32 exec_lo, exec_lo, s55
	s_cbranch_execz .LBB124_17
.LBB124_29:                             ;   Parent Loop BB124_6 Depth=1
                                        ;     Parent Loop BB124_10 Depth=2
                                        ;       Parent Loop BB124_19 Depth=3
                                        ; =>      This Loop Header: Depth=4
                                        ;           Child Loop BB124_32 Depth 5
                                        ;             Child Loop BB124_34 Depth 6
	s_and_saveexec_b32 s56, s1
	s_cbranch_execz .LBB124_28
; %bb.30:                               ;   in Loop: Header=BB124_29 Depth=4
	v_add_nc_u32_e32 v4, s53, v13
	v_mov_b32_e32 v16, v6
	s_mov_b32 s57, 0
	s_delay_alu instid0(VALU_DEP_2) | instskip(NEXT) | instid1(VALU_DEP_1)
	v_mad_u64_u32 v[0:1], null, v4, s7, 0
	v_mad_u64_u32 v[2:3], null, v4, s33, v[1:2]
	s_delay_alu instid0(VALU_DEP_1) | instskip(NEXT) | instid1(VALU_DEP_1)
	v_mov_b32_e32 v1, v2
	v_lshlrev_b64 v[0:1], 4, v[0:1]
	s_delay_alu instid0(VALU_DEP_1) | instskip(NEXT) | instid1(VALU_DEP_2)
	v_add_co_u32 v14, vcc_lo, s42, v0
	v_add_co_ci_u32_e32 v15, vcc_lo, s43, v1, vcc_lo
	s_branch .LBB124_32
.LBB124_31:                             ;   in Loop: Header=BB124_32 Depth=5
	v_add_nc_u32_e32 v4, s50, v16
	v_add_nc_u32_e32 v16, s15, v16
	s_delay_alu instid0(VALU_DEP_2) | instskip(NEXT) | instid1(VALU_DEP_2)
	v_lshlrev_b64 v[17:18], 4, v[4:5]
	v_cmp_le_u32_e32 vcc_lo, s48, v16
	s_or_b32 s57, vcc_lo, s57
	s_delay_alu instid0(VALU_DEP_2) | instskip(NEXT) | instid1(VALU_DEP_1)
	v_add_co_u32 v17, s2, v14, v17
	v_add_co_ci_u32_e64 v18, s2, v15, v18, s2
	global_store_b128 v[17:18], v[0:3], off
	s_and_not1_b32 exec_lo, exec_lo, s57
	s_cbranch_execz .LBB124_28
.LBB124_32:                             ;   Parent Loop BB124_6 Depth=1
                                        ;     Parent Loop BB124_10 Depth=2
                                        ;       Parent Loop BB124_19 Depth=3
                                        ;         Parent Loop BB124_29 Depth=4
                                        ; =>        This Loop Header: Depth=5
                                        ;             Child Loop BB124_34 Depth 6
	v_mov_b32_e32 v2, 0
	v_mov_b32_e32 v3, 0
	s_delay_alu instid0(VALU_DEP_2) | instskip(SKIP_1) | instid1(VALU_DEP_2)
	v_mov_b32_e32 v0, v2
	s_and_not1_b32 vcc_lo, exec_lo, s49
	v_mov_b32_e32 v1, v3
	s_cbranch_vccnz .LBB124_31
; %bb.33:                               ;   in Loop: Header=BB124_32 Depth=5
	v_dual_mov_b32 v2, 0 :: v_dual_mov_b32 v17, v12
	v_dual_mov_b32 v3, 0 :: v_dual_mov_b32 v4, v16
	s_delay_alu instid0(VALU_DEP_2) | instskip(SKIP_1) | instid1(VALU_DEP_2)
	v_mov_b32_e32 v0, v2
	s_mov_b32 s2, s48
	v_mov_b32_e32 v1, v3
	.p2align	6
.LBB124_34:                             ;   Parent Loop BB124_6 Depth=1
                                        ;     Parent Loop BB124_10 Depth=2
                                        ;       Parent Loop BB124_19 Depth=3
                                        ;         Parent Loop BB124_29 Depth=4
                                        ;           Parent Loop BB124_32 Depth=5
                                        ; =>          This Inner Loop Header: Depth=6
	s_delay_alu instid0(VALU_DEP_3) | instskip(SKIP_4) | instid1(SALU_CYCLE_1)
	v_lshlrev_b64 v[18:19], 4, v[4:5]
	ds_load_2addr_b64 v[22:25], v17 offset1:1
	v_add_nc_u32_e32 v4, s37, v4
	v_add_nc_u32_e32 v17, 16, v17
	s_add_i32 s2, s2, -1
	s_cmp_eq_u32 s2, 0
	v_add_co_u32 v18, vcc_lo, s47, v18
	v_add_co_ci_u32_e32 v19, vcc_lo, s46, v19, vcc_lo
	flat_load_b128 v[18:21], v[18:19]
	s_waitcnt vmcnt(0) lgkmcnt(0)
	v_mul_f64 v[26:27], v[20:21], v[24:25]
	v_mul_f64 v[20:21], v[20:21], v[22:23]
	s_delay_alu instid0(VALU_DEP_2) | instskip(NEXT) | instid1(VALU_DEP_2)
	v_fma_f64 v[22:23], v[18:19], v[22:23], v[26:27]
	v_fma_f64 v[18:19], v[18:19], v[24:25], -v[20:21]
	s_delay_alu instid0(VALU_DEP_2) | instskip(NEXT) | instid1(VALU_DEP_2)
	v_add_f64 v[0:1], v[0:1], v[22:23]
	v_add_f64 v[2:3], v[2:3], v[18:19]
	s_cbranch_scc0 .LBB124_34
	s_branch .LBB124_31
.LBB124_35:
	s_endpgm
	.section	.rodata,"a",@progbits
	.p2align	6, 0x0
	.amdhsa_kernel _ZN9rocsolver6v33100L17syevj_diag_rotateILb1E19rocblas_complex_numIdEdPS3_EEvbiiT2_iilPT0_Pii
		.amdhsa_group_segment_fixed_size 0
		.amdhsa_private_segment_fixed_size 64
		.amdhsa_kernarg_size 320
		.amdhsa_user_sgpr_count 13
		.amdhsa_user_sgpr_dispatch_ptr 0
		.amdhsa_user_sgpr_queue_ptr 0
		.amdhsa_user_sgpr_kernarg_segment_ptr 1
		.amdhsa_user_sgpr_dispatch_id 0
		.amdhsa_user_sgpr_private_segment_size 0
		.amdhsa_wavefront_size32 1
		.amdhsa_uses_dynamic_stack 0
		.amdhsa_enable_private_segment 1
		.amdhsa_system_sgpr_workgroup_id_x 1
		.amdhsa_system_sgpr_workgroup_id_y 1
		.amdhsa_system_sgpr_workgroup_id_z 1
		.amdhsa_system_sgpr_workgroup_info 0
		.amdhsa_system_vgpr_workitem_id 1
		.amdhsa_next_free_vgpr 42
		.amdhsa_next_free_sgpr 58
		.amdhsa_reserve_vcc 1
		.amdhsa_float_round_mode_32 0
		.amdhsa_float_round_mode_16_64 0
		.amdhsa_float_denorm_mode_32 3
		.amdhsa_float_denorm_mode_16_64 3
		.amdhsa_dx10_clamp 1
		.amdhsa_ieee_mode 1
		.amdhsa_fp16_overflow 0
		.amdhsa_workgroup_processor_mode 1
		.amdhsa_memory_ordered 1
		.amdhsa_forward_progress 0
		.amdhsa_shared_vgpr_count 0
		.amdhsa_exception_fp_ieee_invalid_op 0
		.amdhsa_exception_fp_denorm_src 0
		.amdhsa_exception_fp_ieee_div_zero 0
		.amdhsa_exception_fp_ieee_overflow 0
		.amdhsa_exception_fp_ieee_underflow 0
		.amdhsa_exception_fp_ieee_inexact 0
		.amdhsa_exception_int_div_zero 0
	.end_amdhsa_kernel
	.section	.text._ZN9rocsolver6v33100L17syevj_diag_rotateILb1E19rocblas_complex_numIdEdPS3_EEvbiiT2_iilPT0_Pii,"axG",@progbits,_ZN9rocsolver6v33100L17syevj_diag_rotateILb1E19rocblas_complex_numIdEdPS3_EEvbiiT2_iilPT0_Pii,comdat
.Lfunc_end124:
	.size	_ZN9rocsolver6v33100L17syevj_diag_rotateILb1E19rocblas_complex_numIdEdPS3_EEvbiiT2_iilPT0_Pii, .Lfunc_end124-_ZN9rocsolver6v33100L17syevj_diag_rotateILb1E19rocblas_complex_numIdEdPS3_EEvbiiT2_iilPT0_Pii
                                        ; -- End function
	.section	.AMDGPU.csdata,"",@progbits
; Kernel info:
; codeLenInByte = 1604
; NumSgprs: 60
; NumVgprs: 42
; ScratchSize: 64
; MemoryBound: 0
; FloatMode: 240
; IeeeMode: 1
; LDSByteSize: 0 bytes/workgroup (compile time only)
; SGPRBlocks: 7
; VGPRBlocks: 5
; NumSGPRsForWavesPerEU: 60
; NumVGPRsForWavesPerEU: 42
; Occupancy: 16
; WaveLimiterHint : 1
; COMPUTE_PGM_RSRC2:SCRATCH_EN: 1
; COMPUTE_PGM_RSRC2:USER_SGPR: 13
; COMPUTE_PGM_RSRC2:TRAP_HANDLER: 0
; COMPUTE_PGM_RSRC2:TGID_X_EN: 1
; COMPUTE_PGM_RSRC2:TGID_Y_EN: 1
; COMPUTE_PGM_RSRC2:TGID_Z_EN: 1
; COMPUTE_PGM_RSRC2:TIDIG_COMP_CNT: 1
	.section	.text._ZN9rocsolver6v33100L21syevj_offd_kernel_orgI19rocblas_complex_numIdEdPS3_EEviiT1_iilT0_PT_PiS9_S9_,"axG",@progbits,_ZN9rocsolver6v33100L21syevj_offd_kernel_orgI19rocblas_complex_numIdEdPS3_EEviiT1_iilT0_PT_PiS9_S9_,comdat
	.globl	_ZN9rocsolver6v33100L21syevj_offd_kernel_orgI19rocblas_complex_numIdEdPS3_EEviiT1_iilT0_PT_PiS9_S9_ ; -- Begin function _ZN9rocsolver6v33100L21syevj_offd_kernel_orgI19rocblas_complex_numIdEdPS3_EEviiT1_iilT0_PT_PiS9_S9_
	.p2align	8
	.type	_ZN9rocsolver6v33100L21syevj_offd_kernel_orgI19rocblas_complex_numIdEdPS3_EEviiT1_iilT0_PT_PiS9_S9_,@function
_ZN9rocsolver6v33100L21syevj_offd_kernel_orgI19rocblas_complex_numIdEdPS3_EEviiT1_iilT0_PT_PiS9_S9_: ; @_ZN9rocsolver6v33100L21syevj_offd_kernel_orgI19rocblas_complex_numIdEdPS3_EEviiT1_iilT0_PT_PiS9_S9_
; %bb.0:
	s_load_b128 s[16:19], s[0:1], 0x38
	s_mov_b32 s2, s15
	s_ashr_i32 s3, s15, 31
	s_mov_b32 s15, 0
	s_lshl_b64 s[4:5], s[2:3], 2
	s_waitcnt lgkmcnt(0)
	s_add_u32 s4, s18, s4
	s_addc_u32 s5, s19, s5
	s_load_b32 s4, s[4:5], 0x4
	s_waitcnt lgkmcnt(0)
	s_cmp_lg_u32 s4, 0
	s_cbranch_scc1 .LBB125_49
; %bb.1:
	s_load_b256 s[4:11], s[0:1], 0x18
	s_lshl_b64 s[12:13], s[14:15], 2
	s_waitcnt lgkmcnt(0)
	s_add_u32 s10, s10, s12
	s_addc_u32 s11, s11, s13
	s_add_u32 s16, s16, s12
	s_addc_u32 s17, s17, s13
	s_load_b32 s12, s[10:11], 0x0
	s_load_b32 s13, s[16:17], 0x0
	s_load_b64 s[16:17], s[0:1], 0x0
	s_waitcnt lgkmcnt(0)
	s_max_i32 s21, s12, s13
	s_delay_alu instid0(SALU_CYCLE_1)
	s_cmp_ge_i32 s21, s16
	s_cbranch_scc1 .LBB125_49
; %bb.2:
	s_load_b32 s15, s[0:1], 0x54
	s_add_u32 s10, s0, 0x48
	v_bfe_u32 v1, v0, 10, 10
	s_addc_u32 s11, s1, 0
	s_min_i32 s22, s12, s13
	s_mov_b32 s12, exec_lo
	s_waitcnt lgkmcnt(0)
	s_and_b32 s16, s15, 0xffff
	s_delay_alu instid0(SALU_CYCLE_1) | instskip(NEXT) | instid1(SALU_CYCLE_1)
	s_mul_i32 s22, s22, s16
	v_add_nc_u32_e32 v42, s22, v1
	s_delay_alu instid0(VALU_DEP_1)
	v_cmpx_gt_i32_e64 s17, v42
	s_cbranch_execz .LBB125_49
; %bb.3:
	s_cmp_eq_u64 s[8:9], 0
	s_mov_b64 s[18:19], 0
	s_cbranch_scc1 .LBB125_5
; %bb.4:
	s_load_b32 s10, s[10:11], 0x0
	s_waitcnt lgkmcnt(0)
	s_mul_i32 s10, s10, s2
	s_delay_alu instid0(SALU_CYCLE_1) | instskip(NEXT) | instid1(SALU_CYCLE_1)
	s_add_i32 s10, s10, s14
	s_mul_i32 s10, s10, s16
	s_delay_alu instid0(SALU_CYCLE_1) | instskip(NEXT) | instid1(SALU_CYCLE_1)
	s_mul_i32 s10, s10, s16
	s_lshl_b32 s10, s10, 2
	s_delay_alu instid0(SALU_CYCLE_1) | instskip(NEXT) | instid1(SALU_CYCLE_1)
	s_ashr_i32 s11, s10, 31
	s_lshl_b64 s[10:11], s[10:11], 4
	s_delay_alu instid0(SALU_CYCLE_1)
	s_add_u32 s18, s8, s10
	s_addc_u32 s19, s9, s11
.LBB125_5:
	s_lshl_b32 s9, s16, 1
	v_and_b32_e32 v8, 0x3ff, v0
	v_add_nc_u32_e32 v0, s16, v1
	v_mul_u32_u24_e32 v43, s9, v1
	s_cmp_lg_u64 s[18:19], 0
	s_cselect_b32 s20, -1, 0
	s_delay_alu instid0(VALU_DEP_2) | instskip(NEXT) | instid1(VALU_DEP_2)
	v_mad_u32_u24 v9, v0, s9, v8
	v_add_lshl_u32 v2, v43, v8, 4
	s_cmp_eq_u64 s[18:19], 0
	s_cbranch_scc1 .LBB125_7
; %bb.6:
	s_mov_b32 s12, 0
	v_cmp_eq_u32_e32 vcc_lo, v8, v1
	s_mov_b32 s13, s12
	s_mov_b32 s14, s12
	;; [unrolled: 1-line block ×3, first 2 shown]
	v_mov_b32_e32 v3, 0
	v_add_nc_u32_e32 v7, s16, v8
	v_cndmask_b32_e64 v4, 0, 0x3ff00000, vcc_lo
	v_add_co_u32 v14, s8, s18, v2
	s_delay_alu instid0(VALU_DEP_4) | instskip(NEXT) | instid1(VALU_DEP_4)
	v_mov_b32_e32 v10, v3
	v_mad_u32_u24 v16, v0, s9, v7
	v_add_lshl_u32 v20, v43, v7, 4
	v_add_co_ci_u32_e64 v15, null, s19, 0, s8
	s_delay_alu instid0(VALU_DEP_4) | instskip(NEXT) | instid1(VALU_DEP_3)
	v_lshlrev_b64 v[10:11], 4, v[9:10]
	v_add_co_u32 v20, s8, s18, v20
	s_delay_alu instid0(VALU_DEP_1) | instskip(NEXT) | instid1(VALU_DEP_3)
	v_add_co_ci_u32_e64 v21, null, s19, 0, s8
	v_add_co_u32 v18, vcc_lo, s18, v10
	s_delay_alu instid0(VALU_DEP_4) | instskip(SKIP_3) | instid1(VALU_DEP_3)
	v_add_co_ci_u32_e32 v19, vcc_lo, s19, v11, vcc_lo
	v_dual_mov_b32 v10, s12 :: v_dual_mov_b32 v17, v3
	v_dual_mov_b32 v5, v3 :: v_dual_mov_b32 v12, s14
	v_dual_mov_b32 v6, v3 :: v_dual_mov_b32 v11, s13
	v_lshlrev_b64 v[16:17], 4, v[16:17]
	v_mov_b32_e32 v13, s15
	s_delay_alu instid0(VALU_DEP_2) | instskip(NEXT) | instid1(VALU_DEP_3)
	v_add_co_u32 v16, vcc_lo, s18, v16
	v_add_co_ci_u32_e32 v17, vcc_lo, s19, v17, vcc_lo
	s_clause 0x3
	flat_store_b128 v[14:15], v[3:6]
	flat_store_b128 v[18:19], v[10:13]
	;; [unrolled: 1-line block ×4, first 2 shown]
.LBB125_7:
	s_cmp_eq_u32 s16, 0
	s_mov_b32 s8, 0
	s_cbranch_scc1 .LBB125_49
; %bb.8:
	v_div_scale_f64 v[3:4], null, s[6:7], s[6:7], 0x100000
	s_mov_b32 s10, 0
	s_mov_b32 s11, 0x100000
	s_load_b128 s[12:15], s[0:1], 0x8
	v_div_scale_f64 v[12:13], vcc_lo, s[10:11], s[6:7], s[10:11]
	v_mul_u32_u24_e32 v45, s9, v0
	v_cvt_f32_u32_e32 v0, s16
	s_mul_i32 s1, s2, s5
	s_mul_hi_u32 s11, s2, s4
	s_mul_i32 s3, s3, s4
	s_mul_i32 s2, s2, s4
	v_lshlrev_b32_e32 v7, 4, v8
	s_mul_i32 s5, s21, s16
	s_lshl_b32 s10, s16, 3
	v_cmp_eq_u32_e64 s0, 0, v1
	s_add_i32 s1, s11, s1
	v_add3_u32 v48, 0, s10, v7
	s_add_i32 s3, s1, s3
	v_lshl_add_u32 v44, v8, 3, 0
	s_lshl_b64 s[10:11], s[2:3], 4
                                        ; implicit-def: $vgpr34_vgpr35
                                        ; implicit-def: $vgpr30_vgpr31
                                        ; implicit-def: $vgpr32_vgpr33
	s_waitcnt lgkmcnt(0)
	s_ashr_i32 s23, s14, 31
	s_add_u32 s3, s12, s10
	v_mul_lo_u32 v49, v42, s15
	v_rcp_f64_e32 v[5:6], v[3:4]
	s_waitcnt_depctr 0xfff
	v_fma_f64 v[10:11], -v[3:4], v[5:6], 1.0
	s_delay_alu instid0(VALU_DEP_1) | instskip(NEXT) | instid1(VALU_DEP_1)
	v_fma_f64 v[5:6], v[5:6], v[10:11], v[5:6]
	v_fma_f64 v[10:11], -v[3:4], v[5:6], 1.0
	s_delay_alu instid0(VALU_DEP_1) | instskip(SKIP_2) | instid1(VALU_DEP_1)
	v_fma_f64 v[5:6], v[5:6], v[10:11], v[5:6]
	v_dual_mov_b32 v10, 0 :: v_dual_add_nc_u32 v11, s22, v8
	s_mov_b32 s22, s14
	v_mul_lo_u32 v47, v11, s15
	v_cmp_gt_i32_e64 s1, s17, v11
	s_delay_alu instid0(VALU_DEP_4) | instskip(NEXT) | instid1(VALU_DEP_1)
	v_mul_f64 v[14:15], v[12:13], v[5:6]
	v_fma_f64 v[3:4], -v[3:4], v[14:15], v[12:13]
	v_add_co_u32 v12, s4, s18, v2
	v_rcp_iflag_f32_e32 v2, v0
	v_add_nc_u32_e32 v46, s5, v1
	v_lshlrev_b64 v[0:1], 4, v[9:10]
	v_add_co_ci_u32_e64 v13, null, s19, 0, s4
	s_addc_u32 s4, s13, s11
	s_lshl_b64 s[10:11], s[22:23], 4
	s_delay_alu instid0(SALU_CYCLE_1)
	s_add_u32 s12, s3, s10
	s_addc_u32 s13, s4, s11
	s_waitcnt_depctr 0xfff
	v_mul_f32_e32 v7, 0x4f7ffffe, v2
	v_add_nc_u32_e32 v2, v47, v42
	v_mul_lo_u32 v50, v46, s15
	s_sub_i32 s3, 0, s16
	v_cmp_gt_i32_e64 s2, s17, v46
	v_cvt_u32_f32_e32 v9, v7
	s_delay_alu instid0(VALU_DEP_1) | instskip(NEXT) | instid1(VALU_DEP_1)
	v_mul_lo_u32 v7, s3, v9
	v_mul_hi_u32 v24, v9, v7
	v_div_fmas_f64 v[3:4], v[3:4], v[5:6], v[14:15]
	v_add_nc_u32_e32 v5, v47, v11
	v_add_co_u32 v14, vcc_lo, s18, v0
	v_add_co_ci_u32_e32 v15, vcc_lo, s19, v1, vcc_lo
	s_delay_alu instid0(VALU_DEP_3) | instskip(SKIP_1) | instid1(VALU_DEP_2)
	v_ashrrev_i32_e32 v6, 31, v5
	v_add_nc_u32_e32 v51, v9, v24
	v_lshlrev_b64 v[0:1], 4, v[5:6]
	v_add_nc_u32_e32 v5, v47, v46
	s_delay_alu instid0(VALU_DEP_3) | instskip(NEXT) | instid1(VALU_DEP_2)
	v_mad_u64_u32 v[26:27], null, v8, v51, 0
	v_ashrrev_i32_e32 v6, 31, v5
	s_delay_alu instid0(VALU_DEP_4) | instskip(SKIP_2) | instid1(VALU_DEP_2)
	v_add_co_u32 v16, vcc_lo, s12, v0
	v_add_nc_u32_e32 v0, v49, v11
	v_add_co_ci_u32_e32 v17, vcc_lo, s13, v1, vcc_lo
	v_ashrrev_i32_e32 v1, 31, v0
	s_delay_alu instid0(VALU_DEP_1)
	v_lshlrev_b64 v[0:1], 4, v[0:1]
	v_div_fixup_f64 v[18:19], v[3:4], s[6:7], 0x100000
	v_ashrrev_i32_e32 v3, 31, v2
	v_lshlrev_b64 v[4:5], 4, v[5:6]
	v_add_nc_u32_e32 v6, v50, v11
	s_and_b32 s6, s0, s1
	s_mov_b32 s7, s16
	v_lshlrev_b64 v[2:3], 4, v[2:3]
	s_delay_alu instid0(VALU_DEP_2) | instskip(NEXT) | instid1(VALU_DEP_2)
	v_ashrrev_i32_e32 v7, 31, v6
	v_add_co_u32 v20, vcc_lo, s12, v2
	s_delay_alu instid0(VALU_DEP_3) | instskip(SKIP_1) | instid1(VALU_DEP_4)
	v_add_co_ci_u32_e32 v21, vcc_lo, s13, v3, vcc_lo
	v_add_co_u32 v22, vcc_lo, s12, v4
	v_lshlrev_b64 v[2:3], 4, v[6:7]
	v_add_co_ci_u32_e32 v23, vcc_lo, s13, v5, vcc_lo
	v_add_co_u32 v24, vcc_lo, s12, v0
	v_add_co_ci_u32_e32 v25, vcc_lo, s13, v1, vcc_lo
	s_delay_alu instid0(VALU_DEP_4)
	v_add_co_u32 v28, vcc_lo, s12, v2
	v_add_co_ci_u32_e32 v29, vcc_lo, s13, v3, vcc_lo
                                        ; implicit-def: $vgpr2_vgpr3
	s_branch .LBB125_10
.LBB125_9:                              ;   in Loop: Header=BB125_10 Depth=1
	s_or_b32 exec_lo, exec_lo, s3
	v_add_co_u32 v26, vcc_lo, v26, v51
	v_add_nc_u32_e32 v8, 1, v8
	v_add_co_ci_u32_e32 v27, vcc_lo, 0, v27, vcc_lo
	s_add_i32 s7, s7, -1
	s_delay_alu instid0(SALU_CYCLE_1)
	s_cmp_lg_u32 s7, 0
	s_cbranch_scc0 .LBB125_49
.LBB125_10:                             ; =>This Inner Loop Header: Depth=1
	s_delay_alu instid0(VALU_DEP_1) | instskip(SKIP_1) | instid1(VALU_DEP_1)
	v_mul_lo_u32 v6, s16, v27
	v_not_b32_e32 v7, v27
	v_mad_u64_u32 v[4:5], null, s16, v7, v[8:9]
	s_delay_alu instid0(VALU_DEP_3) | instskip(NEXT) | instid1(VALU_DEP_1)
	v_sub_nc_u32_e32 v5, v8, v6
	v_cmp_le_u32_e32 vcc_lo, s16, v5
	s_delay_alu instid0(VALU_DEP_3) | instskip(NEXT) | instid1(VALU_DEP_1)
	v_cndmask_b32_e32 v4, v5, v4, vcc_lo
	v_subrev_nc_u32_e32 v5, s16, v4
	v_cmp_le_u32_e32 vcc_lo, s16, v4
	s_delay_alu instid0(VALU_DEP_2) | instskip(NEXT) | instid1(VALU_DEP_1)
	v_cndmask_b32_e32 v9, v4, v5, vcc_lo
	v_add_nc_u32_e32 v52, s5, v9
	s_delay_alu instid0(VALU_DEP_1) | instskip(SKIP_1) | instid1(VALU_DEP_1)
	v_mul_lo_u32 v53, v52, s15
	v_cmp_gt_i32_e64 s3, s17, v52
	s_and_b32 s4, s6, s3
	s_delay_alu instid0(SALU_CYCLE_1)
	s_and_saveexec_b32 s9, s4
	s_cbranch_execz .LBB125_36
; %bb.11:                               ;   in Loop: Header=BB125_10 Depth=1
	s_delay_alu instid0(VALU_DEP_2) | instskip(SKIP_1) | instid1(VALU_DEP_1)
	v_add_nc_u32_e32 v0, v53, v11
	s_mov_b32 s4, exec_lo
                                        ; implicit-def: $vgpr36_vgpr37
	v_ashrrev_i32_e32 v1, 31, v0
	s_delay_alu instid0(VALU_DEP_1) | instskip(NEXT) | instid1(VALU_DEP_1)
	v_lshlrev_b64 v[0:1], 4, v[0:1]
	v_add_co_u32 v0, vcc_lo, s12, v0
	s_delay_alu instid0(VALU_DEP_2)
	v_add_co_ci_u32_e32 v1, vcc_lo, s13, v1, vcc_lo
	global_load_b128 v[4:7], v[0:1], off
	s_waitcnt vmcnt(0)
	v_cmp_gt_f64_e32 vcc_lo, 0, v[4:5]
	v_xor_b32_e32 v1, 0x80000000, v5
	v_mov_b32_e32 v0, v4
	v_xor_b32_e32 v2, 0x80000000, v7
	s_delay_alu instid0(VALU_DEP_3) | instskip(SKIP_1) | instid1(VALU_DEP_3)
	v_cndmask_b32_e32 v1, v5, v1, vcc_lo
	v_cmp_gt_f64_e32 vcc_lo, 0, v[6:7]
	v_dual_cndmask_b32 v3, v7, v2 :: v_dual_mov_b32 v2, v6
	s_delay_alu instid0(VALU_DEP_1)
	v_cmpx_ngt_f64_e32 v[0:1], v[2:3]
	s_xor_b32 s4, exec_lo, s4
	s_cbranch_execz .LBB125_15
; %bb.12:                               ;   in Loop: Header=BB125_10 Depth=1
	v_mov_b32_e32 v36, 0
	v_mov_b32_e32 v37, 0
	s_mov_b32 s10, exec_lo
	v_cmpx_neq_f64_e32 0, v[6:7]
	s_cbranch_execz .LBB125_14
; %bb.13:                               ;   in Loop: Header=BB125_10 Depth=1
	v_div_scale_f64 v[34:35], null, v[2:3], v[2:3], v[0:1]
	v_div_scale_f64 v[40:41], vcc_lo, v[0:1], v[2:3], v[0:1]
	s_delay_alu instid0(VALU_DEP_2) | instskip(SKIP_2) | instid1(VALU_DEP_1)
	v_rcp_f64_e32 v[36:37], v[34:35]
	s_waitcnt_depctr 0xfff
	v_fma_f64 v[38:39], -v[34:35], v[36:37], 1.0
	v_fma_f64 v[36:37], v[36:37], v[38:39], v[36:37]
	s_delay_alu instid0(VALU_DEP_1) | instskip(NEXT) | instid1(VALU_DEP_1)
	v_fma_f64 v[38:39], -v[34:35], v[36:37], 1.0
	v_fma_f64 v[36:37], v[36:37], v[38:39], v[36:37]
	s_delay_alu instid0(VALU_DEP_1) | instskip(NEXT) | instid1(VALU_DEP_1)
	v_mul_f64 v[38:39], v[40:41], v[36:37]
	v_fma_f64 v[34:35], -v[34:35], v[38:39], v[40:41]
	s_delay_alu instid0(VALU_DEP_1) | instskip(NEXT) | instid1(VALU_DEP_1)
	v_div_fmas_f64 v[34:35], v[34:35], v[36:37], v[38:39]
	v_div_fixup_f64 v[0:1], v[34:35], v[2:3], v[0:1]
	s_delay_alu instid0(VALU_DEP_1) | instskip(NEXT) | instid1(VALU_DEP_1)
	v_fma_f64 v[0:1], v[0:1], v[0:1], 1.0
	v_cmp_gt_f64_e32 vcc_lo, 0x10000000, v[0:1]
	v_cndmask_b32_e64 v34, 0, 1, vcc_lo
	s_delay_alu instid0(VALU_DEP_1) | instskip(NEXT) | instid1(VALU_DEP_1)
	v_lshlrev_b32_e32 v34, 8, v34
	v_ldexp_f64 v[0:1], v[0:1], v34
	s_delay_alu instid0(VALU_DEP_1) | instskip(SKIP_3) | instid1(VALU_DEP_1)
	v_rsq_f64_e32 v[34:35], v[0:1]
	s_waitcnt_depctr 0xfff
	v_mul_f64 v[36:37], v[0:1], v[34:35]
	v_mul_f64 v[34:35], v[34:35], 0.5
	v_fma_f64 v[38:39], -v[34:35], v[36:37], 0.5
	s_delay_alu instid0(VALU_DEP_1) | instskip(SKIP_1) | instid1(VALU_DEP_2)
	v_fma_f64 v[36:37], v[36:37], v[38:39], v[36:37]
	v_fma_f64 v[34:35], v[34:35], v[38:39], v[34:35]
	v_fma_f64 v[38:39], -v[36:37], v[36:37], v[0:1]
	s_delay_alu instid0(VALU_DEP_1) | instskip(NEXT) | instid1(VALU_DEP_1)
	v_fma_f64 v[36:37], v[38:39], v[34:35], v[36:37]
	v_fma_f64 v[38:39], -v[36:37], v[36:37], v[0:1]
	s_delay_alu instid0(VALU_DEP_1) | instskip(SKIP_2) | instid1(VALU_DEP_2)
	v_fma_f64 v[34:35], v[38:39], v[34:35], v[36:37]
	v_cndmask_b32_e64 v36, 0, 0xffffff80, vcc_lo
	v_cmp_class_f64_e64 vcc_lo, v[0:1], 0x260
	v_ldexp_f64 v[34:35], v[34:35], v36
	s_delay_alu instid0(VALU_DEP_1) | instskip(NEXT) | instid1(VALU_DEP_1)
	v_dual_cndmask_b32 v1, v35, v1 :: v_dual_cndmask_b32 v0, v34, v0
	v_mul_f64 v[36:37], v[2:3], v[0:1]
.LBB125_14:                             ;   in Loop: Header=BB125_10 Depth=1
	s_or_b32 exec_lo, exec_lo, s10
                                        ; implicit-def: $vgpr0_vgpr1
                                        ; implicit-def: $vgpr2_vgpr3
.LBB125_15:                             ;   in Loop: Header=BB125_10 Depth=1
	s_and_not1_saveexec_b32 s4, s4
	s_cbranch_execz .LBB125_17
; %bb.16:                               ;   in Loop: Header=BB125_10 Depth=1
	v_div_scale_f64 v[34:35], null, v[0:1], v[0:1], v[2:3]
	v_div_scale_f64 v[40:41], vcc_lo, v[2:3], v[0:1], v[2:3]
	s_delay_alu instid0(VALU_DEP_2) | instskip(SKIP_2) | instid1(VALU_DEP_1)
	v_rcp_f64_e32 v[36:37], v[34:35]
	s_waitcnt_depctr 0xfff
	v_fma_f64 v[38:39], -v[34:35], v[36:37], 1.0
	v_fma_f64 v[36:37], v[36:37], v[38:39], v[36:37]
	s_delay_alu instid0(VALU_DEP_1) | instskip(NEXT) | instid1(VALU_DEP_1)
	v_fma_f64 v[38:39], -v[34:35], v[36:37], 1.0
	v_fma_f64 v[36:37], v[36:37], v[38:39], v[36:37]
	s_delay_alu instid0(VALU_DEP_1) | instskip(NEXT) | instid1(VALU_DEP_1)
	v_mul_f64 v[38:39], v[40:41], v[36:37]
	v_fma_f64 v[34:35], -v[34:35], v[38:39], v[40:41]
	s_delay_alu instid0(VALU_DEP_1) | instskip(NEXT) | instid1(VALU_DEP_1)
	v_div_fmas_f64 v[34:35], v[34:35], v[36:37], v[38:39]
	v_div_fixup_f64 v[2:3], v[34:35], v[0:1], v[2:3]
	s_delay_alu instid0(VALU_DEP_1) | instskip(NEXT) | instid1(VALU_DEP_1)
	v_fma_f64 v[2:3], v[2:3], v[2:3], 1.0
	v_cmp_gt_f64_e32 vcc_lo, 0x10000000, v[2:3]
	v_cndmask_b32_e64 v34, 0, 1, vcc_lo
	s_delay_alu instid0(VALU_DEP_1) | instskip(NEXT) | instid1(VALU_DEP_1)
	v_lshlrev_b32_e32 v34, 8, v34
	v_ldexp_f64 v[2:3], v[2:3], v34
	s_delay_alu instid0(VALU_DEP_1) | instskip(SKIP_3) | instid1(VALU_DEP_1)
	v_rsq_f64_e32 v[34:35], v[2:3]
	s_waitcnt_depctr 0xfff
	v_mul_f64 v[36:37], v[2:3], v[34:35]
	v_mul_f64 v[34:35], v[34:35], 0.5
	v_fma_f64 v[38:39], -v[34:35], v[36:37], 0.5
	s_delay_alu instid0(VALU_DEP_1) | instskip(SKIP_1) | instid1(VALU_DEP_2)
	v_fma_f64 v[36:37], v[36:37], v[38:39], v[36:37]
	v_fma_f64 v[34:35], v[34:35], v[38:39], v[34:35]
	v_fma_f64 v[38:39], -v[36:37], v[36:37], v[2:3]
	s_delay_alu instid0(VALU_DEP_1) | instskip(NEXT) | instid1(VALU_DEP_1)
	v_fma_f64 v[36:37], v[38:39], v[34:35], v[36:37]
	v_fma_f64 v[38:39], -v[36:37], v[36:37], v[2:3]
	s_delay_alu instid0(VALU_DEP_1) | instskip(SKIP_2) | instid1(VALU_DEP_2)
	v_fma_f64 v[34:35], v[38:39], v[34:35], v[36:37]
	v_cndmask_b32_e64 v36, 0, 0xffffff80, vcc_lo
	v_cmp_class_f64_e64 vcc_lo, v[2:3], 0x260
	v_ldexp_f64 v[34:35], v[34:35], v36
	s_delay_alu instid0(VALU_DEP_1) | instskip(NEXT) | instid1(VALU_DEP_1)
	v_dual_cndmask_b32 v3, v35, v3 :: v_dual_cndmask_b32 v2, v34, v2
	v_mul_f64 v[36:37], v[0:1], v[2:3]
.LBB125_17:                             ;   in Loop: Header=BB125_10 Depth=1
	s_or_b32 exec_lo, exec_lo, s4
	s_delay_alu instid0(VALU_DEP_1) | instskip(SKIP_3) | instid1(VALU_DEP_4)
	v_mul_f64 v[0:1], v[36:37], v[36:37]
	v_mov_b32_e32 v2, 0
	v_dual_mov_b32 v3, 0 :: v_dual_mov_b32 v34, 0
	v_mov_b32_e32 v35, 0x3ff00000
	v_cmp_nlt_f64_e32 vcc_lo, v[0:1], v[18:19]
	s_delay_alu instid0(VALU_DEP_3)
	v_dual_mov_b32 v0, v2 :: v_dual_mov_b32 v1, v3
	s_and_saveexec_b32 s10, vcc_lo
	s_cbranch_execz .LBB125_35
; %bb.18:                               ;   in Loop: Header=BB125_10 Depth=1
	v_add_nc_u32_e32 v0, v53, v52
	s_delay_alu instid0(VALU_DEP_1) | instskip(NEXT) | instid1(VALU_DEP_1)
	v_ashrrev_i32_e32 v1, 31, v0
	v_lshlrev_b64 v[0:1], 4, v[0:1]
	s_delay_alu instid0(VALU_DEP_1) | instskip(NEXT) | instid1(VALU_DEP_2)
	v_add_co_u32 v0, vcc_lo, s12, v0
	v_add_co_ci_u32_e32 v1, vcc_lo, s13, v1, vcc_lo
	s_clause 0x1
	global_load_b64 v[2:3], v[16:17], off
	global_load_b64 v[34:35], v[0:1], off
	v_add_f64 v[0:1], v[36:37], v[36:37]
	s_delay_alu instid0(VALU_DEP_1) | instskip(SKIP_2) | instid1(VALU_DEP_1)
	v_cmp_class_f64_e64 s11, v[0:1], 0x204
	s_waitcnt vmcnt(0)
	v_add_f64 v[2:3], v[34:35], -v[2:3]
	v_max_f64 v[34:35], |v[2:3]|, |v[0:1]|
	v_cmp_ngt_f64_e64 s4, 0, v[2:3]
	v_cmp_class_f64_e64 s14, v[2:3], 0x204
	s_delay_alu instid0(VALU_DEP_3) | instskip(NEXT) | instid1(VALU_DEP_1)
	v_frexp_exp_i32_f64_e32 v40, v[34:35]
	v_sub_nc_u32_e32 v38, 0, v40
	s_delay_alu instid0(VALU_DEP_1) | instskip(SKIP_1) | instid1(VALU_DEP_2)
	v_ldexp_f64 v[34:35], |v[0:1]|, v38
	v_ldexp_f64 v[38:39], |v[2:3]|, v38
	v_mul_f64 v[34:35], v[34:35], v[34:35]
	s_delay_alu instid0(VALU_DEP_1) | instskip(NEXT) | instid1(VALU_DEP_1)
	v_fma_f64 v[34:35], v[38:39], v[38:39], v[34:35]
	v_rsq_f64_e32 v[38:39], v[34:35]
	v_cmp_eq_f64_e32 vcc_lo, 0, v[34:35]
	s_waitcnt_depctr 0xfff
	v_mul_f64 v[54:55], v[34:35], v[38:39]
	v_mul_f64 v[38:39], v[38:39], 0.5
	s_delay_alu instid0(VALU_DEP_1) | instskip(NEXT) | instid1(VALU_DEP_1)
	v_fma_f64 v[56:57], -v[38:39], v[54:55], 0.5
	v_fma_f64 v[54:55], v[54:55], v[56:57], v[54:55]
	v_fma_f64 v[38:39], v[38:39], v[56:57], v[38:39]
	s_delay_alu instid0(VALU_DEP_2) | instskip(NEXT) | instid1(VALU_DEP_1)
	v_fma_f64 v[56:57], -v[54:55], v[54:55], v[34:35]
	v_fma_f64 v[38:39], v[56:57], v[38:39], v[54:55]
	s_delay_alu instid0(VALU_DEP_1) | instskip(SKIP_1) | instid1(SALU_CYCLE_1)
	v_dual_cndmask_b32 v35, v39, v35 :: v_dual_cndmask_b32 v34, v38, v34
                                        ; implicit-def: $vgpr38_vgpr39
	s_and_saveexec_b32 s21, s4
	s_xor_b32 s4, exec_lo, s21
; %bb.19:                               ;   in Loop: Header=BB125_10 Depth=1
	s_delay_alu instid0(VALU_DEP_1) | instskip(SKIP_2) | instid1(VALU_DEP_2)
	v_ldexp_f64 v[34:35], v[34:35], v40
	v_cmp_o_f64_e32 vcc_lo, v[2:3], v[0:1]
	s_or_b32 s21, s11, s14
                                        ; implicit-def: $vgpr40
	v_cndmask_b32_e32 v34, 0, v34, vcc_lo
	s_delay_alu instid0(VALU_DEP_3) | instskip(NEXT) | instid1(VALU_DEP_2)
	v_cndmask_b32_e32 v35, 0x7ff80000, v35, vcc_lo
	v_cndmask_b32_e64 v38, v34, 0, s21
	s_delay_alu instid0(VALU_DEP_2)
	v_cndmask_b32_e64 v39, v35, 0x7ff00000, s21
                                        ; implicit-def: $vgpr34_vgpr35
; %bb.20:                               ;   in Loop: Header=BB125_10 Depth=1
	s_and_not1_saveexec_b32 s4, s4
; %bb.21:                               ;   in Loop: Header=BB125_10 Depth=1
	v_ldexp_f64 v[34:35], -v[34:35], v40
	v_cmp_o_f64_e32 vcc_lo, v[0:1], v[0:1]
	s_or_b32 s11, s11, s14
	s_delay_alu instid0(VALU_DEP_2) | instskip(NEXT) | instid1(VALU_DEP_3)
	v_cndmask_b32_e32 v34, 0, v34, vcc_lo
	v_cndmask_b32_e32 v35, 0xfff80000, v35, vcc_lo
	s_delay_alu instid0(VALU_DEP_2) | instskip(NEXT) | instid1(VALU_DEP_2)
	v_cndmask_b32_e64 v38, v34, 0, s11
	v_cndmask_b32_e64 v39, v35, 0xfff00000, s11
; %bb.22:                               ;   in Loop: Header=BB125_10 Depth=1
	s_or_b32 exec_lo, exec_lo, s4
	v_mov_b32_e32 v40, 0
	v_dual_mov_b32 v41, 0 :: v_dual_mov_b32 v34, 0
	v_mov_b32_e32 v35, 0x3ff00000
	s_mov_b32 s4, exec_lo
	v_cmpx_neq_f64_e32 0, v[0:1]
	s_cbranch_execz .LBB125_30
; %bb.23:                               ;   in Loop: Header=BB125_10 Depth=1
	v_add_f64 v[2:3], v[2:3], v[38:39]
	v_mov_b32_e32 v34, 0
	v_dual_mov_b32 v35, 0 :: v_dual_mov_b32 v40, 0
	v_mov_b32_e32 v41, 0x3ff00000
	s_mov_b32 s11, exec_lo
	s_delay_alu instid0(VALU_DEP_4)
	v_cmpx_neq_f64_e32 0, v[2:3]
	s_cbranch_execz .LBB125_29
; %bb.24:                               ;   in Loop: Header=BB125_10 Depth=1
	v_cmp_ngt_f64_e64 s14, |v[0:1]|, |v[2:3]|
                                        ; implicit-def: $vgpr34_vgpr35
                                        ; implicit-def: $vgpr40_vgpr41
	s_delay_alu instid0(VALU_DEP_1) | instskip(NEXT) | instid1(SALU_CYCLE_1)
	s_and_saveexec_b32 s21, s14
	s_xor_b32 s14, exec_lo, s21
	s_cbranch_execz .LBB125_26
; %bb.25:                               ;   in Loop: Header=BB125_10 Depth=1
	v_div_scale_f64 v[34:35], null, v[2:3], v[2:3], -v[0:1]
	v_div_scale_f64 v[54:55], vcc_lo, -v[0:1], v[2:3], -v[0:1]
	s_delay_alu instid0(VALU_DEP_2) | instskip(SKIP_2) | instid1(VALU_DEP_1)
	v_rcp_f64_e32 v[38:39], v[34:35]
	s_waitcnt_depctr 0xfff
	v_fma_f64 v[40:41], -v[34:35], v[38:39], 1.0
	v_fma_f64 v[38:39], v[38:39], v[40:41], v[38:39]
	s_delay_alu instid0(VALU_DEP_1) | instskip(NEXT) | instid1(VALU_DEP_1)
	v_fma_f64 v[40:41], -v[34:35], v[38:39], 1.0
	v_fma_f64 v[38:39], v[38:39], v[40:41], v[38:39]
	s_delay_alu instid0(VALU_DEP_1) | instskip(NEXT) | instid1(VALU_DEP_1)
	v_mul_f64 v[40:41], v[54:55], v[38:39]
	v_fma_f64 v[34:35], -v[34:35], v[40:41], v[54:55]
	s_delay_alu instid0(VALU_DEP_1) | instskip(NEXT) | instid1(VALU_DEP_1)
	v_div_fmas_f64 v[34:35], v[34:35], v[38:39], v[40:41]
	v_div_fixup_f64 v[0:1], v[34:35], v[2:3], -v[0:1]
	s_delay_alu instid0(VALU_DEP_1) | instskip(NEXT) | instid1(VALU_DEP_1)
	v_fma_f64 v[2:3], v[0:1], v[0:1], 1.0
	v_cmp_gt_f64_e32 vcc_lo, 0x10000000, v[2:3]
	v_cndmask_b32_e64 v34, 0, 1, vcc_lo
	s_delay_alu instid0(VALU_DEP_1) | instskip(NEXT) | instid1(VALU_DEP_1)
	v_lshlrev_b32_e32 v34, 8, v34
	v_ldexp_f64 v[2:3], v[2:3], v34
	s_delay_alu instid0(VALU_DEP_1) | instskip(SKIP_3) | instid1(VALU_DEP_1)
	v_rsq_f64_e32 v[34:35], v[2:3]
	s_waitcnt_depctr 0xfff
	v_mul_f64 v[38:39], v[2:3], v[34:35]
	v_mul_f64 v[34:35], v[34:35], 0.5
	v_fma_f64 v[40:41], -v[34:35], v[38:39], 0.5
	s_delay_alu instid0(VALU_DEP_1) | instskip(SKIP_1) | instid1(VALU_DEP_2)
	v_fma_f64 v[38:39], v[38:39], v[40:41], v[38:39]
	v_fma_f64 v[34:35], v[34:35], v[40:41], v[34:35]
	v_fma_f64 v[40:41], -v[38:39], v[38:39], v[2:3]
	s_delay_alu instid0(VALU_DEP_1) | instskip(NEXT) | instid1(VALU_DEP_1)
	v_fma_f64 v[38:39], v[40:41], v[34:35], v[38:39]
	v_fma_f64 v[40:41], -v[38:39], v[38:39], v[2:3]
	s_delay_alu instid0(VALU_DEP_1) | instskip(SKIP_2) | instid1(VALU_DEP_2)
	v_fma_f64 v[34:35], v[40:41], v[34:35], v[38:39]
	v_cndmask_b32_e64 v38, 0, 0xffffff80, vcc_lo
	v_cmp_class_f64_e64 vcc_lo, v[2:3], 0x260
	v_ldexp_f64 v[34:35], v[34:35], v38
	s_delay_alu instid0(VALU_DEP_1) | instskip(NEXT) | instid1(VALU_DEP_1)
	v_dual_cndmask_b32 v3, v35, v3 :: v_dual_cndmask_b32 v2, v34, v2
	v_div_scale_f64 v[34:35], null, v[2:3], v[2:3], 1.0
	s_delay_alu instid0(VALU_DEP_1) | instskip(SKIP_2) | instid1(VALU_DEP_1)
	v_rcp_f64_e32 v[38:39], v[34:35]
	s_waitcnt_depctr 0xfff
	v_fma_f64 v[40:41], -v[34:35], v[38:39], 1.0
	v_fma_f64 v[38:39], v[38:39], v[40:41], v[38:39]
	s_delay_alu instid0(VALU_DEP_1) | instskip(NEXT) | instid1(VALU_DEP_1)
	v_fma_f64 v[40:41], -v[34:35], v[38:39], 1.0
	v_fma_f64 v[38:39], v[38:39], v[40:41], v[38:39]
	v_div_scale_f64 v[40:41], vcc_lo, 1.0, v[2:3], 1.0
	s_delay_alu instid0(VALU_DEP_1) | instskip(NEXT) | instid1(VALU_DEP_1)
	v_mul_f64 v[54:55], v[40:41], v[38:39]
	v_fma_f64 v[34:35], -v[34:35], v[54:55], v[40:41]
	s_delay_alu instid0(VALU_DEP_1) | instskip(NEXT) | instid1(VALU_DEP_1)
	v_div_fmas_f64 v[34:35], v[34:35], v[38:39], v[54:55]
	v_div_fixup_f64 v[34:35], v[34:35], v[2:3], 1.0
                                        ; implicit-def: $vgpr2_vgpr3
	s_delay_alu instid0(VALU_DEP_1)
	v_mul_f64 v[40:41], v[0:1], v[34:35]
                                        ; implicit-def: $vgpr0_vgpr1
.LBB125_26:                             ;   in Loop: Header=BB125_10 Depth=1
	s_and_not1_saveexec_b32 s14, s14
	s_cbranch_execz .LBB125_28
; %bb.27:                               ;   in Loop: Header=BB125_10 Depth=1
	v_div_scale_f64 v[34:35], null, v[0:1], v[0:1], -v[2:3]
	v_div_scale_f64 v[54:55], vcc_lo, -v[2:3], v[0:1], -v[2:3]
	s_delay_alu instid0(VALU_DEP_2) | instskip(SKIP_2) | instid1(VALU_DEP_1)
	v_rcp_f64_e32 v[38:39], v[34:35]
	s_waitcnt_depctr 0xfff
	v_fma_f64 v[40:41], -v[34:35], v[38:39], 1.0
	v_fma_f64 v[38:39], v[38:39], v[40:41], v[38:39]
	s_delay_alu instid0(VALU_DEP_1) | instskip(NEXT) | instid1(VALU_DEP_1)
	v_fma_f64 v[40:41], -v[34:35], v[38:39], 1.0
	v_fma_f64 v[38:39], v[38:39], v[40:41], v[38:39]
	s_delay_alu instid0(VALU_DEP_1) | instskip(NEXT) | instid1(VALU_DEP_1)
	v_mul_f64 v[40:41], v[54:55], v[38:39]
	v_fma_f64 v[34:35], -v[34:35], v[40:41], v[54:55]
	s_delay_alu instid0(VALU_DEP_1) | instskip(NEXT) | instid1(VALU_DEP_1)
	v_div_fmas_f64 v[34:35], v[34:35], v[38:39], v[40:41]
	v_div_fixup_f64 v[0:1], v[34:35], v[0:1], -v[2:3]
	s_delay_alu instid0(VALU_DEP_1) | instskip(NEXT) | instid1(VALU_DEP_1)
	v_fma_f64 v[2:3], v[0:1], v[0:1], 1.0
	v_cmp_gt_f64_e32 vcc_lo, 0x10000000, v[2:3]
	v_cndmask_b32_e64 v34, 0, 1, vcc_lo
	s_delay_alu instid0(VALU_DEP_1) | instskip(NEXT) | instid1(VALU_DEP_1)
	v_lshlrev_b32_e32 v34, 8, v34
	v_ldexp_f64 v[2:3], v[2:3], v34
	s_delay_alu instid0(VALU_DEP_1) | instskip(SKIP_3) | instid1(VALU_DEP_1)
	v_rsq_f64_e32 v[34:35], v[2:3]
	s_waitcnt_depctr 0xfff
	v_mul_f64 v[38:39], v[2:3], v[34:35]
	v_mul_f64 v[34:35], v[34:35], 0.5
	v_fma_f64 v[40:41], -v[34:35], v[38:39], 0.5
	s_delay_alu instid0(VALU_DEP_1) | instskip(SKIP_1) | instid1(VALU_DEP_2)
	v_fma_f64 v[38:39], v[38:39], v[40:41], v[38:39]
	v_fma_f64 v[34:35], v[34:35], v[40:41], v[34:35]
	v_fma_f64 v[40:41], -v[38:39], v[38:39], v[2:3]
	s_delay_alu instid0(VALU_DEP_1) | instskip(NEXT) | instid1(VALU_DEP_1)
	v_fma_f64 v[38:39], v[40:41], v[34:35], v[38:39]
	v_fma_f64 v[40:41], -v[38:39], v[38:39], v[2:3]
	s_delay_alu instid0(VALU_DEP_1) | instskip(SKIP_2) | instid1(VALU_DEP_2)
	v_fma_f64 v[34:35], v[40:41], v[34:35], v[38:39]
	v_cndmask_b32_e64 v38, 0, 0xffffff80, vcc_lo
	v_cmp_class_f64_e64 vcc_lo, v[2:3], 0x260
	v_ldexp_f64 v[34:35], v[34:35], v38
	s_delay_alu instid0(VALU_DEP_1) | instskip(NEXT) | instid1(VALU_DEP_1)
	v_dual_cndmask_b32 v3, v35, v3 :: v_dual_cndmask_b32 v2, v34, v2
	v_div_scale_f64 v[34:35], null, v[2:3], v[2:3], 1.0
	s_delay_alu instid0(VALU_DEP_1) | instskip(SKIP_2) | instid1(VALU_DEP_1)
	v_rcp_f64_e32 v[38:39], v[34:35]
	s_waitcnt_depctr 0xfff
	v_fma_f64 v[40:41], -v[34:35], v[38:39], 1.0
	v_fma_f64 v[38:39], v[38:39], v[40:41], v[38:39]
	s_delay_alu instid0(VALU_DEP_1) | instskip(NEXT) | instid1(VALU_DEP_1)
	v_fma_f64 v[40:41], -v[34:35], v[38:39], 1.0
	v_fma_f64 v[38:39], v[38:39], v[40:41], v[38:39]
	v_div_scale_f64 v[40:41], vcc_lo, 1.0, v[2:3], 1.0
	s_delay_alu instid0(VALU_DEP_1) | instskip(NEXT) | instid1(VALU_DEP_1)
	v_mul_f64 v[54:55], v[40:41], v[38:39]
	v_fma_f64 v[34:35], -v[34:35], v[54:55], v[40:41]
	s_delay_alu instid0(VALU_DEP_1) | instskip(NEXT) | instid1(VALU_DEP_1)
	v_div_fmas_f64 v[34:35], v[34:35], v[38:39], v[54:55]
	v_div_fixup_f64 v[40:41], v[34:35], v[2:3], 1.0
	s_delay_alu instid0(VALU_DEP_1)
	v_mul_f64 v[34:35], v[0:1], v[40:41]
.LBB125_28:                             ;   in Loop: Header=BB125_10 Depth=1
	s_or_b32 exec_lo, exec_lo, s14
.LBB125_29:                             ;   in Loop: Header=BB125_10 Depth=1
	s_delay_alu instid0(SALU_CYCLE_1)
	s_or_b32 exec_lo, exec_lo, s11
.LBB125_30:                             ;   in Loop: Header=BB125_10 Depth=1
	s_delay_alu instid0(SALU_CYCLE_1) | instskip(SKIP_1) | instid1(VALU_DEP_2)
	s_or_b32 exec_lo, exec_lo, s4
	v_cmp_gt_f64_e32 vcc_lo, 0, v[36:37]
	v_mul_f64 v[38:39], v[4:5], v[40:41]
	v_mul_f64 v[4:5], v[6:7], v[40:41]
	v_xor_b32_e32 v0, 0x80000000, v37
	s_mov_b32 s4, exec_lo
                                        ; implicit-def: $vgpr2_vgpr3
	s_delay_alu instid0(VALU_DEP_1) | instskip(SKIP_1) | instid1(VALU_DEP_1)
	v_cndmask_b32_e32 v1, v37, v0, vcc_lo
	v_cndmask_b32_e32 v0, v36, v36, vcc_lo
	v_cmpx_nlt_f64_e32 0, v[0:1]
	s_xor_b32 s4, exec_lo, s4
	s_cbranch_execz .LBB125_32
; %bb.31:                               ;   in Loop: Header=BB125_10 Depth=1
	v_div_scale_f64 v[0:1], null, 0, 0, v[36:37]
	v_div_scale_f64 v[40:41], vcc_lo, v[36:37], 0, v[36:37]
	s_delay_alu instid0(VALU_DEP_2) | instskip(SKIP_2) | instid1(VALU_DEP_1)
	v_rcp_f64_e32 v[2:3], v[0:1]
	s_waitcnt_depctr 0xfff
	v_fma_f64 v[6:7], -v[0:1], v[2:3], 1.0
	v_fma_f64 v[2:3], v[2:3], v[6:7], v[2:3]
	s_delay_alu instid0(VALU_DEP_1) | instskip(NEXT) | instid1(VALU_DEP_1)
	v_fma_f64 v[6:7], -v[0:1], v[2:3], 1.0
	v_fma_f64 v[2:3], v[2:3], v[6:7], v[2:3]
	s_delay_alu instid0(VALU_DEP_1) | instskip(NEXT) | instid1(VALU_DEP_1)
	v_mul_f64 v[6:7], v[40:41], v[2:3]
	v_fma_f64 v[0:1], -v[0:1], v[6:7], v[40:41]
	s_delay_alu instid0(VALU_DEP_1) | instskip(NEXT) | instid1(VALU_DEP_1)
	v_div_fmas_f64 v[0:1], v[0:1], v[2:3], v[6:7]
	v_div_fixup_f64 v[0:1], v[0:1], 0, v[36:37]
	s_delay_alu instid0(VALU_DEP_1) | instskip(NEXT) | instid1(VALU_DEP_1)
	v_fma_f64 v[2:3], v[36:37], v[0:1], 0
	v_div_scale_f64 v[6:7], null, v[2:3], v[2:3], 1.0
	v_div_scale_f64 v[54:55], vcc_lo, 1.0, v[2:3], 1.0
	s_delay_alu instid0(VALU_DEP_2) | instskip(SKIP_2) | instid1(VALU_DEP_1)
	v_rcp_f64_e32 v[36:37], v[6:7]
	s_waitcnt_depctr 0xfff
	v_fma_f64 v[40:41], -v[6:7], v[36:37], 1.0
	v_fma_f64 v[36:37], v[36:37], v[40:41], v[36:37]
	s_delay_alu instid0(VALU_DEP_1) | instskip(NEXT) | instid1(VALU_DEP_1)
	v_fma_f64 v[40:41], -v[6:7], v[36:37], 1.0
	v_fma_f64 v[36:37], v[36:37], v[40:41], v[36:37]
	s_delay_alu instid0(VALU_DEP_1) | instskip(NEXT) | instid1(VALU_DEP_1)
	v_mul_f64 v[40:41], v[54:55], v[36:37]
	v_fma_f64 v[6:7], -v[6:7], v[40:41], v[54:55]
	s_delay_alu instid0(VALU_DEP_1) | instskip(SKIP_2) | instid1(VALU_DEP_3)
	v_div_fmas_f64 v[6:7], v[6:7], v[36:37], v[40:41]
	v_fma_f64 v[36:37], v[0:1], v[38:39], v[4:5]
	v_fma_f64 v[4:5], v[0:1], v[4:5], -v[38:39]
                                        ; implicit-def: $vgpr38_vgpr39
	v_div_fixup_f64 v[2:3], v[6:7], v[2:3], 1.0
	s_delay_alu instid0(VALU_DEP_1) | instskip(NEXT) | instid1(VALU_DEP_3)
	v_mul_f64 v[0:1], v[2:3], v[36:37]
	v_mul_f64 v[2:3], v[2:3], v[4:5]
                                        ; implicit-def: $vgpr36_vgpr37
                                        ; implicit-def: $vgpr4_vgpr5
.LBB125_32:                             ;   in Loop: Header=BB125_10 Depth=1
	s_and_not1_saveexec_b32 s4, s4
	s_cbranch_execz .LBB125_34
; %bb.33:                               ;   in Loop: Header=BB125_10 Depth=1
	v_div_scale_f64 v[0:1], null, v[36:37], v[36:37], 0
	v_div_scale_f64 v[40:41], vcc_lo, 0, v[36:37], 0
	s_delay_alu instid0(VALU_DEP_2) | instskip(SKIP_2) | instid1(VALU_DEP_1)
	v_rcp_f64_e32 v[2:3], v[0:1]
	s_waitcnt_depctr 0xfff
	v_fma_f64 v[6:7], -v[0:1], v[2:3], 1.0
	v_fma_f64 v[2:3], v[2:3], v[6:7], v[2:3]
	s_delay_alu instid0(VALU_DEP_1) | instskip(NEXT) | instid1(VALU_DEP_1)
	v_fma_f64 v[6:7], -v[0:1], v[2:3], 1.0
	v_fma_f64 v[2:3], v[2:3], v[6:7], v[2:3]
	s_delay_alu instid0(VALU_DEP_1) | instskip(NEXT) | instid1(VALU_DEP_1)
	v_mul_f64 v[6:7], v[40:41], v[2:3]
	v_fma_f64 v[0:1], -v[0:1], v[6:7], v[40:41]
	s_delay_alu instid0(VALU_DEP_1) | instskip(NEXT) | instid1(VALU_DEP_1)
	v_div_fmas_f64 v[0:1], v[0:1], v[2:3], v[6:7]
	v_div_fixup_f64 v[0:1], v[0:1], v[36:37], 0
	s_delay_alu instid0(VALU_DEP_1) | instskip(NEXT) | instid1(VALU_DEP_1)
	v_fma_f64 v[2:3], v[0:1], 0, v[36:37]
	v_div_scale_f64 v[6:7], null, v[2:3], v[2:3], 1.0
	v_div_scale_f64 v[54:55], vcc_lo, 1.0, v[2:3], 1.0
	s_delay_alu instid0(VALU_DEP_2) | instskip(SKIP_2) | instid1(VALU_DEP_1)
	v_rcp_f64_e32 v[36:37], v[6:7]
	s_waitcnt_depctr 0xfff
	v_fma_f64 v[40:41], -v[6:7], v[36:37], 1.0
	v_fma_f64 v[36:37], v[36:37], v[40:41], v[36:37]
	s_delay_alu instid0(VALU_DEP_1) | instskip(NEXT) | instid1(VALU_DEP_1)
	v_fma_f64 v[40:41], -v[6:7], v[36:37], 1.0
	v_fma_f64 v[36:37], v[36:37], v[40:41], v[36:37]
	s_delay_alu instid0(VALU_DEP_1) | instskip(NEXT) | instid1(VALU_DEP_1)
	v_mul_f64 v[40:41], v[54:55], v[36:37]
	v_fma_f64 v[6:7], -v[6:7], v[40:41], v[54:55]
	s_delay_alu instid0(VALU_DEP_1) | instskip(SKIP_2) | instid1(VALU_DEP_3)
	v_div_fmas_f64 v[6:7], v[6:7], v[36:37], v[40:41]
	v_fma_f64 v[36:37], v[0:1], v[4:5], v[38:39]
	v_fma_f64 v[4:5], -v[0:1], v[38:39], v[4:5]
	v_div_fixup_f64 v[2:3], v[6:7], v[2:3], 1.0
	s_delay_alu instid0(VALU_DEP_1) | instskip(NEXT) | instid1(VALU_DEP_3)
	v_mul_f64 v[0:1], v[2:3], v[36:37]
	v_mul_f64 v[2:3], v[2:3], v[4:5]
.LBB125_34:                             ;   in Loop: Header=BB125_10 Depth=1
	s_or_b32 exec_lo, exec_lo, s4
.LBB125_35:                             ;   in Loop: Header=BB125_10 Depth=1
	s_delay_alu instid0(SALU_CYCLE_1)
	s_or_b32 exec_lo, exec_lo, s10
	ds_store_b64 v44, v[34:35]
	ds_store_2addr_b64 v48, v[0:1], v[2:3] offset1:1
.LBB125_36:                             ;   in Loop: Header=BB125_10 Depth=1
	s_or_b32 exec_lo, exec_lo, s9
	s_and_b32 s4, s1, s3
	s_waitcnt lgkmcnt(0)
	s_waitcnt_vscnt null, 0x0
	s_barrier
	buffer_gl0_inv
	s_and_saveexec_b32 s9, s4
	s_cbranch_execz .LBB125_44
; %bb.37:                               ;   in Loop: Header=BB125_10 Depth=1
	ds_load_b64 v[34:35], v44
	ds_load_2addr_b64 v[0:3], v48 offset1:1
	s_and_not1_b32 vcc_lo, exec_lo, s20
	s_cbranch_vccnz .LBB125_41
; %bb.38:                               ;   in Loop: Header=BB125_10 Depth=1
	v_add_nc_u32_e32 v4, s16, v9
	s_delay_alu instid0(VALU_DEP_1) | instskip(NEXT) | instid1(VALU_DEP_1)
	v_add_nc_u32_e32 v9, v4, v43
	v_lshlrev_b64 v[5:6], 4, v[9:10]
	s_delay_alu instid0(VALU_DEP_1) | instskip(NEXT) | instid1(VALU_DEP_2)
	v_add_co_u32 v5, vcc_lo, s18, v5
	v_add_co_ci_u32_e32 v6, vcc_lo, s19, v6, vcc_lo
	s_clause 0x1
	flat_load_b128 v[30:33], v[12:13]
	flat_load_b128 v[36:39], v[5:6]
	s_waitcnt vmcnt(1) lgkmcnt(1)
	v_mul_f64 v[40:41], v[0:1], v[30:31]
	s_waitcnt vmcnt(0) lgkmcnt(0)
	v_mul_f64 v[54:55], v[2:3], v[38:39]
	v_mul_f64 v[56:57], v[2:3], v[36:37]
	;; [unrolled: 1-line block ×3, first 2 shown]
	s_delay_alu instid0(VALU_DEP_4) | instskip(NEXT) | instid1(VALU_DEP_4)
	v_fma_f64 v[40:41], v[2:3], v[32:33], -v[40:41]
	v_fma_f64 v[54:55], v[0:1], v[36:37], v[54:55]
	s_delay_alu instid0(VALU_DEP_4) | instskip(NEXT) | instid1(VALU_DEP_4)
	v_fma_f64 v[56:57], v[0:1], v[38:39], -v[56:57]
	v_fma_f64 v[58:59], v[30:31], -v[2:3], -v[58:59]
	s_delay_alu instid0(VALU_DEP_4) | instskip(NEXT) | instid1(VALU_DEP_4)
	v_fma_f64 v[36:37], v[34:35], v[36:37], v[40:41]
	v_fma_f64 v[30:31], v[34:35], v[30:31], v[54:55]
	s_delay_alu instid0(VALU_DEP_4) | instskip(NEXT) | instid1(VALU_DEP_4)
	v_fma_f64 v[32:33], v[34:35], v[32:33], v[56:57]
	v_fma_f64 v[38:39], v[34:35], v[38:39], v[58:59]
	s_clause 0x1
	flat_store_b128 v[12:13], v[30:33]
	flat_store_b128 v[5:6], v[36:39]
	s_and_saveexec_b32 s10, s2
	s_cbranch_execz .LBB125_40
; %bb.39:                               ;   in Loop: Header=BB125_10 Depth=1
	v_add_nc_u32_e32 v9, v4, v45
	s_delay_alu instid0(VALU_DEP_1) | instskip(NEXT) | instid1(VALU_DEP_1)
	v_lshlrev_b64 v[4:5], 4, v[9:10]
	v_add_co_u32 v36, vcc_lo, s18, v4
	s_delay_alu instid0(VALU_DEP_2)
	v_add_co_ci_u32_e32 v37, vcc_lo, s19, v5, vcc_lo
	s_clause 0x1
	flat_load_b128 v[4:7], v[14:15]
	flat_load_b128 v[30:33], v[36:37]
	s_waitcnt vmcnt(1) lgkmcnt(1)
	v_mul_f64 v[38:39], v[0:1], v[4:5]
	s_waitcnt vmcnt(0) lgkmcnt(0)
	v_mul_f64 v[40:41], v[2:3], v[32:33]
	v_mul_f64 v[54:55], v[2:3], v[30:31]
	;; [unrolled: 1-line block ×3, first 2 shown]
	s_delay_alu instid0(VALU_DEP_4) | instskip(NEXT) | instid1(VALU_DEP_4)
	v_fma_f64 v[38:39], v[2:3], v[6:7], -v[38:39]
	v_fma_f64 v[40:41], v[0:1], v[30:31], v[40:41]
	s_delay_alu instid0(VALU_DEP_4) | instskip(NEXT) | instid1(VALU_DEP_4)
	v_fma_f64 v[54:55], v[0:1], v[32:33], -v[54:55]
	v_fma_f64 v[56:57], v[4:5], -v[2:3], -v[56:57]
	s_delay_alu instid0(VALU_DEP_4) | instskip(NEXT) | instid1(VALU_DEP_4)
	v_fma_f64 v[30:31], v[34:35], v[30:31], v[38:39]
	v_fma_f64 v[4:5], v[34:35], v[4:5], v[40:41]
	s_delay_alu instid0(VALU_DEP_4) | instskip(NEXT) | instid1(VALU_DEP_4)
	v_fma_f64 v[6:7], v[34:35], v[6:7], v[54:55]
	v_fma_f64 v[32:33], v[34:35], v[32:33], v[56:57]
	s_clause 0x1
	flat_store_b128 v[14:15], v[4:7]
	flat_store_b128 v[36:37], v[30:33]
.LBB125_40:                             ;   in Loop: Header=BB125_10 Depth=1
	s_or_b32 exec_lo, exec_lo, s10
.LBB125_41:                             ;   in Loop: Header=BB125_10 Depth=1
	v_add_nc_u32_e32 v4, v53, v42
	s_delay_alu instid0(VALU_DEP_1) | instskip(NEXT) | instid1(VALU_DEP_1)
	v_ashrrev_i32_e32 v5, 31, v4
	v_lshlrev_b64 v[4:5], 4, v[4:5]
	s_delay_alu instid0(VALU_DEP_1) | instskip(NEXT) | instid1(VALU_DEP_2)
	v_add_co_u32 v36, vcc_lo, s12, v4
	v_add_co_ci_u32_e32 v37, vcc_lo, s13, v5, vcc_lo
	s_clause 0x1
	global_load_b128 v[4:7], v[20:21], off
	global_load_b128 v[30:33], v[36:37], off
	s_waitcnt vmcnt(1) lgkmcnt(0)
	v_mul_f64 v[38:39], v[0:1], v[4:5]
	s_waitcnt vmcnt(0)
	v_mul_f64 v[40:41], v[2:3], v[32:33]
	v_mul_f64 v[54:55], v[2:3], v[30:31]
	;; [unrolled: 1-line block ×3, first 2 shown]
	s_delay_alu instid0(VALU_DEP_4) | instskip(NEXT) | instid1(VALU_DEP_4)
	v_fma_f64 v[38:39], v[2:3], v[6:7], -v[38:39]
	v_fma_f64 v[40:41], v[0:1], v[30:31], v[40:41]
	s_delay_alu instid0(VALU_DEP_4) | instskip(NEXT) | instid1(VALU_DEP_4)
	v_fma_f64 v[54:55], v[0:1], v[32:33], -v[54:55]
	v_fma_f64 v[56:57], v[4:5], -v[2:3], -v[56:57]
	s_delay_alu instid0(VALU_DEP_4) | instskip(NEXT) | instid1(VALU_DEP_4)
	v_fma_f64 v[30:31], v[34:35], v[30:31], v[38:39]
	v_fma_f64 v[4:5], v[34:35], v[4:5], v[40:41]
	s_delay_alu instid0(VALU_DEP_4) | instskip(NEXT) | instid1(VALU_DEP_4)
	v_fma_f64 v[6:7], v[34:35], v[6:7], v[54:55]
	v_fma_f64 v[32:33], v[34:35], v[32:33], v[56:57]
	s_clause 0x1
	global_store_b128 v[20:21], v[4:7], off
	global_store_b128 v[36:37], v[30:33], off
	s_and_saveexec_b32 s10, s2
	s_cbranch_execz .LBB125_43
; %bb.42:                               ;   in Loop: Header=BB125_10 Depth=1
	v_add_nc_u32_e32 v4, v53, v46
	s_delay_alu instid0(VALU_DEP_1) | instskip(NEXT) | instid1(VALU_DEP_1)
	v_ashrrev_i32_e32 v5, 31, v4
	v_lshlrev_b64 v[4:5], 4, v[4:5]
	s_delay_alu instid0(VALU_DEP_1) | instskip(NEXT) | instid1(VALU_DEP_2)
	v_add_co_u32 v36, vcc_lo, s12, v4
	v_add_co_ci_u32_e32 v37, vcc_lo, s13, v5, vcc_lo
	s_clause 0x1
	global_load_b128 v[4:7], v[22:23], off
	global_load_b128 v[30:33], v[36:37], off
	s_waitcnt vmcnt(1)
	v_mul_f64 v[38:39], v[0:1], v[4:5]
	s_waitcnt vmcnt(0)
	v_mul_f64 v[40:41], v[2:3], v[32:33]
	v_mul_f64 v[53:54], v[2:3], v[30:31]
	;; [unrolled: 1-line block ×3, first 2 shown]
	s_delay_alu instid0(VALU_DEP_4) | instskip(NEXT) | instid1(VALU_DEP_4)
	v_fma_f64 v[38:39], v[2:3], v[6:7], -v[38:39]
	v_fma_f64 v[40:41], v[0:1], v[30:31], v[40:41]
	s_delay_alu instid0(VALU_DEP_4) | instskip(NEXT) | instid1(VALU_DEP_4)
	v_fma_f64 v[53:54], v[0:1], v[32:33], -v[53:54]
	v_fma_f64 v[55:56], v[4:5], -v[2:3], -v[55:56]
	s_delay_alu instid0(VALU_DEP_4) | instskip(NEXT) | instid1(VALU_DEP_4)
	v_fma_f64 v[30:31], v[34:35], v[30:31], v[38:39]
	v_fma_f64 v[4:5], v[34:35], v[4:5], v[40:41]
	s_delay_alu instid0(VALU_DEP_4) | instskip(NEXT) | instid1(VALU_DEP_4)
	v_fma_f64 v[6:7], v[34:35], v[6:7], v[53:54]
	v_fma_f64 v[32:33], v[34:35], v[32:33], v[55:56]
	s_clause 0x1
	global_store_b128 v[22:23], v[4:7], off
	global_store_b128 v[36:37], v[30:33], off
.LBB125_43:                             ;   in Loop: Header=BB125_10 Depth=1
	s_or_b32 exec_lo, exec_lo, s10
	v_dual_mov_b32 v30, v2 :: v_dual_mov_b32 v33, v1
	v_xor_b32_e32 v31, 0x80000000, v3
	v_mov_b32_e32 v32, v0
.LBB125_44:                             ;   in Loop: Header=BB125_10 Depth=1
	s_or_b32 exec_lo, exec_lo, s9
	s_waitcnt_vscnt null, 0x0
	s_barrier
	buffer_gl0_inv
	s_and_saveexec_b32 s9, s4
	s_cbranch_execz .LBB125_47
; %bb.45:                               ;   in Loop: Header=BB125_10 Depth=1
	v_add_nc_u32_e32 v4, v52, v49
	s_delay_alu instid0(VALU_DEP_1) | instskip(NEXT) | instid1(VALU_DEP_1)
	v_ashrrev_i32_e32 v5, 31, v4
	v_lshlrev_b64 v[4:5], 4, v[4:5]
	s_delay_alu instid0(VALU_DEP_1) | instskip(NEXT) | instid1(VALU_DEP_2)
	v_add_co_u32 v40, vcc_lo, s12, v4
	v_add_co_ci_u32_e32 v41, vcc_lo, s13, v5, vcc_lo
	s_clause 0x1
	global_load_b128 v[4:7], v[24:25], off
	global_load_b128 v[36:39], v[40:41], off
	s_waitcnt vmcnt(1)
	v_mul_f64 v[53:54], v[32:33], v[4:5]
	s_waitcnt vmcnt(0)
	v_mul_f64 v[55:56], v[2:3], v[38:39]
	v_mul_f64 v[57:58], v[0:1], v[38:39]
	v_mul_f64 v[59:60], v[32:33], v[6:7]
	s_delay_alu instid0(VALU_DEP_4) | instskip(NEXT) | instid1(VALU_DEP_4)
	v_fma_f64 v[53:54], v[30:31], v[6:7], -v[53:54]
	v_fma_f64 v[55:56], v[0:1], v[36:37], -v[55:56]
	s_delay_alu instid0(VALU_DEP_4) | instskip(NEXT) | instid1(VALU_DEP_4)
	v_fma_f64 v[57:58], v[2:3], v[36:37], v[57:58]
	v_fma_f64 v[59:60], v[4:5], -v[30:31], -v[59:60]
	s_delay_alu instid0(VALU_DEP_4) | instskip(NEXT) | instid1(VALU_DEP_4)
	v_fma_f64 v[36:37], v[34:35], v[36:37], v[53:54]
	v_fma_f64 v[4:5], v[34:35], v[4:5], v[55:56]
	s_delay_alu instid0(VALU_DEP_4) | instskip(NEXT) | instid1(VALU_DEP_4)
	v_fma_f64 v[6:7], v[34:35], v[6:7], v[57:58]
	v_fma_f64 v[38:39], v[34:35], v[38:39], v[59:60]
	s_clause 0x1
	global_store_b128 v[24:25], v[4:7], off
	global_store_b128 v[40:41], v[36:39], off
	s_and_b32 exec_lo, exec_lo, s2
	s_cbranch_execz .LBB125_47
; %bb.46:                               ;   in Loop: Header=BB125_10 Depth=1
	v_add_nc_u32_e32 v4, v52, v50
	s_delay_alu instid0(VALU_DEP_1) | instskip(NEXT) | instid1(VALU_DEP_1)
	v_ashrrev_i32_e32 v5, 31, v4
	v_lshlrev_b64 v[4:5], 4, v[4:5]
	s_delay_alu instid0(VALU_DEP_1) | instskip(NEXT) | instid1(VALU_DEP_2)
	v_add_co_u32 v40, vcc_lo, s12, v4
	v_add_co_ci_u32_e32 v41, vcc_lo, s13, v5, vcc_lo
	s_clause 0x1
	global_load_b128 v[4:7], v[28:29], off
	global_load_b128 v[36:39], v[40:41], off
	s_waitcnt vmcnt(1)
	v_mul_f64 v[53:54], v[32:33], v[4:5]
	s_waitcnt vmcnt(0)
	v_mul_f64 v[55:56], v[2:3], v[38:39]
	v_mul_f64 v[57:58], v[0:1], v[38:39]
	;; [unrolled: 1-line block ×3, first 2 shown]
	s_delay_alu instid0(VALU_DEP_4) | instskip(NEXT) | instid1(VALU_DEP_4)
	v_fma_f64 v[53:54], v[30:31], v[6:7], -v[53:54]
	v_fma_f64 v[55:56], v[0:1], v[36:37], -v[55:56]
	s_delay_alu instid0(VALU_DEP_4) | instskip(NEXT) | instid1(VALU_DEP_4)
	v_fma_f64 v[57:58], v[2:3], v[36:37], v[57:58]
	v_fma_f64 v[59:60], v[4:5], -v[30:31], -v[59:60]
	s_delay_alu instid0(VALU_DEP_4) | instskip(NEXT) | instid1(VALU_DEP_4)
	v_fma_f64 v[36:37], v[34:35], v[36:37], v[53:54]
	v_fma_f64 v[4:5], v[34:35], v[4:5], v[55:56]
	s_delay_alu instid0(VALU_DEP_4) | instskip(NEXT) | instid1(VALU_DEP_4)
	v_fma_f64 v[6:7], v[34:35], v[6:7], v[57:58]
	v_fma_f64 v[38:39], v[34:35], v[38:39], v[59:60]
	s_clause 0x1
	global_store_b128 v[28:29], v[4:7], off
	global_store_b128 v[40:41], v[36:39], off
.LBB125_47:                             ;   in Loop: Header=BB125_10 Depth=1
	s_or_b32 exec_lo, exec_lo, s9
	s_and_b32 s4, s0, s3
	s_waitcnt_vscnt null, 0x0
	s_barrier
	buffer_gl0_inv
	s_and_saveexec_b32 s3, s4
	s_cbranch_execz .LBB125_9
; %bb.48:                               ;   in Loop: Header=BB125_10 Depth=1
	v_mad_u64_u32 v[4:5], null, v52, s15, v[11:12]
	s_mov_b32 s9, s8
	s_mov_b32 s10, s8
	;; [unrolled: 1-line block ×3, first 2 shown]
	v_add_nc_u32_e32 v36, v52, v47
	s_delay_alu instid0(VALU_DEP_2) | instskip(NEXT) | instid1(VALU_DEP_1)
	v_ashrrev_i32_e32 v5, 31, v4
	v_lshlrev_b64 v[38:39], 4, v[4:5]
	v_dual_mov_b32 v4, s8 :: v_dual_mov_b32 v7, s11
	v_mov_b32_e32 v5, s9
	v_ashrrev_i32_e32 v37, 31, v36
	v_mov_b32_e32 v6, s10
	v_add_co_u32 v38, vcc_lo, s12, v38
	v_add_co_ci_u32_e32 v39, vcc_lo, s13, v39, vcc_lo
	s_delay_alu instid0(VALU_DEP_4) | instskip(NEXT) | instid1(VALU_DEP_1)
	v_lshlrev_b64 v[36:37], 4, v[36:37]
	v_add_co_u32 v36, vcc_lo, s12, v36
	s_delay_alu instid0(VALU_DEP_2)
	v_add_co_ci_u32_e32 v37, vcc_lo, s13, v37, vcc_lo
	s_clause 0x1
	global_store_b128 v[38:39], v[4:7], off
	global_store_b128 v[36:37], v[4:7], off
	s_branch .LBB125_9
.LBB125_49:
	s_endpgm
	.section	.rodata,"a",@progbits
	.p2align	6, 0x0
	.amdhsa_kernel _ZN9rocsolver6v33100L21syevj_offd_kernel_orgI19rocblas_complex_numIdEdPS3_EEviiT1_iilT0_PT_PiS9_S9_
		.amdhsa_group_segment_fixed_size 0
		.amdhsa_private_segment_fixed_size 0
		.amdhsa_kernarg_size 328
		.amdhsa_user_sgpr_count 14
		.amdhsa_user_sgpr_dispatch_ptr 0
		.amdhsa_user_sgpr_queue_ptr 0
		.amdhsa_user_sgpr_kernarg_segment_ptr 1
		.amdhsa_user_sgpr_dispatch_id 0
		.amdhsa_user_sgpr_private_segment_size 0
		.amdhsa_wavefront_size32 1
		.amdhsa_uses_dynamic_stack 0
		.amdhsa_enable_private_segment 0
		.amdhsa_system_sgpr_workgroup_id_x 1
		.amdhsa_system_sgpr_workgroup_id_y 0
		.amdhsa_system_sgpr_workgroup_id_z 1
		.amdhsa_system_sgpr_workgroup_info 0
		.amdhsa_system_vgpr_workitem_id 1
		.amdhsa_next_free_vgpr 61
		.amdhsa_next_free_sgpr 24
		.amdhsa_reserve_vcc 1
		.amdhsa_float_round_mode_32 0
		.amdhsa_float_round_mode_16_64 0
		.amdhsa_float_denorm_mode_32 3
		.amdhsa_float_denorm_mode_16_64 3
		.amdhsa_dx10_clamp 1
		.amdhsa_ieee_mode 1
		.amdhsa_fp16_overflow 0
		.amdhsa_workgroup_processor_mode 1
		.amdhsa_memory_ordered 1
		.amdhsa_forward_progress 0
		.amdhsa_shared_vgpr_count 0
		.amdhsa_exception_fp_ieee_invalid_op 0
		.amdhsa_exception_fp_denorm_src 0
		.amdhsa_exception_fp_ieee_div_zero 0
		.amdhsa_exception_fp_ieee_overflow 0
		.amdhsa_exception_fp_ieee_underflow 0
		.amdhsa_exception_fp_ieee_inexact 0
		.amdhsa_exception_int_div_zero 0
	.end_amdhsa_kernel
	.section	.text._ZN9rocsolver6v33100L21syevj_offd_kernel_orgI19rocblas_complex_numIdEdPS3_EEviiT1_iilT0_PT_PiS9_S9_,"axG",@progbits,_ZN9rocsolver6v33100L21syevj_offd_kernel_orgI19rocblas_complex_numIdEdPS3_EEviiT1_iilT0_PT_PiS9_S9_,comdat
.Lfunc_end125:
	.size	_ZN9rocsolver6v33100L21syevj_offd_kernel_orgI19rocblas_complex_numIdEdPS3_EEviiT1_iilT0_PT_PiS9_S9_, .Lfunc_end125-_ZN9rocsolver6v33100L21syevj_offd_kernel_orgI19rocblas_complex_numIdEdPS3_EEviiT1_iilT0_PT_PiS9_S9_
                                        ; -- End function
	.section	.AMDGPU.csdata,"",@progbits
; Kernel info:
; codeLenInByte = 5468
; NumSgprs: 26
; NumVgprs: 61
; ScratchSize: 0
; MemoryBound: 0
; FloatMode: 240
; IeeeMode: 1
; LDSByteSize: 0 bytes/workgroup (compile time only)
; SGPRBlocks: 3
; VGPRBlocks: 7
; NumSGPRsForWavesPerEU: 26
; NumVGPRsForWavesPerEU: 61
; Occupancy: 16
; WaveLimiterHint : 0
; COMPUTE_PGM_RSRC2:SCRATCH_EN: 0
; COMPUTE_PGM_RSRC2:USER_SGPR: 14
; COMPUTE_PGM_RSRC2:TRAP_HANDLER: 0
; COMPUTE_PGM_RSRC2:TGID_X_EN: 1
; COMPUTE_PGM_RSRC2:TGID_Y_EN: 0
; COMPUTE_PGM_RSRC2:TGID_Z_EN: 1
; COMPUTE_PGM_RSRC2:TIDIG_COMP_CNT: 1
	.section	.text._ZN9rocsolver6v33100L17syevj_offd_kernelI19rocblas_complex_numIdEdPS3_EEviiT1_iilT0_PT_PiS9_S9_i,"axG",@progbits,_ZN9rocsolver6v33100L17syevj_offd_kernelI19rocblas_complex_numIdEdPS3_EEviiT1_iilT0_PT_PiS9_S9_i,comdat
	.globl	_ZN9rocsolver6v33100L17syevj_offd_kernelI19rocblas_complex_numIdEdPS3_EEviiT1_iilT0_PT_PiS9_S9_i ; -- Begin function _ZN9rocsolver6v33100L17syevj_offd_kernelI19rocblas_complex_numIdEdPS3_EEviiT1_iilT0_PT_PiS9_S9_i
	.p2align	8
	.type	_ZN9rocsolver6v33100L17syevj_offd_kernelI19rocblas_complex_numIdEdPS3_EEviiT1_iilT0_PT_PiS9_S9_i,@function
_ZN9rocsolver6v33100L17syevj_offd_kernelI19rocblas_complex_numIdEdPS3_EEviiT1_iilT0_PT_PiS9_S9_i: ; @_ZN9rocsolver6v33100L17syevj_offd_kernelI19rocblas_complex_numIdEdPS3_EEviiT1_iilT0_PT_PiS9_S9_i
; %bb.0:
	s_mov_b32 s12, s15
	s_clause 0x1
	s_load_b64 s[24:25], s[0:1], 0x0
	s_load_b32 s15, s[0:1], 0x48
	s_waitcnt lgkmcnt(0)
	s_abs_i32 s2, s24
	s_cmp_ge_u32 s12, s15
	v_cvt_f32_u32_e32 v1, s2
	s_delay_alu instid0(VALU_DEP_1) | instskip(SKIP_2) | instid1(VALU_DEP_1)
	v_rcp_iflag_f32_e32 v1, v1
	s_waitcnt_depctr 0xfff
	v_mul_f32_e32 v1, 0x4f7ffffe, v1
	v_cvt_u32_f32_e32 v1, v1
	s_delay_alu instid0(VALU_DEP_1)
	v_readfirstlane_b32 s3, v1
	s_cbranch_scc1 .LBB126_92
; %bb.1:
	s_load_b256 s[4:11], s[0:1], 0x18
	s_mov_b32 s16, 0
	s_mov_b32 s17, 0x100000
	s_sub_i32 s30, 0, s2
	s_add_i32 s13, s25, -1
	s_mul_i32 s30, s30, s3
	s_ashr_i32 s29, s24, 31
	s_mul_i32 s36, s24, 24
	s_mul_hi_i32 s35, s24, 24
	s_mul_i32 s37, s24, s24
	v_bfe_u32 v20, v0, 10, 10
	v_and_b32_e32 v21, 0x3ff, v0
	s_delay_alu instid0(VALU_DEP_1)
	v_lshl_add_u32 v24, v21, 3, 0
	s_waitcnt lgkmcnt(0)
	v_div_scale_f64 v[1:2], null, s[6:7], s[6:7], 0x100000
	v_div_scale_f64 v[7:8], vcc_lo, s[16:17], s[6:7], s[16:17]
	s_clause 0x3
	s_load_b128 s[20:23], s[0:1], 0x8
	s_load_b128 s[16:19], s[0:1], 0x38
	s_load_b32 s28, s[0:1], 0x50
	s_load_b64 s[26:27], s[0:1], 0x58
	s_mul_hi_u32 s0, s3, s30
	s_abs_i32 s1, s13
	s_add_i32 s3, s3, s0
	s_delay_alu instid0(SALU_CYCLE_1)
	s_mul_hi_u32 s0, s1, s3
	s_ashr_i32 s3, s13, 31
	s_mul_i32 s13, s0, s2
	s_xor_b32 s3, s3, s29
	s_sub_i32 s1, s1, s13
	s_add_i32 s13, s0, 1
	s_sub_i32 s29, s1, s2
	s_cmp_ge_u32 s1, s2
	s_cselect_b32 s0, s13, s0
	s_cselect_b32 s1, s29, s1
	s_add_i32 s13, s0, 1
	s_cmp_ge_u32 s1, s2
	s_waitcnt lgkmcnt(0)
	s_mov_b32 s48, s23
	s_cselect_b32 s0, s13, s0
	s_lshl_b32 s1, s24, 3
	s_xor_b32 s0, s0, s3
	s_lshl_b32 s31, s24, 1
	s_sub_i32 s30, s0, s3
	s_add_i32 s13, s1, 0
	s_add_i32 s0, s30, 1
	s_mul_hi_i32 s1, s31, s31
	s_lshr_b32 s2, s0, 31
	s_lshl_b32 s3, s24, 4
	s_add_i32 s2, s0, s2
	s_lshr_b32 s29, s27, 16
	s_and_b32 s2, s2, -2
	s_and_b32 s27, s27, 0xffff
	s_sub_i32 s2, s0, s2
	v_rcp_f64_e32 v[3:4], v[1:2]
	s_add_i32 s2, s2, s0
	s_mul_i32 s0, s31, s31
	s_lshr_b32 s34, s2, 31
	s_lshl_b64 s[0:1], s[0:1], 4
	s_add_i32 s2, s2, s34
	s_add_i32 s33, s13, s3
	s_ashr_i32 s34, s2, 1
	s_add_u32 s0, s0, s36
	s_addc_u32 s1, s1, s35
	s_ashr_i32 s3, s22, 31
	s_lshl_b32 s35, s37, 2
	s_cmp_lt_u32 s14, s34
	s_mul_i32 s2, s30, s24
	s_cselect_b32 s36, -1, 0
	s_sub_i32 s37, s25, s2
	s_cmp_lg_u64 s[8:9], 0
	s_mov_b32 s2, s22
	s_cselect_b32 s38, -1, 0
	s_cmp_gt_i32 s24, 0
	v_cmp_lt_u64_e64 s47, 0x10000, s[0:1]
	s_cselect_b32 s39, -1, 0
	s_ashr_i32 s40, s23, 31
	s_add_u32 s41, s18, 4
	s_addc_u32 s42, s19, 0
	s_lshl_b64 s[2:3], s[2:3], 4
	v_cmp_gt_u32_e64 s0, s24, v20
	s_add_u32 s43, s20, s2
	s_addc_u32 s44, s21, s3
	s_sub_i32 s45, 0, s24
	s_mov_b64 s[2:3], src_shared_base
	v_cmp_gt_u32_e64 s1, s24, v21
	v_lshl_add_u32 v25, v21, 4, s13
	s_mul_i32 s2, s24, s29
	s_mov_b32 s20, 0
	s_mov_b32 s46, s3
	s_lshl_b32 s49, s2, 1
	s_lshl_b32 s50, s27, 3
	s_lshl_b32 s51, s27, 4
	s_waitcnt_depctr 0xfff
	v_fma_f64 v[5:6], -v[1:2], v[3:4], 1.0
	s_delay_alu instid0(VALU_DEP_1) | instskip(NEXT) | instid1(VALU_DEP_1)
	v_fma_f64 v[3:4], v[3:4], v[5:6], v[3:4]
	v_fma_f64 v[5:6], -v[1:2], v[3:4], 1.0
	s_delay_alu instid0(VALU_DEP_1) | instskip(NEXT) | instid1(VALU_DEP_1)
	v_fma_f64 v[3:4], v[3:4], v[5:6], v[3:4]
	v_mul_f64 v[5:6], v[7:8], v[3:4]
	s_delay_alu instid0(VALU_DEP_1) | instskip(SKIP_1) | instid1(VALU_DEP_1)
	v_fma_f64 v[1:2], -v[1:2], v[5:6], v[7:8]
	v_cvt_f32_u32_e32 v7, s24
	v_rcp_iflag_f32_e32 v7, v7
	s_delay_alu instid0(VALU_DEP_2) | instskip(SKIP_3) | instid1(VALU_DEP_2)
	v_div_fmas_f64 v[1:2], v[1:2], v[3:4], v[5:6]
	s_waitcnt_depctr 0xfff
	v_mul_f32_e32 v3, 0x4f7ffffe, v7
	v_div_fixup_f64 v[12:13], v[1:2], s[6:7], 0x100000
	v_cvt_u32_f32_e32 v1, v3
	v_add_nc_u32_e32 v3, s24, v20
	s_delay_alu instid0(VALU_DEP_2) | instskip(NEXT) | instid1(VALU_DEP_2)
	v_mul_lo_u32 v2, s45, v1
	v_mul_lo_u32 v4, s24, v3
	s_delay_alu instid0(VALU_DEP_2) | instskip(SKIP_1) | instid1(VALU_DEP_3)
	v_mul_hi_u32 v0, v1, v2
	v_mul_lo_u32 v2, v20, s24
	v_lshl_add_u32 v27, v4, 1, v21
	s_delay_alu instid0(VALU_DEP_3) | instskip(NEXT) | instid1(VALU_DEP_3)
	v_add_nc_u32_e32 v22, v1, v0
	v_lshlrev_b32_e32 v23, 1, v2
	s_delay_alu instid0(VALU_DEP_1)
	v_dual_mov_b32 v3, 0 :: v_dual_add_nc_u32 v26, v21, v23
	s_branch .LBB126_3
.LBB126_2:                              ;   in Loop: Header=BB126_3 Depth=1
	s_add_i32 s12, s12, s26
	s_delay_alu instid0(SALU_CYCLE_1)
	s_cmp_ge_u32 s12, s15
	s_cbranch_scc1 .LBB126_92
.LBB126_3:                              ; =>This Loop Header: Depth=1
                                        ;     Child Loop BB126_8 Depth 2
                                        ;       Child Loop BB126_16 Depth 3
                                        ;         Child Loop BB126_18 Depth 4
                                        ;       Child Loop BB126_23 Depth 3
                                        ;         Child Loop BB126_26 Depth 4
                                        ;           Child Loop BB126_31 Depth 5
                                        ;         Child Loop BB126_58 Depth 4
                                        ;           Child Loop BB126_61 Depth 5
	;; [unrolled: 2-line block ×4, first 2 shown]
                                        ;       Child Loop BB126_89 Depth 3
                                        ;         Child Loop BB126_91 Depth 4
	s_mov_b32 s13, s20
	s_delay_alu instid0(SALU_CYCLE_1) | instskip(NEXT) | instid1(SALU_CYCLE_1)
	s_lshl_b64 s[2:3], s[12:13], 2
	s_add_u32 s2, s41, s2
	s_addc_u32 s3, s42, s3
	global_load_b32 v0, v3, s[2:3]
	s_waitcnt vmcnt(0)
	v_cmp_ne_u32_e32 vcc_lo, 0, v0
	s_cbranch_vccnz .LBB126_2
; %bb.4:                                ;   in Loop: Header=BB126_3 Depth=1
	s_and_not1_b32 vcc_lo, exec_lo, s36
	s_cbranch_vccnz .LBB126_2
; %bb.5:                                ;   in Loop: Header=BB126_3 Depth=1
	s_mul_i32 s3, s12, s5
	s_mul_hi_u32 s6, s12, s4
	s_mul_i32 s2, s12, s4
	s_add_i32 s3, s6, s3
	s_mul_i32 s13, s12, s34
	s_lshl_b64 s[2:3], s[2:3], 4
	s_mov_b32 s6, s14
	s_add_u32 s52, s43, s2
	s_addc_u32 s53, s44, s3
	s_branch .LBB126_8
.LBB126_6:                              ;   in Loop: Header=BB126_8 Depth=2
	s_set_inst_prefetch_distance 0x2
	s_or_b32 exec_lo, exec_lo, s21
	s_waitcnt lgkmcnt(0)
	s_waitcnt_vscnt null, 0x0
	s_barrier
	buffer_gl0_inv
.LBB126_7:                              ;   in Loop: Header=BB126_8 Depth=2
	s_add_i32 s6, s6, s28
	s_delay_alu instid0(SALU_CYCLE_1)
	s_cmp_lt_u32 s6, s34
	s_cbranch_scc0 .LBB126_2
.LBB126_8:                              ;   Parent Loop BB126_3 Depth=1
                                        ; =>  This Loop Header: Depth=2
                                        ;       Child Loop BB126_16 Depth 3
                                        ;         Child Loop BB126_18 Depth 4
                                        ;       Child Loop BB126_23 Depth 3
                                        ;         Child Loop BB126_26 Depth 4
                                        ;           Child Loop BB126_31 Depth 5
                                        ;         Child Loop BB126_58 Depth 4
                                        ;           Child Loop BB126_61 Depth 5
                                        ;         Child Loop BB126_71 Depth 4
                                        ;           Child Loop BB126_74 Depth 5
                                        ;         Child Loop BB126_80 Depth 4
                                        ;           Child Loop BB126_83 Depth 5
                                        ;       Child Loop BB126_89 Depth 3
                                        ;         Child Loop BB126_91 Depth 4
	s_mov_b32 s7, s20
	s_delay_alu instid0(SALU_CYCLE_1) | instskip(NEXT) | instid1(SALU_CYCLE_1)
	s_lshl_b64 s[2:3], s[6:7], 2
	s_add_u32 s18, s10, s2
	s_addc_u32 s19, s11, s3
	s_add_u32 s2, s16, s2
	s_addc_u32 s3, s17, s3
	s_clause 0x1
	global_load_b32 v0, v3, s[18:19]
	global_load_b32 v1, v3, s[2:3]
	s_waitcnt vmcnt(1)
	v_readfirstlane_b32 s2, v0
	s_waitcnt vmcnt(0)
	v_readfirstlane_b32 s3, v1
	s_delay_alu instid0(VALU_DEP_1) | instskip(NEXT) | instid1(SALU_CYCLE_1)
	s_max_i32 s57, s2, s3
	s_cmp_gt_i32 s57, s30
	s_cbranch_scc1 .LBB126_7
; %bb.9:                                ;   in Loop: Header=BB126_8 Depth=2
	s_and_not1_b32 vcc_lo, exec_lo, s38
	s_cbranch_vccnz .LBB126_11
; %bb.10:                               ;   in Loop: Header=BB126_8 Depth=2
	s_add_i32 s2, s6, s13
	s_mov_b32 s3, s20
	s_mul_i32 s2, s35, s2
	s_delay_alu instid0(SALU_CYCLE_1) | instskip(NEXT) | instid1(SALU_CYCLE_1)
	s_lshl_b64 s[2:3], s[2:3], 4
	s_add_u32 s18, s8, s2
	s_addc_u32 s19, s9, s3
	s_branch .LBB126_12
.LBB126_11:                             ;   in Loop: Header=BB126_8 Depth=2
	s_mov_b64 s[18:19], 0
.LBB126_12:                             ;   in Loop: Header=BB126_8 Depth=2
	v_min_i32_e32 v4, v1, v0
	v_mov_b32_e32 v0, s37
	s_cmp_eq_u32 s30, s57
	s_cselect_b32 s2, s37, s24
	s_delay_alu instid0(VALU_DEP_2)
	v_cmp_eq_u32_e32 vcc_lo, s30, v4
	s_and_b32 s3, s47, exec_lo
	s_cselect_b32 s7, s19, s46
	s_cselect_b32 s54, s18, s33
	s_cmp_eq_u64 s[18:19], 0
	v_cndmask_b32_e32 v0, s24, v0, vcc_lo
	s_cselect_b32 s55, -1, 0
	s_cmp_lg_u64 s[18:19], 0
	s_cselect_b32 s56, -1, 0
	s_delay_alu instid0(VALU_DEP_1)
	v_add_nc_u32_e32 v28, s2, v0
	s_and_b32 vcc_lo, exec_lo, s55
	s_cbranch_vccnz .LBB126_20
; %bb.13:                               ;   in Loop: Header=BB126_8 Depth=2
	s_mov_b32 s21, exec_lo
	s_waitcnt_vscnt null, 0x0
	s_barrier
	buffer_gl0_inv
	v_cmpx_lt_u32_e64 v20, v28
	s_cbranch_execz .LBB126_19
; %bb.14:                               ;   in Loop: Header=BB126_8 Depth=2
	v_cmp_lt_u32_e32 vcc_lo, v21, v28
	v_dual_mov_b32 v5, v23 :: v_dual_mov_b32 v6, v20
	s_mov_b32 s22, 0
	s_set_inst_prefetch_distance 0x1
	s_branch .LBB126_16
	.p2align	6
.LBB126_15:                             ;   in Loop: Header=BB126_16 Depth=3
	s_or_b32 exec_lo, exec_lo, s23
	v_add_nc_u32_e32 v6, s29, v6
	v_add_nc_u32_e32 v5, s49, v5
	s_delay_alu instid0(VALU_DEP_2) | instskip(NEXT) | instid1(VALU_DEP_1)
	v_cmp_ge_u32_e64 s2, v6, v28
	s_or_b32 s22, s2, s22
	s_delay_alu instid0(SALU_CYCLE_1)
	s_and_not1_b32 exec_lo, exec_lo, s22
	s_cbranch_execz .LBB126_19
.LBB126_16:                             ;   Parent Loop BB126_3 Depth=1
                                        ;     Parent Loop BB126_8 Depth=2
                                        ; =>    This Loop Header: Depth=3
                                        ;         Child Loop BB126_18 Depth 4
	s_and_saveexec_b32 s23, vcc_lo
	s_cbranch_execz .LBB126_15
; %bb.17:                               ;   in Loop: Header=BB126_16 Depth=3
	v_mov_b32_e32 v7, v21
	s_mov_b32 s58, 0
	.p2align	6
.LBB126_18:                             ;   Parent Loop BB126_3 Depth=1
                                        ;     Parent Loop BB126_8 Depth=2
                                        ;       Parent Loop BB126_16 Depth=3
                                        ; =>      This Inner Loop Header: Depth=4
	s_delay_alu instid0(VALU_DEP_1) | instskip(SKIP_2) | instid1(VALU_DEP_3)
	v_add_nc_u32_e32 v2, v5, v7
	v_cmp_eq_u32_e64 s2, v6, v7
	v_dual_mov_b32 v0, v3 :: v_dual_add_nc_u32 v7, s27, v7
	v_lshlrev_b64 v[8:9], 4, v[2:3]
	s_delay_alu instid0(VALU_DEP_3) | instskip(SKIP_1) | instid1(VALU_DEP_4)
	v_cndmask_b32_e64 v1, 0, 0x3ff00000, s2
	v_mov_b32_e32 v2, v3
	v_cmp_ge_u32_e64 s2, v7, v28
	s_delay_alu instid0(VALU_DEP_4) | instskip(NEXT) | instid1(VALU_DEP_1)
	v_add_co_u32 v8, s3, s54, v8
	v_add_co_ci_u32_e64 v9, s3, s7, v9, s3
	s_delay_alu instid0(VALU_DEP_3)
	s_or_b32 s58, s2, s58
	flat_store_b128 v[8:9], v[0:3]
	s_and_not1_b32 exec_lo, exec_lo, s58
	s_cbranch_execnz .LBB126_18
	s_branch .LBB126_15
.LBB126_19:                             ;   in Loop: Header=BB126_8 Depth=2
	s_set_inst_prefetch_distance 0x2
	s_or_b32 exec_lo, exec_lo, s21
	s_waitcnt lgkmcnt(0)
	s_waitcnt_vscnt null, 0x0
	s_barrier
	buffer_gl0_inv
.LBB126_20:                             ;   in Loop: Header=BB126_8 Depth=2
	s_and_not1_b32 vcc_lo, exec_lo, s39
	s_cbranch_vccnz .LBB126_85
; %bb.21:                               ;   in Loop: Header=BB126_8 Depth=2
	v_mul_lo_u32 v29, v4, s24
	v_mov_b32_e32 v31, v21
	s_mul_i32 s57, s57, s24
	s_mov_b32 s58, 0
	s_delay_alu instid0(VALU_DEP_2)
	v_add_nc_u32_e32 v30, v21, v29
	s_branch .LBB126_23
.LBB126_22:                             ;   in Loop: Header=BB126_23 Depth=3
	s_or_b32 exec_lo, exec_lo, s3
	v_add_nc_u32_e32 v31, 1, v31
	s_add_i32 s58, s58, 1
	s_delay_alu instid0(SALU_CYCLE_1)
	s_cmp_eq_u32 s58, s24
	s_cbranch_scc1 .LBB126_85
.LBB126_23:                             ;   Parent Loop BB126_3 Depth=1
                                        ;     Parent Loop BB126_8 Depth=2
                                        ; =>    This Loop Header: Depth=3
                                        ;         Child Loop BB126_26 Depth 4
                                        ;           Child Loop BB126_31 Depth 5
                                        ;         Child Loop BB126_58 Depth 4
                                        ;           Child Loop BB126_61 Depth 5
	;; [unrolled: 2-line block ×4, first 2 shown]
	s_and_saveexec_b32 s21, s0
	s_cbranch_execz .LBB126_55
; %bb.24:                               ;   in Loop: Header=BB126_23 Depth=3
	v_mov_b32_e32 v32, v20
	s_mov_b32 s22, 0
	s_branch .LBB126_26
.LBB126_25:                             ;   in Loop: Header=BB126_26 Depth=4
	s_or_b32 exec_lo, exec_lo, s23
	v_add_nc_u32_e32 v32, s29, v32
	s_delay_alu instid0(VALU_DEP_1) | instskip(SKIP_1) | instid1(SALU_CYCLE_1)
	v_cmp_le_u32_e32 vcc_lo, s24, v32
	s_or_b32 s22, vcc_lo, s22
	s_and_not1_b32 exec_lo, exec_lo, s22
	s_cbranch_execz .LBB126_55
.LBB126_26:                             ;   Parent Loop BB126_3 Depth=1
                                        ;     Parent Loop BB126_8 Depth=2
                                        ;       Parent Loop BB126_23 Depth=3
                                        ; =>      This Loop Header: Depth=4
                                        ;           Child Loop BB126_31 Depth 5
	s_and_saveexec_b32 s23, s1
	s_cbranch_execz .LBB126_25
; %bb.27:                               ;   in Loop: Header=BB126_26 Depth=4
	v_cmp_eq_u32_e64 s2, 0, v32
	v_dual_mov_b32 v33, v25 :: v_dual_mov_b32 v34, v24
	v_dual_mov_b32 v35, v31 :: v_dual_mov_b32 v36, v21
	s_mov_b32 s59, 0
	s_branch .LBB126_31
.LBB126_28:                             ;   in Loop: Header=BB126_31 Depth=5
	s_or_b32 exec_lo, exec_lo, s3
.LBB126_29:                             ;   in Loop: Header=BB126_31 Depth=5
	s_delay_alu instid0(SALU_CYCLE_1)
	s_or_b32 exec_lo, exec_lo, s61
	ds_store_b64 v34, v[14:15]
	ds_store_2addr_b64 v33, v[8:9], v[18:19] offset1:1
.LBB126_30:                             ;   in Loop: Header=BB126_31 Depth=5
	s_or_b32 exec_lo, exec_lo, s60
	v_add_nc_u32_e32 v36, s27, v36
	v_add_nc_u32_e32 v35, s27, v35
	;; [unrolled: 1-line block ×4, first 2 shown]
	s_delay_alu instid0(VALU_DEP_4) | instskip(SKIP_1) | instid1(SALU_CYCLE_1)
	v_cmp_le_u32_e32 vcc_lo, s24, v36
	s_or_b32 s59, vcc_lo, s59
	s_and_not1_b32 exec_lo, exec_lo, s59
	s_cbranch_execz .LBB126_25
.LBB126_31:                             ;   Parent Loop BB126_3 Depth=1
                                        ;     Parent Loop BB126_8 Depth=2
                                        ;       Parent Loop BB126_23 Depth=3
                                        ;         Parent Loop BB126_26 Depth=4
                                        ; =>        This Inner Loop Header: Depth=5
	s_delay_alu instid0(VALU_DEP_1) | instskip(NEXT) | instid1(VALU_DEP_2)
	v_mul_hi_u32 v4, v22, v35
	v_add_nc_u32_e32 v0, s58, v36
	s_delay_alu instid0(VALU_DEP_1) | instskip(SKIP_2) | instid1(VALU_DEP_2)
	v_mad_u64_u32 v[1:2], null, s45, v4, v[0:1]
	v_not_b32_e32 v6, v4
	v_add_nc_u32_e32 v2, v29, v36
	v_mad_u64_u32 v[4:5], null, s24, v6, v[0:1]
	v_cmp_le_u32_e32 vcc_lo, s24, v1
	s_delay_alu instid0(VALU_DEP_2) | instskip(NEXT) | instid1(VALU_DEP_1)
	v_cndmask_b32_e32 v0, v1, v4, vcc_lo
	v_subrev_nc_u32_e32 v1, s24, v0
	v_cmp_le_u32_e32 vcc_lo, s24, v0
	s_delay_alu instid0(VALU_DEP_2) | instskip(SKIP_1) | instid1(VALU_DEP_2)
	v_cndmask_b32_e32 v0, v0, v1, vcc_lo
	v_cmp_gt_u32_e32 vcc_lo, s25, v2
	v_add_nc_u32_e32 v10, s57, v0
	s_and_b32 s60, s2, vcc_lo
	s_delay_alu instid0(VALU_DEP_1) | instskip(NEXT) | instid1(VALU_DEP_1)
	v_cmp_gt_u32_e64 s3, s25, v10
	s_and_b32 s3, s60, s3
	s_delay_alu instid0(SALU_CYCLE_1)
	s_and_saveexec_b32 s60, s3
	s_cbranch_execz .LBB126_30
; %bb.32:                               ;   in Loop: Header=BB126_31 Depth=5
	v_mad_u64_u32 v[0:1], null, v10, s48, 0
	v_lshlrev_b64 v[16:17], 4, v[2:3]
	s_mov_b32 s3, exec_lo
	s_delay_alu instid0(VALU_DEP_2) | instskip(NEXT) | instid1(VALU_DEP_1)
	v_mad_u64_u32 v[4:5], null, v10, s40, v[1:2]
	v_mov_b32_e32 v1, v4
	s_delay_alu instid0(VALU_DEP_1) | instskip(NEXT) | instid1(VALU_DEP_1)
	v_lshlrev_b64 v[0:1], 4, v[0:1]
	v_add_co_u32 v37, vcc_lo, s52, v0
	s_delay_alu instid0(VALU_DEP_2) | instskip(NEXT) | instid1(VALU_DEP_2)
	v_add_co_ci_u32_e32 v38, vcc_lo, s53, v1, vcc_lo
	v_add_co_u32 v0, vcc_lo, v37, v16
	s_delay_alu instid0(VALU_DEP_2)
	v_add_co_ci_u32_e32 v1, vcc_lo, v38, v17, vcc_lo
	global_load_b128 v[4:7], v[0:1], off
	s_waitcnt vmcnt(0)
	v_mov_b32_e32 v14, v6
	v_cmp_gt_f64_e32 vcc_lo, 0, v[4:5]
	v_xor_b32_e32 v0, 0x80000000, v5
	v_mov_b32_e32 v8, v4
	v_xor_b32_e32 v1, 0x80000000, v7
	s_delay_alu instid0(VALU_DEP_3) | instskip(SKIP_1) | instid1(VALU_DEP_3)
	v_cndmask_b32_e32 v9, v5, v0, vcc_lo
	v_cmp_gt_f64_e32 vcc_lo, 0, v[6:7]
	v_cndmask_b32_e32 v15, v7, v1, vcc_lo
                                        ; implicit-def: $vgpr0_vgpr1
	s_delay_alu instid0(VALU_DEP_1)
	v_cmpx_ngt_f64_e32 v[8:9], v[14:15]
	s_xor_b32 s3, exec_lo, s3
	s_cbranch_execz .LBB126_36
; %bb.33:                               ;   in Loop: Header=BB126_31 Depth=5
	v_mov_b32_e32 v0, 0
	v_mov_b32_e32 v1, 0
	s_mov_b32 s61, exec_lo
	v_cmpx_neq_f64_e32 0, v[6:7]
	s_cbranch_execz .LBB126_35
; %bb.34:                               ;   in Loop: Header=BB126_31 Depth=5
	v_div_scale_f64 v[0:1], null, v[14:15], v[14:15], v[8:9]
	v_div_scale_f64 v[41:42], vcc_lo, v[8:9], v[14:15], v[8:9]
	s_delay_alu instid0(VALU_DEP_2) | instskip(SKIP_2) | instid1(VALU_DEP_1)
	v_rcp_f64_e32 v[18:19], v[0:1]
	s_waitcnt_depctr 0xfff
	v_fma_f64 v[39:40], -v[0:1], v[18:19], 1.0
	v_fma_f64 v[18:19], v[18:19], v[39:40], v[18:19]
	s_delay_alu instid0(VALU_DEP_1) | instskip(NEXT) | instid1(VALU_DEP_1)
	v_fma_f64 v[39:40], -v[0:1], v[18:19], 1.0
	v_fma_f64 v[18:19], v[18:19], v[39:40], v[18:19]
	s_delay_alu instid0(VALU_DEP_1) | instskip(NEXT) | instid1(VALU_DEP_1)
	v_mul_f64 v[39:40], v[41:42], v[18:19]
	v_fma_f64 v[0:1], -v[0:1], v[39:40], v[41:42]
	s_delay_alu instid0(VALU_DEP_1) | instskip(NEXT) | instid1(VALU_DEP_1)
	v_div_fmas_f64 v[0:1], v[0:1], v[18:19], v[39:40]
	v_div_fixup_f64 v[0:1], v[0:1], v[14:15], v[8:9]
	s_delay_alu instid0(VALU_DEP_1) | instskip(NEXT) | instid1(VALU_DEP_1)
	v_fma_f64 v[0:1], v[0:1], v[0:1], 1.0
	v_cmp_gt_f64_e32 vcc_lo, 0x10000000, v[0:1]
	v_cndmask_b32_e64 v8, 0, 1, vcc_lo
	v_cndmask_b32_e64 v11, 0, 0xffffff80, vcc_lo
	s_delay_alu instid0(VALU_DEP_2) | instskip(NEXT) | instid1(VALU_DEP_1)
	v_lshlrev_b32_e32 v8, 8, v8
	v_ldexp_f64 v[0:1], v[0:1], v8
	s_delay_alu instid0(VALU_DEP_1) | instskip(SKIP_4) | instid1(VALU_DEP_1)
	v_rsq_f64_e32 v[8:9], v[0:1]
	v_cmp_class_f64_e64 vcc_lo, v[0:1], 0x260
	s_waitcnt_depctr 0xfff
	v_mul_f64 v[18:19], v[0:1], v[8:9]
	v_mul_f64 v[8:9], v[8:9], 0.5
	v_fma_f64 v[39:40], -v[8:9], v[18:19], 0.5
	s_delay_alu instid0(VALU_DEP_1) | instskip(SKIP_1) | instid1(VALU_DEP_2)
	v_fma_f64 v[18:19], v[18:19], v[39:40], v[18:19]
	v_fma_f64 v[8:9], v[8:9], v[39:40], v[8:9]
	v_fma_f64 v[39:40], -v[18:19], v[18:19], v[0:1]
	s_delay_alu instid0(VALU_DEP_1) | instskip(NEXT) | instid1(VALU_DEP_1)
	v_fma_f64 v[18:19], v[39:40], v[8:9], v[18:19]
	v_fma_f64 v[39:40], -v[18:19], v[18:19], v[0:1]
	s_delay_alu instid0(VALU_DEP_1) | instskip(NEXT) | instid1(VALU_DEP_1)
	v_fma_f64 v[8:9], v[39:40], v[8:9], v[18:19]
	v_ldexp_f64 v[8:9], v[8:9], v11
	s_delay_alu instid0(VALU_DEP_1) | instskip(NEXT) | instid1(VALU_DEP_1)
	v_dual_cndmask_b32 v1, v9, v1 :: v_dual_cndmask_b32 v0, v8, v0
	v_mul_f64 v[0:1], v[14:15], v[0:1]
.LBB126_35:                             ;   in Loop: Header=BB126_31 Depth=5
	s_or_b32 exec_lo, exec_lo, s61
                                        ; implicit-def: $vgpr8_vgpr9
                                        ; implicit-def: $vgpr14_vgpr15
.LBB126_36:                             ;   in Loop: Header=BB126_31 Depth=5
	s_and_not1_saveexec_b32 s3, s3
	s_cbranch_execz .LBB126_38
; %bb.37:                               ;   in Loop: Header=BB126_31 Depth=5
	v_div_scale_f64 v[0:1], null, v[8:9], v[8:9], v[14:15]
	v_div_scale_f64 v[41:42], vcc_lo, v[14:15], v[8:9], v[14:15]
	s_delay_alu instid0(VALU_DEP_2) | instskip(SKIP_2) | instid1(VALU_DEP_1)
	v_rcp_f64_e32 v[18:19], v[0:1]
	s_waitcnt_depctr 0xfff
	v_fma_f64 v[39:40], -v[0:1], v[18:19], 1.0
	v_fma_f64 v[18:19], v[18:19], v[39:40], v[18:19]
	s_delay_alu instid0(VALU_DEP_1) | instskip(NEXT) | instid1(VALU_DEP_1)
	v_fma_f64 v[39:40], -v[0:1], v[18:19], 1.0
	v_fma_f64 v[18:19], v[18:19], v[39:40], v[18:19]
	s_delay_alu instid0(VALU_DEP_1) | instskip(NEXT) | instid1(VALU_DEP_1)
	v_mul_f64 v[39:40], v[41:42], v[18:19]
	v_fma_f64 v[0:1], -v[0:1], v[39:40], v[41:42]
	s_delay_alu instid0(VALU_DEP_1) | instskip(NEXT) | instid1(VALU_DEP_1)
	v_div_fmas_f64 v[0:1], v[0:1], v[18:19], v[39:40]
	v_div_fixup_f64 v[0:1], v[0:1], v[8:9], v[14:15]
	s_delay_alu instid0(VALU_DEP_1) | instskip(NEXT) | instid1(VALU_DEP_1)
	v_fma_f64 v[0:1], v[0:1], v[0:1], 1.0
	v_cmp_gt_f64_e32 vcc_lo, 0x10000000, v[0:1]
	v_cndmask_b32_e64 v11, 0, 1, vcc_lo
	s_delay_alu instid0(VALU_DEP_1) | instskip(NEXT) | instid1(VALU_DEP_1)
	v_lshlrev_b32_e32 v11, 8, v11
	v_ldexp_f64 v[0:1], v[0:1], v11
	v_cndmask_b32_e64 v11, 0, 0xffffff80, vcc_lo
	s_delay_alu instid0(VALU_DEP_2) | instskip(SKIP_4) | instid1(VALU_DEP_1)
	v_rsq_f64_e32 v[14:15], v[0:1]
	v_cmp_class_f64_e64 vcc_lo, v[0:1], 0x260
	s_waitcnt_depctr 0xfff
	v_mul_f64 v[18:19], v[0:1], v[14:15]
	v_mul_f64 v[14:15], v[14:15], 0.5
	v_fma_f64 v[39:40], -v[14:15], v[18:19], 0.5
	s_delay_alu instid0(VALU_DEP_1) | instskip(SKIP_1) | instid1(VALU_DEP_2)
	v_fma_f64 v[18:19], v[18:19], v[39:40], v[18:19]
	v_fma_f64 v[14:15], v[14:15], v[39:40], v[14:15]
	v_fma_f64 v[39:40], -v[18:19], v[18:19], v[0:1]
	s_delay_alu instid0(VALU_DEP_1) | instskip(NEXT) | instid1(VALU_DEP_1)
	v_fma_f64 v[18:19], v[39:40], v[14:15], v[18:19]
	v_fma_f64 v[39:40], -v[18:19], v[18:19], v[0:1]
	s_delay_alu instid0(VALU_DEP_1) | instskip(NEXT) | instid1(VALU_DEP_1)
	v_fma_f64 v[14:15], v[39:40], v[14:15], v[18:19]
	v_ldexp_f64 v[14:15], v[14:15], v11
	s_delay_alu instid0(VALU_DEP_1) | instskip(NEXT) | instid1(VALU_DEP_1)
	v_dual_cndmask_b32 v0, v14, v0 :: v_dual_cndmask_b32 v1, v15, v1
	v_mul_f64 v[0:1], v[8:9], v[0:1]
.LBB126_38:                             ;   in Loop: Header=BB126_31 Depth=5
	s_or_b32 exec_lo, exec_lo, s3
	s_delay_alu instid0(VALU_DEP_1) | instskip(SKIP_3) | instid1(VALU_DEP_4)
	v_mul_f64 v[8:9], v[0:1], v[0:1]
	v_mov_b32_e32 v18, 0
	v_dual_mov_b32 v19, 0 :: v_dual_mov_b32 v14, 0
	v_mov_b32_e32 v15, 0x3ff00000
	v_cmp_nlt_f64_e32 vcc_lo, v[8:9], v[12:13]
	s_delay_alu instid0(VALU_DEP_3)
	v_dual_mov_b32 v8, v18 :: v_dual_mov_b32 v9, v19
	s_and_saveexec_b32 s61, vcc_lo
	s_cbranch_execz .LBB126_29
; %bb.39:                               ;   in Loop: Header=BB126_31 Depth=5
	v_mad_u64_u32 v[8:9], null, v2, s48, 0
	v_mov_b32_e32 v11, v3
	s_delay_alu instid0(VALU_DEP_2) | instskip(NEXT) | instid1(VALU_DEP_1)
	v_mad_u64_u32 v[14:15], null, v2, s40, v[9:10]
	v_mov_b32_e32 v9, v14
	s_delay_alu instid0(VALU_DEP_1) | instskip(NEXT) | instid1(VALU_DEP_1)
	v_lshlrev_b64 v[8:9], 4, v[8:9]
	v_add_co_u32 v2, vcc_lo, s52, v8
	s_delay_alu instid0(VALU_DEP_2) | instskip(SKIP_1) | instid1(VALU_DEP_3)
	v_add_co_ci_u32_e32 v14, vcc_lo, s53, v9, vcc_lo
	v_lshlrev_b64 v[8:9], 4, v[10:11]
	v_add_co_u32 v10, vcc_lo, v2, v16
	s_delay_alu instid0(VALU_DEP_3) | instskip(NEXT) | instid1(VALU_DEP_3)
	v_add_co_ci_u32_e32 v11, vcc_lo, v14, v17, vcc_lo
	v_add_co_u32 v8, vcc_lo, v37, v8
	s_delay_alu instid0(VALU_DEP_4) | instskip(SKIP_4) | instid1(VALU_DEP_1)
	v_add_co_ci_u32_e32 v9, vcc_lo, v38, v9, vcc_lo
	s_clause 0x1
	global_load_b64 v[10:11], v[10:11], off
	global_load_b64 v[14:15], v[8:9], off
	v_add_f64 v[8:9], v[0:1], v[0:1]
	v_cmp_class_f64_e64 s62, v[8:9], 0x204
	s_waitcnt vmcnt(0)
	v_add_f64 v[10:11], v[14:15], -v[10:11]
	s_delay_alu instid0(VALU_DEP_1) | instskip(SKIP_2) | instid1(VALU_DEP_3)
	v_max_f64 v[14:15], |v[10:11]|, |v[8:9]|
	v_cmp_ngt_f64_e64 s3, 0, v[10:11]
	v_cmp_class_f64_e64 s63, v[10:11], 0x204
	v_frexp_exp_i32_f64_e32 v2, v[14:15]
	s_delay_alu instid0(VALU_DEP_1) | instskip(NEXT) | instid1(VALU_DEP_1)
	v_sub_nc_u32_e32 v16, 0, v2
	v_ldexp_f64 v[14:15], |v[8:9]|, v16
	v_ldexp_f64 v[16:17], |v[10:11]|, v16
	s_delay_alu instid0(VALU_DEP_2) | instskip(NEXT) | instid1(VALU_DEP_1)
	v_mul_f64 v[14:15], v[14:15], v[14:15]
	v_fma_f64 v[14:15], v[16:17], v[16:17], v[14:15]
	s_delay_alu instid0(VALU_DEP_1) | instskip(SKIP_4) | instid1(VALU_DEP_1)
	v_rsq_f64_e32 v[16:17], v[14:15]
	v_cmp_eq_f64_e32 vcc_lo, 0, v[14:15]
	s_waitcnt_depctr 0xfff
	v_mul_f64 v[18:19], v[14:15], v[16:17]
	v_mul_f64 v[16:17], v[16:17], 0.5
	v_fma_f64 v[37:38], -v[16:17], v[18:19], 0.5
	s_delay_alu instid0(VALU_DEP_1) | instskip(SKIP_1) | instid1(VALU_DEP_2)
	v_fma_f64 v[18:19], v[18:19], v[37:38], v[18:19]
	v_fma_f64 v[16:17], v[16:17], v[37:38], v[16:17]
	v_fma_f64 v[37:38], -v[18:19], v[18:19], v[14:15]
	s_delay_alu instid0(VALU_DEP_1) | instskip(NEXT) | instid1(VALU_DEP_1)
	v_fma_f64 v[16:17], v[37:38], v[16:17], v[18:19]
	v_dual_cndmask_b32 v14, v16, v14 :: v_dual_cndmask_b32 v15, v17, v15
                                        ; implicit-def: $vgpr16_vgpr17
	s_and_saveexec_b32 s64, s3
	s_delay_alu instid0(SALU_CYCLE_1)
	s_xor_b32 s3, exec_lo, s64
; %bb.40:                               ;   in Loop: Header=BB126_31 Depth=5
	s_delay_alu instid0(VALU_DEP_1) | instskip(SKIP_2) | instid1(VALU_DEP_2)
	v_ldexp_f64 v[14:15], v[14:15], v2
	v_cmp_o_f64_e32 vcc_lo, v[10:11], v[8:9]
	s_or_b32 s64, s62, s63
	v_cndmask_b32_e32 v2, 0, v14, vcc_lo
	s_delay_alu instid0(VALU_DEP_3) | instskip(NEXT) | instid1(VALU_DEP_2)
	v_cndmask_b32_e32 v14, 0x7ff80000, v15, vcc_lo
	v_cndmask_b32_e64 v16, v2, 0, s64
	s_delay_alu instid0(VALU_DEP_2)
	v_cndmask_b32_e64 v17, v14, 0x7ff00000, s64
                                        ; implicit-def: $vgpr14_vgpr15
                                        ; implicit-def: $vgpr2
; %bb.41:                               ;   in Loop: Header=BB126_31 Depth=5
	s_and_not1_saveexec_b32 s3, s3
; %bb.42:                               ;   in Loop: Header=BB126_31 Depth=5
	v_ldexp_f64 v[14:15], -v[14:15], v2
	v_cmp_o_f64_e32 vcc_lo, v[8:9], v[8:9]
	s_or_b32 s62, s62, s63
	s_delay_alu instid0(VALU_DEP_2) | instskip(NEXT) | instid1(VALU_DEP_3)
	v_cndmask_b32_e32 v2, 0, v14, vcc_lo
	v_cndmask_b32_e32 v14, 0xfff80000, v15, vcc_lo
	s_delay_alu instid0(VALU_DEP_2) | instskip(NEXT) | instid1(VALU_DEP_2)
	v_cndmask_b32_e64 v16, v2, 0, s62
	v_cndmask_b32_e64 v17, v14, 0xfff00000, s62
; %bb.43:                               ;   in Loop: Header=BB126_31 Depth=5
	s_or_b32 exec_lo, exec_lo, s3
	v_mov_b32_e32 v18, 0
	v_dual_mov_b32 v19, 0 :: v_dual_mov_b32 v14, 0
	v_mov_b32_e32 v15, 0x3ff00000
	s_mov_b32 s3, exec_lo
	v_cmpx_neq_f64_e32 0, v[8:9]
	s_cbranch_execz .LBB126_51
; %bb.44:                               ;   in Loop: Header=BB126_31 Depth=5
	v_add_f64 v[10:11], v[10:11], v[16:17]
	v_mov_b32_e32 v14, 0
	v_dual_mov_b32 v15, 0 :: v_dual_mov_b32 v18, 0
	v_mov_b32_e32 v19, 0x3ff00000
	s_mov_b32 s62, exec_lo
	s_delay_alu instid0(VALU_DEP_4)
	v_cmpx_neq_f64_e32 0, v[10:11]
	s_cbranch_execz .LBB126_50
; %bb.45:                               ;   in Loop: Header=BB126_31 Depth=5
	v_cmp_ngt_f64_e64 s63, |v[8:9]|, |v[10:11]|
                                        ; implicit-def: $vgpr14_vgpr15
                                        ; implicit-def: $vgpr18_vgpr19
	s_delay_alu instid0(VALU_DEP_1) | instskip(NEXT) | instid1(SALU_CYCLE_1)
	s_and_saveexec_b32 s64, s63
	s_xor_b32 s63, exec_lo, s64
	s_cbranch_execz .LBB126_47
; %bb.46:                               ;   in Loop: Header=BB126_31 Depth=5
	v_div_scale_f64 v[14:15], null, v[10:11], v[10:11], -v[8:9]
	v_div_scale_f64 v[37:38], vcc_lo, -v[8:9], v[10:11], -v[8:9]
	s_delay_alu instid0(VALU_DEP_2) | instskip(SKIP_2) | instid1(VALU_DEP_1)
	v_rcp_f64_e32 v[16:17], v[14:15]
	s_waitcnt_depctr 0xfff
	v_fma_f64 v[18:19], -v[14:15], v[16:17], 1.0
	v_fma_f64 v[16:17], v[16:17], v[18:19], v[16:17]
	s_delay_alu instid0(VALU_DEP_1) | instskip(NEXT) | instid1(VALU_DEP_1)
	v_fma_f64 v[18:19], -v[14:15], v[16:17], 1.0
	v_fma_f64 v[16:17], v[16:17], v[18:19], v[16:17]
	s_delay_alu instid0(VALU_DEP_1) | instskip(NEXT) | instid1(VALU_DEP_1)
	v_mul_f64 v[18:19], v[37:38], v[16:17]
	v_fma_f64 v[14:15], -v[14:15], v[18:19], v[37:38]
	s_delay_alu instid0(VALU_DEP_1) | instskip(NEXT) | instid1(VALU_DEP_1)
	v_div_fmas_f64 v[14:15], v[14:15], v[16:17], v[18:19]
	v_div_fixup_f64 v[8:9], v[14:15], v[10:11], -v[8:9]
	s_delay_alu instid0(VALU_DEP_1) | instskip(NEXT) | instid1(VALU_DEP_1)
	v_fma_f64 v[10:11], v[8:9], v[8:9], 1.0
	v_cmp_gt_f64_e32 vcc_lo, 0x10000000, v[10:11]
	v_cndmask_b32_e64 v2, 0, 1, vcc_lo
	s_delay_alu instid0(VALU_DEP_1) | instskip(NEXT) | instid1(VALU_DEP_1)
	v_lshlrev_b32_e32 v2, 8, v2
	v_ldexp_f64 v[10:11], v[10:11], v2
	v_cndmask_b32_e64 v2, 0, 0xffffff80, vcc_lo
	s_delay_alu instid0(VALU_DEP_2) | instskip(SKIP_4) | instid1(VALU_DEP_1)
	v_rsq_f64_e32 v[14:15], v[10:11]
	v_cmp_class_f64_e64 vcc_lo, v[10:11], 0x260
	s_waitcnt_depctr 0xfff
	v_mul_f64 v[16:17], v[10:11], v[14:15]
	v_mul_f64 v[14:15], v[14:15], 0.5
	v_fma_f64 v[18:19], -v[14:15], v[16:17], 0.5
	s_delay_alu instid0(VALU_DEP_1) | instskip(SKIP_1) | instid1(VALU_DEP_2)
	v_fma_f64 v[16:17], v[16:17], v[18:19], v[16:17]
	v_fma_f64 v[14:15], v[14:15], v[18:19], v[14:15]
	v_fma_f64 v[18:19], -v[16:17], v[16:17], v[10:11]
	s_delay_alu instid0(VALU_DEP_1) | instskip(NEXT) | instid1(VALU_DEP_1)
	v_fma_f64 v[16:17], v[18:19], v[14:15], v[16:17]
	v_fma_f64 v[18:19], -v[16:17], v[16:17], v[10:11]
	s_delay_alu instid0(VALU_DEP_1) | instskip(NEXT) | instid1(VALU_DEP_1)
	v_fma_f64 v[14:15], v[18:19], v[14:15], v[16:17]
	v_ldexp_f64 v[14:15], v[14:15], v2
	s_delay_alu instid0(VALU_DEP_1) | instskip(NEXT) | instid1(VALU_DEP_1)
	v_dual_cndmask_b32 v11, v15, v11 :: v_dual_cndmask_b32 v10, v14, v10
	v_div_scale_f64 v[14:15], null, v[10:11], v[10:11], 1.0
	s_delay_alu instid0(VALU_DEP_1) | instskip(SKIP_2) | instid1(VALU_DEP_1)
	v_rcp_f64_e32 v[16:17], v[14:15]
	s_waitcnt_depctr 0xfff
	v_fma_f64 v[18:19], -v[14:15], v[16:17], 1.0
	v_fma_f64 v[16:17], v[16:17], v[18:19], v[16:17]
	s_delay_alu instid0(VALU_DEP_1) | instskip(NEXT) | instid1(VALU_DEP_1)
	v_fma_f64 v[18:19], -v[14:15], v[16:17], 1.0
	v_fma_f64 v[16:17], v[16:17], v[18:19], v[16:17]
	v_div_scale_f64 v[18:19], vcc_lo, 1.0, v[10:11], 1.0
	s_delay_alu instid0(VALU_DEP_1) | instskip(NEXT) | instid1(VALU_DEP_1)
	v_mul_f64 v[37:38], v[18:19], v[16:17]
	v_fma_f64 v[14:15], -v[14:15], v[37:38], v[18:19]
	s_delay_alu instid0(VALU_DEP_1) | instskip(NEXT) | instid1(VALU_DEP_1)
	v_div_fmas_f64 v[14:15], v[14:15], v[16:17], v[37:38]
	v_div_fixup_f64 v[14:15], v[14:15], v[10:11], 1.0
                                        ; implicit-def: $vgpr10_vgpr11
	s_delay_alu instid0(VALU_DEP_1)
	v_mul_f64 v[18:19], v[8:9], v[14:15]
                                        ; implicit-def: $vgpr8_vgpr9
.LBB126_47:                             ;   in Loop: Header=BB126_31 Depth=5
	s_and_not1_saveexec_b32 s63, s63
	s_cbranch_execz .LBB126_49
; %bb.48:                               ;   in Loop: Header=BB126_31 Depth=5
	v_div_scale_f64 v[14:15], null, v[8:9], v[8:9], -v[10:11]
	v_div_scale_f64 v[37:38], vcc_lo, -v[10:11], v[8:9], -v[10:11]
	s_delay_alu instid0(VALU_DEP_2) | instskip(SKIP_2) | instid1(VALU_DEP_1)
	v_rcp_f64_e32 v[16:17], v[14:15]
	s_waitcnt_depctr 0xfff
	v_fma_f64 v[18:19], -v[14:15], v[16:17], 1.0
	v_fma_f64 v[16:17], v[16:17], v[18:19], v[16:17]
	s_delay_alu instid0(VALU_DEP_1) | instskip(NEXT) | instid1(VALU_DEP_1)
	v_fma_f64 v[18:19], -v[14:15], v[16:17], 1.0
	v_fma_f64 v[16:17], v[16:17], v[18:19], v[16:17]
	s_delay_alu instid0(VALU_DEP_1) | instskip(NEXT) | instid1(VALU_DEP_1)
	v_mul_f64 v[18:19], v[37:38], v[16:17]
	v_fma_f64 v[14:15], -v[14:15], v[18:19], v[37:38]
	s_delay_alu instid0(VALU_DEP_1) | instskip(NEXT) | instid1(VALU_DEP_1)
	v_div_fmas_f64 v[14:15], v[14:15], v[16:17], v[18:19]
	v_div_fixup_f64 v[8:9], v[14:15], v[8:9], -v[10:11]
	s_delay_alu instid0(VALU_DEP_1) | instskip(NEXT) | instid1(VALU_DEP_1)
	v_fma_f64 v[10:11], v[8:9], v[8:9], 1.0
	v_cmp_gt_f64_e32 vcc_lo, 0x10000000, v[10:11]
	v_cndmask_b32_e64 v2, 0, 1, vcc_lo
	s_delay_alu instid0(VALU_DEP_1) | instskip(NEXT) | instid1(VALU_DEP_1)
	v_lshlrev_b32_e32 v2, 8, v2
	v_ldexp_f64 v[10:11], v[10:11], v2
	v_cndmask_b32_e64 v2, 0, 0xffffff80, vcc_lo
	s_delay_alu instid0(VALU_DEP_2) | instskip(SKIP_4) | instid1(VALU_DEP_1)
	v_rsq_f64_e32 v[14:15], v[10:11]
	v_cmp_class_f64_e64 vcc_lo, v[10:11], 0x260
	s_waitcnt_depctr 0xfff
	v_mul_f64 v[16:17], v[10:11], v[14:15]
	v_mul_f64 v[14:15], v[14:15], 0.5
	v_fma_f64 v[18:19], -v[14:15], v[16:17], 0.5
	s_delay_alu instid0(VALU_DEP_1) | instskip(SKIP_1) | instid1(VALU_DEP_2)
	v_fma_f64 v[16:17], v[16:17], v[18:19], v[16:17]
	v_fma_f64 v[14:15], v[14:15], v[18:19], v[14:15]
	v_fma_f64 v[18:19], -v[16:17], v[16:17], v[10:11]
	s_delay_alu instid0(VALU_DEP_1) | instskip(NEXT) | instid1(VALU_DEP_1)
	v_fma_f64 v[16:17], v[18:19], v[14:15], v[16:17]
	v_fma_f64 v[18:19], -v[16:17], v[16:17], v[10:11]
	s_delay_alu instid0(VALU_DEP_1) | instskip(NEXT) | instid1(VALU_DEP_1)
	v_fma_f64 v[14:15], v[18:19], v[14:15], v[16:17]
	v_ldexp_f64 v[14:15], v[14:15], v2
	s_delay_alu instid0(VALU_DEP_1) | instskip(NEXT) | instid1(VALU_DEP_1)
	v_dual_cndmask_b32 v11, v15, v11 :: v_dual_cndmask_b32 v10, v14, v10
	v_div_scale_f64 v[14:15], null, v[10:11], v[10:11], 1.0
	s_delay_alu instid0(VALU_DEP_1) | instskip(SKIP_2) | instid1(VALU_DEP_1)
	v_rcp_f64_e32 v[16:17], v[14:15]
	s_waitcnt_depctr 0xfff
	v_fma_f64 v[18:19], -v[14:15], v[16:17], 1.0
	v_fma_f64 v[16:17], v[16:17], v[18:19], v[16:17]
	s_delay_alu instid0(VALU_DEP_1) | instskip(NEXT) | instid1(VALU_DEP_1)
	v_fma_f64 v[18:19], -v[14:15], v[16:17], 1.0
	v_fma_f64 v[16:17], v[16:17], v[18:19], v[16:17]
	v_div_scale_f64 v[18:19], vcc_lo, 1.0, v[10:11], 1.0
	s_delay_alu instid0(VALU_DEP_1) | instskip(NEXT) | instid1(VALU_DEP_1)
	v_mul_f64 v[37:38], v[18:19], v[16:17]
	v_fma_f64 v[14:15], -v[14:15], v[37:38], v[18:19]
	s_delay_alu instid0(VALU_DEP_1) | instskip(NEXT) | instid1(VALU_DEP_1)
	v_div_fmas_f64 v[14:15], v[14:15], v[16:17], v[37:38]
	v_div_fixup_f64 v[18:19], v[14:15], v[10:11], 1.0
	s_delay_alu instid0(VALU_DEP_1)
	v_mul_f64 v[14:15], v[8:9], v[18:19]
.LBB126_49:                             ;   in Loop: Header=BB126_31 Depth=5
	s_or_b32 exec_lo, exec_lo, s63
.LBB126_50:                             ;   in Loop: Header=BB126_31 Depth=5
	s_delay_alu instid0(SALU_CYCLE_1)
	s_or_b32 exec_lo, exec_lo, s62
.LBB126_51:                             ;   in Loop: Header=BB126_31 Depth=5
	s_delay_alu instid0(SALU_CYCLE_1) | instskip(SKIP_1) | instid1(VALU_DEP_2)
	s_or_b32 exec_lo, exec_lo, s3
	v_cmp_gt_f64_e32 vcc_lo, 0, v[0:1]
	v_mul_f64 v[16:17], v[4:5], v[18:19]
	v_mul_f64 v[4:5], v[6:7], v[18:19]
	v_xor_b32_e32 v2, 0x80000000, v1
	s_mov_b32 s3, exec_lo
                                        ; implicit-def: $vgpr18_vgpr19
	s_delay_alu instid0(VALU_DEP_1) | instskip(NEXT) | instid1(VALU_DEP_1)
	v_dual_cndmask_b32 v9, v1, v2 :: v_dual_cndmask_b32 v8, v0, v0
	v_cmpx_nlt_f64_e32 0, v[8:9]
	s_xor_b32 s3, exec_lo, s3
                                        ; implicit-def: $vgpr8_vgpr9_vgpr10_vgpr11
	s_cbranch_execz .LBB126_53
; %bb.52:                               ;   in Loop: Header=BB126_31 Depth=5
	v_div_scale_f64 v[6:7], null, 0, 0, v[0:1]
	v_div_scale_f64 v[18:19], vcc_lo, v[0:1], 0, v[0:1]
	s_delay_alu instid0(VALU_DEP_2) | instskip(SKIP_2) | instid1(VALU_DEP_1)
	v_rcp_f64_e32 v[8:9], v[6:7]
	s_waitcnt_depctr 0xfff
	v_fma_f64 v[10:11], -v[6:7], v[8:9], 1.0
	v_fma_f64 v[8:9], v[8:9], v[10:11], v[8:9]
	s_delay_alu instid0(VALU_DEP_1) | instskip(NEXT) | instid1(VALU_DEP_1)
	v_fma_f64 v[10:11], -v[6:7], v[8:9], 1.0
	v_fma_f64 v[8:9], v[8:9], v[10:11], v[8:9]
	s_delay_alu instid0(VALU_DEP_1) | instskip(NEXT) | instid1(VALU_DEP_1)
	v_mul_f64 v[10:11], v[18:19], v[8:9]
	v_fma_f64 v[6:7], -v[6:7], v[10:11], v[18:19]
	s_delay_alu instid0(VALU_DEP_1) | instskip(NEXT) | instid1(VALU_DEP_1)
	v_div_fmas_f64 v[6:7], v[6:7], v[8:9], v[10:11]
	v_div_fixup_f64 v[6:7], v[6:7], 0, v[0:1]
	s_delay_alu instid0(VALU_DEP_1) | instskip(NEXT) | instid1(VALU_DEP_1)
	v_fma_f64 v[0:1], v[0:1], v[6:7], 0
	v_div_scale_f64 v[8:9], null, v[0:1], v[0:1], 1.0
	v_div_scale_f64 v[37:38], vcc_lo, 1.0, v[0:1], 1.0
	s_delay_alu instid0(VALU_DEP_2) | instskip(SKIP_2) | instid1(VALU_DEP_1)
	v_rcp_f64_e32 v[10:11], v[8:9]
	s_waitcnt_depctr 0xfff
	v_fma_f64 v[18:19], -v[8:9], v[10:11], 1.0
	v_fma_f64 v[10:11], v[10:11], v[18:19], v[10:11]
	s_delay_alu instid0(VALU_DEP_1) | instskip(NEXT) | instid1(VALU_DEP_1)
	v_fma_f64 v[18:19], -v[8:9], v[10:11], 1.0
	v_fma_f64 v[10:11], v[10:11], v[18:19], v[10:11]
	s_delay_alu instid0(VALU_DEP_1) | instskip(NEXT) | instid1(VALU_DEP_1)
	v_mul_f64 v[18:19], v[37:38], v[10:11]
	v_fma_f64 v[8:9], -v[8:9], v[18:19], v[37:38]
	s_delay_alu instid0(VALU_DEP_1) | instskip(SKIP_2) | instid1(VALU_DEP_3)
	v_div_fmas_f64 v[8:9], v[8:9], v[10:11], v[18:19]
	v_fma_f64 v[10:11], v[6:7], v[16:17], v[4:5]
	v_fma_f64 v[4:5], v[6:7], v[4:5], -v[16:17]
                                        ; implicit-def: $vgpr16_vgpr17
	v_div_fixup_f64 v[0:1], v[8:9], v[0:1], 1.0
	s_delay_alu instid0(VALU_DEP_1) | instskip(NEXT) | instid1(VALU_DEP_3)
	v_mul_f64 v[8:9], v[0:1], v[10:11]
	v_mul_f64 v[18:19], v[0:1], v[4:5]
                                        ; implicit-def: $vgpr0_vgpr1
                                        ; implicit-def: $vgpr4_vgpr5
.LBB126_53:                             ;   in Loop: Header=BB126_31 Depth=5
	s_and_not1_saveexec_b32 s3, s3
	s_cbranch_execz .LBB126_28
; %bb.54:                               ;   in Loop: Header=BB126_31 Depth=5
	v_div_scale_f64 v[6:7], null, v[0:1], v[0:1], 0
	v_div_scale_f64 v[18:19], vcc_lo, 0, v[0:1], 0
	s_delay_alu instid0(VALU_DEP_2) | instskip(SKIP_2) | instid1(VALU_DEP_1)
	v_rcp_f64_e32 v[8:9], v[6:7]
	s_waitcnt_depctr 0xfff
	v_fma_f64 v[10:11], -v[6:7], v[8:9], 1.0
	v_fma_f64 v[8:9], v[8:9], v[10:11], v[8:9]
	s_delay_alu instid0(VALU_DEP_1) | instskip(NEXT) | instid1(VALU_DEP_1)
	v_fma_f64 v[10:11], -v[6:7], v[8:9], 1.0
	v_fma_f64 v[8:9], v[8:9], v[10:11], v[8:9]
	s_delay_alu instid0(VALU_DEP_1) | instskip(NEXT) | instid1(VALU_DEP_1)
	v_mul_f64 v[10:11], v[18:19], v[8:9]
	v_fma_f64 v[6:7], -v[6:7], v[10:11], v[18:19]
	s_delay_alu instid0(VALU_DEP_1) | instskip(NEXT) | instid1(VALU_DEP_1)
	v_div_fmas_f64 v[6:7], v[6:7], v[8:9], v[10:11]
	v_div_fixup_f64 v[6:7], v[6:7], v[0:1], 0
	s_delay_alu instid0(VALU_DEP_1) | instskip(NEXT) | instid1(VALU_DEP_1)
	v_fma_f64 v[0:1], v[6:7], 0, v[0:1]
	v_div_scale_f64 v[8:9], null, v[0:1], v[0:1], 1.0
	v_div_scale_f64 v[37:38], vcc_lo, 1.0, v[0:1], 1.0
	s_delay_alu instid0(VALU_DEP_2) | instskip(SKIP_2) | instid1(VALU_DEP_1)
	v_rcp_f64_e32 v[10:11], v[8:9]
	s_waitcnt_depctr 0xfff
	v_fma_f64 v[18:19], -v[8:9], v[10:11], 1.0
	v_fma_f64 v[10:11], v[10:11], v[18:19], v[10:11]
	s_delay_alu instid0(VALU_DEP_1) | instskip(NEXT) | instid1(VALU_DEP_1)
	v_fma_f64 v[18:19], -v[8:9], v[10:11], 1.0
	v_fma_f64 v[10:11], v[10:11], v[18:19], v[10:11]
	s_delay_alu instid0(VALU_DEP_1) | instskip(NEXT) | instid1(VALU_DEP_1)
	v_mul_f64 v[18:19], v[37:38], v[10:11]
	v_fma_f64 v[8:9], -v[8:9], v[18:19], v[37:38]
	s_delay_alu instid0(VALU_DEP_1) | instskip(SKIP_2) | instid1(VALU_DEP_3)
	v_div_fmas_f64 v[8:9], v[8:9], v[10:11], v[18:19]
	v_fma_f64 v[10:11], v[6:7], v[4:5], v[16:17]
	v_fma_f64 v[4:5], -v[6:7], v[16:17], v[4:5]
	v_div_fixup_f64 v[0:1], v[8:9], v[0:1], 1.0
	s_delay_alu instid0(VALU_DEP_1) | instskip(NEXT) | instid1(VALU_DEP_3)
	v_mul_f64 v[8:9], v[0:1], v[10:11]
	v_mul_f64 v[18:19], v[0:1], v[4:5]
	s_branch .LBB126_28
.LBB126_55:                             ;   in Loop: Header=BB126_23 Depth=3
	s_or_b32 exec_lo, exec_lo, s21
	s_waitcnt lgkmcnt(0)
	s_waitcnt_vscnt null, 0x0
	s_barrier
	buffer_gl0_inv
	s_and_saveexec_b32 s3, s0
	s_cbranch_execz .LBB126_68
; %bb.56:                               ;   in Loop: Header=BB126_23 Depth=3
	v_dual_mov_b32 v14, v27 :: v_dual_mov_b32 v15, v26
	v_mov_b32_e32 v16, v20
	s_mov_b32 s21, 0
	s_branch .LBB126_58
.LBB126_57:                             ;   in Loop: Header=BB126_58 Depth=4
	s_or_b32 exec_lo, exec_lo, s22
	v_add_nc_u32_e32 v16, s29, v16
	v_add_nc_u32_e32 v15, s49, v15
	;; [unrolled: 1-line block ×3, first 2 shown]
	s_delay_alu instid0(VALU_DEP_3) | instskip(SKIP_1) | instid1(SALU_CYCLE_1)
	v_cmp_le_u32_e32 vcc_lo, s24, v16
	s_or_b32 s21, vcc_lo, s21
	s_and_not1_b32 exec_lo, exec_lo, s21
	s_cbranch_execz .LBB126_68
.LBB126_58:                             ;   Parent Loop BB126_3 Depth=1
                                        ;     Parent Loop BB126_8 Depth=2
                                        ;       Parent Loop BB126_23 Depth=3
                                        ; =>      This Loop Header: Depth=4
                                        ;           Child Loop BB126_61 Depth 5
	s_and_saveexec_b32 s22, s1
	s_cbranch_execz .LBB126_57
; %bb.59:                               ;   in Loop: Header=BB126_58 Depth=4
	v_dual_mov_b32 v19, v25 :: v_dual_add_nc_u32 v0, s24, v16
	v_dual_mov_b32 v5, v3 :: v_dual_add_nc_u32 v4, s57, v16
	;; [unrolled: 1-line block ×3, first 2 shown]
	v_mul_lo_u32 v17, v16, s31
	s_delay_alu instid0(VALU_DEP_4) | instskip(NEXT) | instid1(VALU_DEP_4)
	v_mul_lo_u32 v18, v0, s31
	v_lshlrev_b64 v[8:9], 4, v[4:5]
	s_delay_alu instid0(VALU_DEP_4)
	v_lshlrev_b64 v[0:1], 4, v[2:3]
	v_cmp_gt_u32_e64 s2, s25, v4
	v_mov_b32_e32 v32, v24
	s_mov_b32 s23, 0
	s_mov_b32 s59, 0
	s_branch .LBB126_61
.LBB126_60:                             ;   in Loop: Header=BB126_61 Depth=5
	s_or_b32 exec_lo, exec_lo, s60
	s_add_i32 s59, s59, s27
	v_add_nc_u32_e32 v33, s27, v33
	v_add_nc_u32_e32 v2, s59, v21
	;; [unrolled: 1-line block ×4, first 2 shown]
	s_delay_alu instid0(VALU_DEP_3) | instskip(SKIP_1) | instid1(SALU_CYCLE_1)
	v_cmp_le_u32_e32 vcc_lo, s24, v2
	s_or_b32 s23, vcc_lo, s23
	s_and_not1_b32 exec_lo, exec_lo, s23
	s_cbranch_execz .LBB126_57
.LBB126_61:                             ;   Parent Loop BB126_3 Depth=1
                                        ;     Parent Loop BB126_8 Depth=2
                                        ;       Parent Loop BB126_23 Depth=3
                                        ;         Parent Loop BB126_58 Depth=4
                                        ; =>        This Inner Loop Header: Depth=5
	v_mul_hi_u32 v2, v22, v33
	v_add_nc_u32_e32 v5, s59, v21
	v_add_nc_u32_e32 v34, s59, v30
	s_mov_b32 s60, exec_lo
	s_delay_alu instid0(VALU_DEP_3) | instskip(SKIP_1) | instid1(VALU_DEP_1)
	v_mul_lo_u32 v4, s24, v2
	v_not_b32_e32 v2, v2
	v_mul_lo_u32 v2, s24, v2
	s_delay_alu instid0(VALU_DEP_3) | instskip(NEXT) | instid1(VALU_DEP_1)
	v_sub_nc_u32_e32 v4, s58, v4
	v_add_nc_u32_e32 v4, v5, v4
	s_delay_alu instid0(VALU_DEP_3) | instskip(NEXT) | instid1(VALU_DEP_2)
	v_add3_u32 v2, s58, v2, v5
	v_cmp_le_u32_e32 vcc_lo, s24, v4
	s_delay_alu instid0(VALU_DEP_2) | instskip(NEXT) | instid1(VALU_DEP_1)
	v_cndmask_b32_e32 v2, v4, v2, vcc_lo
	v_subrev_nc_u32_e32 v4, s24, v2
	v_cmp_le_u32_e32 vcc_lo, s24, v2
	s_delay_alu instid0(VALU_DEP_2) | instskip(NEXT) | instid1(VALU_DEP_1)
	v_cndmask_b32_e32 v36, v2, v4, vcc_lo
	v_add_nc_u32_e32 v35, s57, v36
	s_delay_alu instid0(VALU_DEP_1) | instskip(NEXT) | instid1(VALU_DEP_1)
	v_max_u32_e32 v2, v34, v35
	v_cmpx_gt_u32_e64 s25, v2
	s_cbranch_execz .LBB126_60
; %bb.62:                               ;   in Loop: Header=BB126_61 Depth=5
	ds_load_b64 v[10:11], v32
	ds_load_2addr_b64 v[4:7], v19 offset1:1
	s_and_not1_b32 vcc_lo, exec_lo, s56
	s_cbranch_vccnz .LBB126_66
; %bb.63:                               ;   in Loop: Header=BB126_61 Depth=5
	v_add_nc_u32_e32 v2, s59, v15
	v_add_nc_u32_e32 v36, s24, v36
	s_delay_alu instid0(VALU_DEP_2) | instskip(NEXT) | instid1(VALU_DEP_2)
	v_lshlrev_b64 v[37:38], 4, v[2:3]
	v_add_nc_u32_e32 v2, v36, v17
	s_delay_alu instid0(VALU_DEP_1) | instskip(NEXT) | instid1(VALU_DEP_3)
	v_lshlrev_b64 v[39:40], 4, v[2:3]
	v_add_co_u32 v45, vcc_lo, s54, v37
	s_delay_alu instid0(VALU_DEP_4) | instskip(NEXT) | instid1(VALU_DEP_3)
	v_add_co_ci_u32_e32 v46, vcc_lo, s7, v38, vcc_lo
	v_add_co_u32 v47, vcc_lo, s54, v39
	s_delay_alu instid0(VALU_DEP_4)
	v_add_co_ci_u32_e32 v48, vcc_lo, s7, v40, vcc_lo
	s_clause 0x1
	flat_load_b128 v[37:40], v[45:46]
	flat_load_b128 v[41:44], v[47:48]
	s_waitcnt vmcnt(1) lgkmcnt(1)
	v_mul_f64 v[49:50], v[4:5], v[37:38]
	s_waitcnt vmcnt(0) lgkmcnt(0)
	v_mul_f64 v[51:52], v[6:7], v[43:44]
	v_mul_f64 v[53:54], v[6:7], v[41:42]
	;; [unrolled: 1-line block ×3, first 2 shown]
	s_delay_alu instid0(VALU_DEP_4) | instskip(NEXT) | instid1(VALU_DEP_4)
	v_fma_f64 v[49:50], v[6:7], v[39:40], -v[49:50]
	v_fma_f64 v[51:52], v[4:5], v[41:42], v[51:52]
	s_delay_alu instid0(VALU_DEP_4) | instskip(NEXT) | instid1(VALU_DEP_4)
	v_fma_f64 v[53:54], v[4:5], v[43:44], -v[53:54]
	v_fma_f64 v[55:56], v[37:38], -v[6:7], -v[55:56]
	s_delay_alu instid0(VALU_DEP_4) | instskip(NEXT) | instid1(VALU_DEP_4)
	v_fma_f64 v[41:42], v[10:11], v[41:42], v[49:50]
	v_fma_f64 v[37:38], v[10:11], v[37:38], v[51:52]
	s_delay_alu instid0(VALU_DEP_4) | instskip(NEXT) | instid1(VALU_DEP_4)
	v_fma_f64 v[39:40], v[10:11], v[39:40], v[53:54]
	v_fma_f64 v[43:44], v[10:11], v[43:44], v[55:56]
	s_clause 0x1
	flat_store_b128 v[45:46], v[37:40]
	flat_store_b128 v[47:48], v[41:44]
	s_and_saveexec_b32 s61, s2
	s_cbranch_execz .LBB126_65
; %bb.64:                               ;   in Loop: Header=BB126_61 Depth=5
	v_add_nc_u32_e32 v2, s59, v14
	s_delay_alu instid0(VALU_DEP_1) | instskip(SKIP_1) | instid1(VALU_DEP_1)
	v_lshlrev_b64 v[37:38], 4, v[2:3]
	v_add_nc_u32_e32 v2, v36, v18
	v_lshlrev_b64 v[39:40], 4, v[2:3]
	s_delay_alu instid0(VALU_DEP_3) | instskip(NEXT) | instid1(VALU_DEP_4)
	v_add_co_u32 v44, vcc_lo, s54, v37
	v_add_co_ci_u32_e32 v45, vcc_lo, s7, v38, vcc_lo
	s_delay_alu instid0(VALU_DEP_3) | instskip(NEXT) | instid1(VALU_DEP_4)
	v_add_co_u32 v46, vcc_lo, s54, v39
	v_add_co_ci_u32_e32 v47, vcc_lo, s7, v40, vcc_lo
	s_clause 0x1
	flat_load_b128 v[36:39], v[44:45]
	flat_load_b128 v[40:43], v[46:47]
	s_waitcnt vmcnt(1) lgkmcnt(1)
	v_mul_f64 v[48:49], v[4:5], v[36:37]
	s_waitcnt vmcnt(0) lgkmcnt(0)
	v_mul_f64 v[50:51], v[6:7], v[42:43]
	v_mul_f64 v[52:53], v[6:7], v[40:41]
	;; [unrolled: 1-line block ×3, first 2 shown]
	s_delay_alu instid0(VALU_DEP_4) | instskip(NEXT) | instid1(VALU_DEP_4)
	v_fma_f64 v[48:49], v[6:7], v[38:39], -v[48:49]
	v_fma_f64 v[50:51], v[4:5], v[40:41], v[50:51]
	s_delay_alu instid0(VALU_DEP_4) | instskip(NEXT) | instid1(VALU_DEP_4)
	v_fma_f64 v[52:53], v[4:5], v[42:43], -v[52:53]
	v_fma_f64 v[54:55], v[36:37], -v[6:7], -v[54:55]
	s_delay_alu instid0(VALU_DEP_4) | instskip(NEXT) | instid1(VALU_DEP_4)
	v_fma_f64 v[40:41], v[10:11], v[40:41], v[48:49]
	v_fma_f64 v[36:37], v[10:11], v[36:37], v[50:51]
	s_delay_alu instid0(VALU_DEP_4) | instskip(NEXT) | instid1(VALU_DEP_4)
	v_fma_f64 v[38:39], v[10:11], v[38:39], v[52:53]
	v_fma_f64 v[42:43], v[10:11], v[42:43], v[54:55]
	s_clause 0x1
	flat_store_b128 v[44:45], v[36:39]
	flat_store_b128 v[46:47], v[40:43]
.LBB126_65:                             ;   in Loop: Header=BB126_61 Depth=5
	s_or_b32 exec_lo, exec_lo, s61
.LBB126_66:                             ;   in Loop: Header=BB126_61 Depth=5
	v_mad_u64_u32 v[36:37], null, v35, s48, 0
	v_mad_u64_u32 v[38:39], null, v34, s48, 0
	s_delay_alu instid0(VALU_DEP_1) | instskip(NEXT) | instid1(VALU_DEP_1)
	v_dual_mov_b32 v2, v37 :: v_dual_mov_b32 v37, v39
	v_mad_u64_u32 v[39:40], null, v35, s40, v[2:3]
	s_delay_alu instid0(VALU_DEP_2) | instskip(NEXT) | instid1(VALU_DEP_2)
	v_mad_u64_u32 v[40:41], null, v34, s40, v[37:38]
	v_mov_b32_e32 v37, v39
	s_delay_alu instid0(VALU_DEP_2) | instskip(NEXT) | instid1(VALU_DEP_2)
	v_mov_b32_e32 v39, v40
	v_lshlrev_b64 v[35:36], 4, v[36:37]
	s_delay_alu instid0(VALU_DEP_2) | instskip(NEXT) | instid1(VALU_DEP_2)
	v_lshlrev_b64 v[37:38], 4, v[38:39]
	v_add_co_u32 v35, vcc_lo, s52, v35
	s_delay_alu instid0(VALU_DEP_3) | instskip(NEXT) | instid1(VALU_DEP_3)
	v_add_co_ci_u32_e32 v36, vcc_lo, s53, v36, vcc_lo
	v_add_co_u32 v2, vcc_lo, s52, v37
	s_delay_alu instid0(VALU_DEP_4) | instskip(NEXT) | instid1(VALU_DEP_4)
	v_add_co_ci_u32_e32 v34, vcc_lo, s53, v38, vcc_lo
	v_add_co_u32 v45, vcc_lo, v35, v0
	s_delay_alu instid0(VALU_DEP_4) | instskip(NEXT) | instid1(VALU_DEP_4)
	v_add_co_ci_u32_e32 v46, vcc_lo, v36, v1, vcc_lo
	v_add_co_u32 v47, vcc_lo, v2, v0
	s_delay_alu instid0(VALU_DEP_4)
	v_add_co_ci_u32_e32 v48, vcc_lo, v34, v1, vcc_lo
	s_clause 0x1
	global_load_b128 v[37:40], v[45:46], off
	global_load_b128 v[41:44], v[47:48], off
	s_waitcnt vmcnt(1) lgkmcnt(0)
	v_mul_f64 v[49:50], v[6:7], v[39:40]
	v_mul_f64 v[51:52], v[6:7], v[37:38]
	s_waitcnt vmcnt(0)
	v_mul_f64 v[53:54], v[4:5], v[41:42]
	v_mul_f64 v[55:56], v[4:5], v[43:44]
	s_delay_alu instid0(VALU_DEP_4) | instskip(NEXT) | instid1(VALU_DEP_4)
	v_fma_f64 v[49:50], v[4:5], v[37:38], v[49:50]
	v_fma_f64 v[51:52], v[4:5], v[39:40], -v[51:52]
	s_delay_alu instid0(VALU_DEP_4) | instskip(NEXT) | instid1(VALU_DEP_4)
	v_fma_f64 v[53:54], v[6:7], v[43:44], -v[53:54]
	v_fma_f64 v[55:56], v[41:42], -v[6:7], -v[55:56]
	s_delay_alu instid0(VALU_DEP_4) | instskip(NEXT) | instid1(VALU_DEP_4)
	v_fma_f64 v[41:42], v[10:11], v[41:42], v[49:50]
	v_fma_f64 v[43:44], v[10:11], v[43:44], v[51:52]
	s_delay_alu instid0(VALU_DEP_4) | instskip(NEXT) | instid1(VALU_DEP_4)
	v_fma_f64 v[37:38], v[10:11], v[37:38], v[53:54]
	v_fma_f64 v[39:40], v[10:11], v[39:40], v[55:56]
	s_clause 0x1
	global_store_b128 v[47:48], v[41:44], off
	global_store_b128 v[45:46], v[37:40], off
	s_and_b32 exec_lo, exec_lo, s2
	s_cbranch_execz .LBB126_60
; %bb.67:                               ;   in Loop: Header=BB126_61 Depth=5
	v_add_co_u32 v42, vcc_lo, v35, v8
	v_add_co_ci_u32_e32 v43, vcc_lo, v36, v9, vcc_lo
	v_add_co_u32 v44, vcc_lo, v2, v8
	v_add_co_ci_u32_e32 v45, vcc_lo, v34, v9, vcc_lo
	s_clause 0x1
	global_load_b128 v[34:37], v[42:43], off
	global_load_b128 v[38:41], v[44:45], off
	s_waitcnt vmcnt(1)
	v_mul_f64 v[46:47], v[6:7], v[36:37]
	v_mul_f64 v[48:49], v[6:7], v[34:35]
	s_waitcnt vmcnt(0)
	v_mul_f64 v[50:51], v[4:5], v[38:39]
	v_mul_f64 v[52:53], v[4:5], v[40:41]
	s_delay_alu instid0(VALU_DEP_4) | instskip(NEXT) | instid1(VALU_DEP_4)
	v_fma_f64 v[46:47], v[4:5], v[34:35], v[46:47]
	v_fma_f64 v[48:49], v[4:5], v[36:37], -v[48:49]
	s_delay_alu instid0(VALU_DEP_4) | instskip(NEXT) | instid1(VALU_DEP_4)
	v_fma_f64 v[50:51], v[6:7], v[40:41], -v[50:51]
	v_fma_f64 v[52:53], v[38:39], -v[6:7], -v[52:53]
	s_delay_alu instid0(VALU_DEP_4) | instskip(NEXT) | instid1(VALU_DEP_4)
	v_fma_f64 v[4:5], v[10:11], v[38:39], v[46:47]
	v_fma_f64 v[6:7], v[10:11], v[40:41], v[48:49]
	s_delay_alu instid0(VALU_DEP_4) | instskip(NEXT) | instid1(VALU_DEP_4)
	v_fma_f64 v[34:35], v[10:11], v[34:35], v[50:51]
	v_fma_f64 v[36:37], v[10:11], v[36:37], v[52:53]
	s_clause 0x1
	global_store_b128 v[44:45], v[4:7], off
	global_store_b128 v[42:43], v[34:37], off
	s_branch .LBB126_60
.LBB126_68:                             ;   in Loop: Header=BB126_23 Depth=3
	s_or_b32 exec_lo, exec_lo, s3
	s_waitcnt_vscnt null, 0x0
	s_barrier
	buffer_gl0_inv
	s_and_saveexec_b32 s3, s0
	s_cbranch_execz .LBB126_77
; %bb.69:                               ;   in Loop: Header=BB126_23 Depth=3
	v_mov_b32_e32 v14, v20
	s_mov_b32 s21, 0
	s_branch .LBB126_71
.LBB126_70:                             ;   in Loop: Header=BB126_71 Depth=4
	s_or_b32 exec_lo, exec_lo, s22
	v_add_nc_u32_e32 v14, s29, v14
	s_delay_alu instid0(VALU_DEP_1) | instskip(SKIP_1) | instid1(SALU_CYCLE_1)
	v_cmp_le_u32_e32 vcc_lo, s24, v14
	s_or_b32 s21, vcc_lo, s21
	s_and_not1_b32 exec_lo, exec_lo, s21
	s_cbranch_execz .LBB126_77
.LBB126_71:                             ;   Parent Loop BB126_3 Depth=1
                                        ;     Parent Loop BB126_8 Depth=2
                                        ;       Parent Loop BB126_23 Depth=3
                                        ; =>      This Loop Header: Depth=4
                                        ;           Child Loop BB126_74 Depth 5
	s_and_saveexec_b32 s22, s1
	s_cbranch_execz .LBB126_70
; %bb.72:                               ;   in Loop: Header=BB126_71 Depth=4
	v_dual_mov_b32 v15, v25 :: v_dual_add_nc_u32 v8, s57, v14
	v_dual_mov_b32 v16, v24 :: v_dual_mov_b32 v17, v31
	s_mov_b32 s23, 0
	s_delay_alu instid0(VALU_DEP_2) | instskip(SKIP_1) | instid1(VALU_DEP_2)
	v_mad_u64_u32 v[4:5], null, v8, s48, 0
	v_dual_mov_b32 v34, v21 :: v_dual_add_nc_u32 v7, v14, v29
	v_mov_b32_e32 v2, v5
	s_delay_alu instid0(VALU_DEP_2) | instskip(NEXT) | instid1(VALU_DEP_1)
	v_mad_u64_u32 v[0:1], null, v7, s48, 0
	v_mad_u64_u32 v[5:6], null, v7, s40, v[1:2]
	s_delay_alu instid0(VALU_DEP_1) | instskip(SKIP_2) | instid1(VALU_DEP_3)
	v_mov_b32_e32 v1, v5
	v_mad_u64_u32 v[6:7], null, v8, s40, v[2:3]
	v_cmp_gt_u32_e32 vcc_lo, s25, v8
	v_lshlrev_b64 v[0:1], 4, v[0:1]
	s_delay_alu instid0(VALU_DEP_3) | instskip(NEXT) | instid1(VALU_DEP_2)
	v_mov_b32_e32 v5, v6
	v_add_co_u32 v18, s2, s52, v0
	s_delay_alu instid0(VALU_DEP_1) | instskip(NEXT) | instid1(VALU_DEP_3)
	v_add_co_ci_u32_e64 v19, s2, s53, v1, s2
	v_lshlrev_b64 v[4:5], 4, v[4:5]
	s_delay_alu instid0(VALU_DEP_1) | instskip(NEXT) | instid1(VALU_DEP_1)
	v_add_co_u32 v32, s2, s52, v4
	v_add_co_ci_u32_e64 v33, s2, s53, v5, s2
	s_branch .LBB126_74
.LBB126_73:                             ;   in Loop: Header=BB126_74 Depth=5
	s_or_b32 exec_lo, exec_lo, s59
	v_add_nc_u32_e32 v34, s27, v34
	v_add_nc_u32_e32 v17, s27, v17
	;; [unrolled: 1-line block ×4, first 2 shown]
	s_delay_alu instid0(VALU_DEP_4) | instskip(NEXT) | instid1(VALU_DEP_1)
	v_cmp_le_u32_e64 s2, s24, v34
	s_or_b32 s23, s2, s23
	s_delay_alu instid0(SALU_CYCLE_1)
	s_and_not1_b32 exec_lo, exec_lo, s23
	s_cbranch_execz .LBB126_70
.LBB126_74:                             ;   Parent Loop BB126_3 Depth=1
                                        ;     Parent Loop BB126_8 Depth=2
                                        ;       Parent Loop BB126_23 Depth=3
                                        ;         Parent Loop BB126_71 Depth=4
                                        ; =>        This Inner Loop Header: Depth=5
	v_mul_hi_u32 v4, v22, v17
	v_add_nc_u32_e32 v0, s58, v34
	s_mov_b32 s59, exec_lo
	s_delay_alu instid0(VALU_DEP_1) | instskip(SKIP_2) | instid1(VALU_DEP_2)
	v_mad_u64_u32 v[1:2], null, s45, v4, v[0:1]
	v_not_b32_e32 v6, v4
	v_add_nc_u32_e32 v2, v29, v34
	v_mad_u64_u32 v[4:5], null, s24, v6, v[0:1]
	v_cmp_le_u32_e64 s2, s24, v1
	s_delay_alu instid0(VALU_DEP_1) | instskip(NEXT) | instid1(VALU_DEP_1)
	v_cndmask_b32_e64 v0, v1, v4, s2
	v_subrev_nc_u32_e32 v1, s24, v0
	v_cmp_le_u32_e64 s2, s24, v0
	s_delay_alu instid0(VALU_DEP_1) | instskip(NEXT) | instid1(VALU_DEP_1)
	v_cndmask_b32_e64 v0, v0, v1, s2
	v_add_nc_u32_e32 v4, s57, v0
	s_delay_alu instid0(VALU_DEP_1) | instskip(NEXT) | instid1(VALU_DEP_1)
	v_max_u32_e32 v0, v2, v4
	v_cmpx_gt_u32_e64 s25, v0
	s_cbranch_execz .LBB126_73
; %bb.75:                               ;   in Loop: Header=BB126_74 Depth=5
	v_mov_b32_e32 v5, v3
	v_lshlrev_b64 v[0:1], 4, v[2:3]
	s_delay_alu instid0(VALU_DEP_2) | instskip(NEXT) | instid1(VALU_DEP_2)
	v_lshlrev_b64 v[10:11], 4, v[4:5]
	v_add_co_u32 v43, s2, v18, v0
	s_delay_alu instid0(VALU_DEP_1) | instskip(NEXT) | instid1(VALU_DEP_3)
	v_add_co_ci_u32_e64 v44, s2, v19, v1, s2
	v_add_co_u32 v45, s2, v18, v10
	s_delay_alu instid0(VALU_DEP_1)
	v_add_co_ci_u32_e64 v46, s2, v19, v11, s2
	s_clause 0x1
	global_load_b128 v[35:38], v[43:44], off
	global_load_b128 v[39:42], v[45:46], off
	ds_load_2addr_b64 v[4:7], v15 offset1:1
	s_waitcnt vmcnt(1) lgkmcnt(0)
	v_mul_f64 v[8:9], v[6:7], v[37:38]
	s_waitcnt vmcnt(0)
	v_mul_f64 v[47:48], v[6:7], v[41:42]
	v_mul_f64 v[49:50], v[4:5], v[41:42]
	;; [unrolled: 1-line block ×3, first 2 shown]
	s_delay_alu instid0(VALU_DEP_4) | instskip(NEXT) | instid1(VALU_DEP_4)
	v_fma_f64 v[53:54], v[35:36], -v[4:5], -v[8:9]
	v_fma_f64 v[47:48], v[4:5], v[39:40], -v[47:48]
	s_delay_alu instid0(VALU_DEP_4) | instskip(NEXT) | instid1(VALU_DEP_4)
	v_fma_f64 v[49:50], v[6:7], v[39:40], v[49:50]
	v_fma_f64 v[51:52], v[6:7], v[35:36], -v[51:52]
	ds_load_b64 v[8:9], v16
	s_waitcnt lgkmcnt(0)
	v_fma_f64 v[39:40], v[8:9], v[39:40], v[53:54]
	v_fma_f64 v[35:36], v[8:9], v[35:36], v[47:48]
	;; [unrolled: 1-line block ×4, first 2 shown]
	s_clause 0x1
	global_store_b128 v[43:44], v[35:38], off
	global_store_b128 v[45:46], v[39:42], off
	s_and_b32 exec_lo, exec_lo, vcc_lo
	s_cbranch_execz .LBB126_73
; %bb.76:                               ;   in Loop: Header=BB126_74 Depth=5
	v_add_co_u32 v10, s2, v32, v10
	s_delay_alu instid0(VALU_DEP_1) | instskip(SKIP_1) | instid1(VALU_DEP_1)
	v_add_co_ci_u32_e64 v11, s2, v33, v11, s2
	v_add_co_u32 v0, s2, v32, v0
	v_add_co_ci_u32_e64 v1, s2, v33, v1, s2
	s_clause 0x1
	global_load_b128 v[35:38], v[10:11], off
	global_load_b128 v[39:42], v[0:1], off
	s_waitcnt vmcnt(1)
	v_mul_f64 v[43:44], v[6:7], v[37:38]
	v_mul_f64 v[45:46], v[4:5], v[37:38]
	s_waitcnt vmcnt(0)
	v_mul_f64 v[47:48], v[6:7], v[41:42]
	v_mul_f64 v[49:50], v[4:5], v[41:42]
	s_delay_alu instid0(VALU_DEP_4) | instskip(NEXT) | instid1(VALU_DEP_4)
	v_fma_f64 v[43:44], v[4:5], v[35:36], -v[43:44]
	v_fma_f64 v[45:46], v[6:7], v[35:36], v[45:46]
	s_delay_alu instid0(VALU_DEP_4) | instskip(NEXT) | instid1(VALU_DEP_4)
	v_fma_f64 v[47:48], v[39:40], -v[4:5], -v[47:48]
	v_fma_f64 v[49:50], v[6:7], v[39:40], -v[49:50]
	s_delay_alu instid0(VALU_DEP_4) | instskip(NEXT) | instid1(VALU_DEP_4)
	v_fma_f64 v[4:5], v[8:9], v[39:40], v[43:44]
	v_fma_f64 v[6:7], v[8:9], v[41:42], v[45:46]
	s_delay_alu instid0(VALU_DEP_4) | instskip(NEXT) | instid1(VALU_DEP_4)
	v_fma_f64 v[35:36], v[8:9], v[35:36], v[47:48]
	v_fma_f64 v[37:38], v[8:9], v[37:38], v[49:50]
	s_clause 0x1
	global_store_b128 v[0:1], v[4:7], off
	global_store_b128 v[10:11], v[35:38], off
	s_branch .LBB126_73
.LBB126_77:                             ;   in Loop: Header=BB126_23 Depth=3
	s_or_b32 exec_lo, exec_lo, s3
	s_waitcnt_vscnt null, 0x0
	s_barrier
	buffer_gl0_inv
	s_and_saveexec_b32 s3, s0
	s_cbranch_execz .LBB126_22
; %bb.78:                               ;   in Loop: Header=BB126_23 Depth=3
	v_mov_b32_e32 v4, v20
	s_mov_b32 s59, 0
	s_branch .LBB126_80
.LBB126_79:                             ;   in Loop: Header=BB126_80 Depth=4
	s_or_b32 exec_lo, exec_lo, s60
	v_add_nc_u32_e32 v4, s29, v4
	s_delay_alu instid0(VALU_DEP_1) | instskip(SKIP_1) | instid1(SALU_CYCLE_1)
	v_cmp_le_u32_e32 vcc_lo, s24, v4
	s_or_b32 s59, vcc_lo, s59
	s_and_not1_b32 exec_lo, exec_lo, s59
	s_cbranch_execz .LBB126_22
.LBB126_80:                             ;   Parent Loop BB126_3 Depth=1
                                        ;     Parent Loop BB126_8 Depth=2
                                        ;       Parent Loop BB126_23 Depth=3
                                        ; =>      This Loop Header: Depth=4
                                        ;           Child Loop BB126_83 Depth 5
	s_and_saveexec_b32 s60, s1
	s_cbranch_execz .LBB126_79
; %bb.81:                               ;   in Loop: Header=BB126_80 Depth=4
	v_cmp_eq_u32_e32 vcc_lo, 0, v4
	v_dual_mov_b32 v5, v31 :: v_dual_mov_b32 v6, v21
	s_mov_b32 s61, 0
	s_branch .LBB126_83
.LBB126_82:                             ;   in Loop: Header=BB126_83 Depth=5
	s_or_b32 exec_lo, exec_lo, s62
	v_add_nc_u32_e32 v6, s27, v6
	v_add_nc_u32_e32 v5, s27, v5
	s_delay_alu instid0(VALU_DEP_2) | instskip(NEXT) | instid1(VALU_DEP_1)
	v_cmp_le_u32_e64 s2, s24, v6
	s_or_b32 s61, s2, s61
	s_delay_alu instid0(SALU_CYCLE_1)
	s_and_not1_b32 exec_lo, exec_lo, s61
	s_cbranch_execz .LBB126_79
.LBB126_83:                             ;   Parent Loop BB126_3 Depth=1
                                        ;     Parent Loop BB126_8 Depth=2
                                        ;       Parent Loop BB126_23 Depth=3
                                        ;         Parent Loop BB126_80 Depth=4
                                        ; =>        This Inner Loop Header: Depth=5
	s_delay_alu instid0(VALU_DEP_1) | instskip(NEXT) | instid1(VALU_DEP_2)
	v_mul_hi_u32 v7, v22, v5
	v_add_nc_u32_e32 v0, s58, v6
	s_delay_alu instid0(VALU_DEP_1) | instskip(SKIP_1) | instid1(VALU_DEP_1)
	v_mad_u64_u32 v[1:2], null, s45, v7, v[0:1]
	v_not_b32_e32 v9, v7
	v_mad_u64_u32 v[7:8], null, s24, v9, v[0:1]
	v_cmp_le_u32_e64 s2, s24, v1
	s_delay_alu instid0(VALU_DEP_1) | instskip(NEXT) | instid1(VALU_DEP_1)
	v_cndmask_b32_e64 v0, v1, v7, s2
	v_subrev_nc_u32_e32 v1, s24, v0
	v_cmp_le_u32_e64 s2, s24, v0
	s_delay_alu instid0(VALU_DEP_1) | instskip(NEXT) | instid1(VALU_DEP_1)
	v_cndmask_b32_e64 v0, v0, v1, s2
	v_add_nc_u32_e32 v0, s57, v0
	s_delay_alu instid0(VALU_DEP_1) | instskip(NEXT) | instid1(VALU_DEP_1)
	v_cmp_gt_u32_e64 s2, s25, v0
	s_and_b32 s2, vcc_lo, s2
	s_delay_alu instid0(SALU_CYCLE_1)
	s_and_saveexec_b32 s62, s2
	s_cbranch_execz .LBB126_82
; %bb.84:                               ;   in Loop: Header=BB126_83 Depth=5
	v_mad_u64_u32 v[7:8], null, v0, s48, 0
	v_add_nc_u32_e32 v2, v29, v6
	s_mov_b32 s21, s20
	s_mov_b32 s22, s20
	;; [unrolled: 1-line block ×3, first 2 shown]
	s_delay_alu instid0(VALU_DEP_2) | instskip(SKIP_2) | instid1(VALU_DEP_3)
	v_mov_b32_e32 v1, v8
	v_mad_u64_u32 v[14:15], null, v2, s48, 0
	v_lshlrev_b64 v[18:19], 4, v[2:3]
	v_mad_u64_u32 v[9:10], null, v0, s40, v[1:2]
	v_mov_b32_e32 v1, v3
	s_delay_alu instid0(VALU_DEP_4) | instskip(NEXT) | instid1(VALU_DEP_1)
	v_mov_b32_e32 v8, v15
	v_mad_u64_u32 v[10:11], null, v2, s40, v[8:9]
	v_mov_b32_e32 v8, v9
	s_delay_alu instid0(VALU_DEP_4) | instskip(NEXT) | instid1(VALU_DEP_2)
	v_lshlrev_b64 v[0:1], 4, v[0:1]
	v_lshlrev_b64 v[16:17], 4, v[7:8]
	s_delay_alu instid0(VALU_DEP_4) | instskip(SKIP_2) | instid1(VALU_DEP_3)
	v_mov_b32_e32 v15, v10
	v_dual_mov_b32 v7, s20 :: v_dual_mov_b32 v8, s21
	v_dual_mov_b32 v9, s22 :: v_dual_mov_b32 v10, s23
	v_lshlrev_b64 v[14:15], 4, v[14:15]
	v_add_co_u32 v2, s2, s52, v16
	s_delay_alu instid0(VALU_DEP_1) | instskip(NEXT) | instid1(VALU_DEP_3)
	v_add_co_ci_u32_e64 v11, s2, s53, v17, s2
	v_add_co_u32 v16, s2, s52, v14
	s_delay_alu instid0(VALU_DEP_1) | instskip(NEXT) | instid1(VALU_DEP_4)
	v_add_co_ci_u32_e64 v17, s2, s53, v15, s2
	v_add_co_u32 v14, s2, v2, v18
	s_delay_alu instid0(VALU_DEP_1) | instskip(NEXT) | instid1(VALU_DEP_4)
	v_add_co_ci_u32_e64 v15, s2, v11, v19, s2
	v_add_co_u32 v0, s2, v16, v0
	s_delay_alu instid0(VALU_DEP_1)
	v_add_co_ci_u32_e64 v1, s2, v17, v1, s2
	s_clause 0x1
	global_store_b128 v[14:15], v[7:10], off
	global_store_b128 v[0:1], v[7:10], off
	s_branch .LBB126_82
.LBB126_85:                             ;   in Loop: Header=BB126_8 Depth=2
	s_or_b32 s2, s55, s47
	s_delay_alu instid0(SALU_CYCLE_1)
	s_and_not1_b32 vcc_lo, exec_lo, s2
	s_cbranch_vccz .LBB126_7
; %bb.86:                               ;   in Loop: Header=BB126_8 Depth=2
	s_mov_b32 s21, exec_lo
	s_waitcnt_vscnt null, 0x0
	s_barrier
	buffer_gl0_inv
	v_cmpx_lt_u32_e64 v20, v28
	s_cbranch_execz .LBB126_6
; %bb.87:                               ;   in Loop: Header=BB126_8 Depth=2
	v_cmp_lt_u32_e32 vcc_lo, v21, v28
	v_dual_mov_b32 v0, v23 :: v_dual_mov_b32 v1, v20
	s_mov_b32 s22, 0
	s_set_inst_prefetch_distance 0x1
	s_branch .LBB126_89
	.p2align	6
.LBB126_88:                             ;   in Loop: Header=BB126_89 Depth=3
	s_or_b32 exec_lo, exec_lo, s23
	v_add_nc_u32_e32 v1, s29, v1
	v_add_nc_u32_e32 v0, s49, v0
	s_delay_alu instid0(VALU_DEP_2) | instskip(NEXT) | instid1(VALU_DEP_1)
	v_cmp_ge_u32_e64 s2, v1, v28
	s_or_b32 s22, s2, s22
	s_delay_alu instid0(SALU_CYCLE_1)
	s_and_not1_b32 exec_lo, exec_lo, s22
	s_cbranch_execz .LBB126_6
.LBB126_89:                             ;   Parent Loop BB126_3 Depth=1
                                        ;     Parent Loop BB126_8 Depth=2
                                        ; =>    This Loop Header: Depth=3
                                        ;         Child Loop BB126_91 Depth 4
	s_and_saveexec_b32 s23, vcc_lo
	s_cbranch_execz .LBB126_88
; %bb.90:                               ;   in Loop: Header=BB126_89 Depth=3
	v_mov_b32_e32 v4, v21
	s_mov_b32 s55, 0
	.p2align	6
.LBB126_91:                             ;   Parent Loop BB126_3 Depth=1
                                        ;     Parent Loop BB126_8 Depth=2
                                        ;       Parent Loop BB126_89 Depth=3
                                        ; =>      This Inner Loop Header: Depth=4
	s_delay_alu instid0(VALU_DEP_1) | instskip(SKIP_1) | instid1(VALU_DEP_2)
	v_add_nc_u32_e32 v2, v0, v4
	v_add_nc_u32_e32 v4, s27, v4
	v_lshlrev_b64 v[9:10], 4, v[2:3]
	s_delay_alu instid0(VALU_DEP_1) | instskip(NEXT) | instid1(VALU_DEP_1)
	v_add_co_u32 v5, s2, s54, v9
	v_add_co_ci_u32_e64 v6, s2, s7, v10, s2
	s_delay_alu instid0(VALU_DEP_4)
	v_cmp_ge_u32_e64 s2, v4, v28
	v_add_co_u32 v9, s3, s18, v9
	flat_load_b128 v[5:8], v[5:6]
	v_add_co_ci_u32_e64 v10, s3, s19, v10, s3
	s_or_b32 s55, s2, s55
	s_waitcnt vmcnt(0) lgkmcnt(0)
	flat_store_b128 v[9:10], v[5:8]
	s_and_not1_b32 exec_lo, exec_lo, s55
	s_cbranch_execnz .LBB126_91
	s_branch .LBB126_88
.LBB126_92:
	s_nop 0
	s_sendmsg sendmsg(MSG_DEALLOC_VGPRS)
	s_endpgm
	.section	.rodata,"a",@progbits
	.p2align	6, 0x0
	.amdhsa_kernel _ZN9rocsolver6v33100L17syevj_offd_kernelI19rocblas_complex_numIdEdPS3_EEviiT1_iilT0_PT_PiS9_S9_i
		.amdhsa_group_segment_fixed_size 0
		.amdhsa_private_segment_fixed_size 0
		.amdhsa_kernarg_size 336
		.amdhsa_user_sgpr_count 14
		.amdhsa_user_sgpr_dispatch_ptr 0
		.amdhsa_user_sgpr_queue_ptr 0
		.amdhsa_user_sgpr_kernarg_segment_ptr 1
		.amdhsa_user_sgpr_dispatch_id 0
		.amdhsa_user_sgpr_private_segment_size 0
		.amdhsa_wavefront_size32 1
		.amdhsa_uses_dynamic_stack 0
		.amdhsa_enable_private_segment 0
		.amdhsa_system_sgpr_workgroup_id_x 1
		.amdhsa_system_sgpr_workgroup_id_y 0
		.amdhsa_system_sgpr_workgroup_id_z 1
		.amdhsa_system_sgpr_workgroup_info 0
		.amdhsa_system_vgpr_workitem_id 1
		.amdhsa_next_free_vgpr 57
		.amdhsa_next_free_sgpr 65
		.amdhsa_reserve_vcc 1
		.amdhsa_float_round_mode_32 0
		.amdhsa_float_round_mode_16_64 0
		.amdhsa_float_denorm_mode_32 3
		.amdhsa_float_denorm_mode_16_64 3
		.amdhsa_dx10_clamp 1
		.amdhsa_ieee_mode 1
		.amdhsa_fp16_overflow 0
		.amdhsa_workgroup_processor_mode 1
		.amdhsa_memory_ordered 1
		.amdhsa_forward_progress 0
		.amdhsa_shared_vgpr_count 0
		.amdhsa_exception_fp_ieee_invalid_op 0
		.amdhsa_exception_fp_denorm_src 0
		.amdhsa_exception_fp_ieee_div_zero 0
		.amdhsa_exception_fp_ieee_overflow 0
		.amdhsa_exception_fp_ieee_underflow 0
		.amdhsa_exception_fp_ieee_inexact 0
		.amdhsa_exception_int_div_zero 0
	.end_amdhsa_kernel
	.section	.text._ZN9rocsolver6v33100L17syevj_offd_kernelI19rocblas_complex_numIdEdPS3_EEviiT1_iilT0_PT_PiS9_S9_i,"axG",@progbits,_ZN9rocsolver6v33100L17syevj_offd_kernelI19rocblas_complex_numIdEdPS3_EEviiT1_iilT0_PT_PiS9_S9_i,comdat
.Lfunc_end126:
	.size	_ZN9rocsolver6v33100L17syevj_offd_kernelI19rocblas_complex_numIdEdPS3_EEviiT1_iilT0_PT_PiS9_S9_i, .Lfunc_end126-_ZN9rocsolver6v33100L17syevj_offd_kernelI19rocblas_complex_numIdEdPS3_EEviiT1_iilT0_PT_PiS9_S9_i
                                        ; -- End function
	.section	.AMDGPU.csdata,"",@progbits
; Kernel info:
; codeLenInByte = 7340
; NumSgprs: 67
; NumVgprs: 57
; ScratchSize: 0
; MemoryBound: 0
; FloatMode: 240
; IeeeMode: 1
; LDSByteSize: 0 bytes/workgroup (compile time only)
; SGPRBlocks: 8
; VGPRBlocks: 7
; NumSGPRsForWavesPerEU: 67
; NumVGPRsForWavesPerEU: 57
; Occupancy: 16
; WaveLimiterHint : 1
; COMPUTE_PGM_RSRC2:SCRATCH_EN: 0
; COMPUTE_PGM_RSRC2:USER_SGPR: 14
; COMPUTE_PGM_RSRC2:TRAP_HANDLER: 0
; COMPUTE_PGM_RSRC2:TGID_X_EN: 1
; COMPUTE_PGM_RSRC2:TGID_Y_EN: 0
; COMPUTE_PGM_RSRC2:TGID_Z_EN: 1
; COMPUTE_PGM_RSRC2:TIDIG_COMP_CNT: 1
	.section	.text._ZN9rocsolver6v33100L21syevj_offd_rotate_orgILb0E19rocblas_complex_numIdEdPS3_EEvbiiT2_iilPT0_PiS8_S8_,"axG",@progbits,_ZN9rocsolver6v33100L21syevj_offd_rotate_orgILb0E19rocblas_complex_numIdEdPS3_EEvbiiT2_iilPT0_PiS8_S8_,comdat
	.globl	_ZN9rocsolver6v33100L21syevj_offd_rotate_orgILb0E19rocblas_complex_numIdEdPS3_EEvbiiT2_iilPT0_PiS8_S8_ ; -- Begin function _ZN9rocsolver6v33100L21syevj_offd_rotate_orgILb0E19rocblas_complex_numIdEdPS3_EEvbiiT2_iilPT0_PiS8_S8_
	.p2align	8
	.type	_ZN9rocsolver6v33100L21syevj_offd_rotate_orgILb0E19rocblas_complex_numIdEdPS3_EEvbiiT2_iilPT0_PiS8_S8_,@function
_ZN9rocsolver6v33100L21syevj_offd_rotate_orgILb0E19rocblas_complex_numIdEdPS3_EEvbiiT2_iilPT0_PiS8_S8_: ; @_ZN9rocsolver6v33100L21syevj_offd_rotate_orgILb0E19rocblas_complex_numIdEdPS3_EEvbiiT2_iilPT0_PiS8_S8_
; %bb.0:
	s_load_b64 s[2:3], s[0:1], 0x40
	s_mov_b32 s12, s15
	s_mov_b32 s16, s13
	s_ashr_i32 s13, s15, 31
	s_delay_alu instid0(SALU_CYCLE_1)
	s_lshl_b64 s[4:5], s[12:13], 2
	s_waitcnt lgkmcnt(0)
	s_add_u32 s2, s2, s4
	s_addc_u32 s3, s3, s5
	s_load_b32 s2, s[2:3], 0x4
	s_waitcnt lgkmcnt(0)
	s_cmp_lg_u32 s2, 0
	s_cbranch_scc0 .LBB127_2
.LBB127_1:
	s_endpgm
.LBB127_2:
	s_load_b256 s[4:11], s[0:1], 0x20
	s_ashr_i32 s17, s16, 31
	s_delay_alu instid0(SALU_CYCLE_1)
	s_lshl_b64 s[2:3], s[16:17], 2
	s_waitcnt lgkmcnt(0)
	s_add_u32 s8, s8, s2
	s_addc_u32 s9, s9, s3
	s_add_u32 s2, s10, s2
	s_addc_u32 s3, s11, s3
	s_load_b32 s15, s[8:9], 0x0
	s_load_b32 s17, s[2:3], 0x0
	s_load_b128 s[8:11], s[0:1], 0x0
	s_waitcnt lgkmcnt(0)
	s_max_i32 s11, s15, s17
	s_delay_alu instid0(SALU_CYCLE_1)
	s_cmp_ge_i32 s11, s9
	s_cbranch_scc1 .LBB127_1
; %bb.3:
	s_add_u32 s2, s0, 0x48
	s_addc_u32 s3, s1, 0
	s_bitcmp1_b32 s8, 0
	s_cselect_b32 s8, -1, 0
	s_min_i32 s15, s15, s17
	s_xor_b32 s8, s8, -1
	s_delay_alu instid0(SALU_CYCLE_1)
	s_and_b32 vcc_lo, exec_lo, s8
	s_cbranch_vccnz .LBB127_5
; %bb.4:
	s_lshr_b32 s8, s14, 31
	s_delay_alu instid0(SALU_CYCLE_1) | instskip(NEXT) | instid1(SALU_CYCLE_1)
	s_add_i32 s8, s14, s8
	s_ashr_i32 s8, s8, 1
	s_delay_alu instid0(SALU_CYCLE_1) | instskip(SKIP_3) | instid1(SALU_CYCLE_1)
	s_cmp_lg_u32 s8, s15
	s_cselect_b32 s9, -1, 0
	s_cmp_lg_u32 s8, s11
	s_cselect_b32 s8, -1, 0
	s_and_b32 s8, s9, s8
.LBB127_5:
	s_delay_alu instid0(SALU_CYCLE_1)
	s_and_not1_b32 vcc_lo, exec_lo, s8
	s_cbranch_vccnz .LBB127_1
; %bb.6:
	s_load_b32 s17, s[2:3], 0xc
	v_bfe_u32 v11, v0, 10, 10
	s_waitcnt lgkmcnt(0)
	s_bfe_u32 s8, s17, 0xf0001
	s_delay_alu instid0(SALU_CYCLE_1) | instskip(NEXT) | instid1(SALU_CYCLE_1)
	s_mul_i32 s2, s15, s8
	v_dual_mov_b32 v1, s2 :: v_dual_and_b32 v10, 0x3ff, v0
	s_mul_i32 s9, s11, s8
	s_delay_alu instid0(SALU_CYCLE_1) | instskip(NEXT) | instid1(VALU_DEP_1)
	s_sub_i32 s2, s9, s8
	v_cmp_gt_u32_e32 vcc_lo, s8, v10
	s_delay_alu instid0(VALU_DEP_2) | instskip(SKIP_1) | instid1(SALU_CYCLE_1)
	v_cndmask_b32_e32 v1, s2, v1, vcc_lo
	s_lshr_b32 s2, s17, 16
	s_mul_i32 s14, s14, s2
	s_mov_b32 s2, exec_lo
	s_delay_alu instid0(VALU_DEP_1) | instskip(SKIP_1) | instid1(VALU_DEP_1)
	v_add_nc_u32_e32 v9, v1, v10
	v_add_nc_u32_e32 v4, s14, v11
	v_max_i32_e32 v0, v9, v4
	s_delay_alu instid0(VALU_DEP_1)
	v_cmpx_gt_i32_e64 s10, v0
	s_cbranch_execz .LBB127_1
; %bb.7:
	s_clause 0x1
	s_load_b32 s20, s[0:1], 0x48
	s_load_b128 s[0:3], s[0:1], 0x10
	s_mul_i32 s5, s12, s5
	s_mul_hi_u32 s18, s12, s4
	s_mul_i32 s13, s13, s4
	s_add_i32 s5, s18, s5
	s_mul_i32 s18, s12, s4
	s_add_i32 s19, s5, s13
	s_and_b32 s17, s17, 0xffff
	s_lshl_b64 s[18:19], s[18:19], 4
	s_lshl_b32 s4, s8, 1
	v_mov_b32_e32 v2, 0
	v_mov_b32_e32 v3, 0
	s_delay_alu instid0(VALU_DEP_1)
	v_dual_mov_b32 v0, v2 :: v_dual_mov_b32 v1, v3
	s_waitcnt lgkmcnt(0)
	s_mul_i32 s5, s20, s12
	s_ashr_i32 s13, s2, 31
	s_mov_b32 s12, s2
	s_add_i32 s2, s5, s16
	s_add_u32 s5, s0, s18
	s_mul_i32 s2, s2, s8
	s_addc_u32 s16, s1, s19
	s_lshl_b64 s[0:1], s[12:13], 4
	s_mul_i32 s2, s2, s8
	s_add_u32 s0, s5, s0
	s_addc_u32 s1, s16, s1
	s_lshl_b32 s12, s2, 2
	s_delay_alu instid0(SALU_CYCLE_1) | instskip(NEXT) | instid1(SALU_CYCLE_1)
	s_ashr_i32 s13, s12, 31
	s_lshl_b64 s[12:13], s[12:13], 4
	s_delay_alu instid0(SALU_CYCLE_1)
	s_add_u32 s2, s6, s12
	s_addc_u32 s5, s7, s13
	s_cmp_lt_u32 s17, 2
	s_cbranch_scc1 .LBB127_10
; %bb.8:
	v_dual_mov_b32 v2, 0 :: v_dual_mov_b32 v7, v10
	v_dual_mov_b32 v3, 0 :: v_dual_mov_b32 v8, 0
	s_mul_i32 s6, s3, s15
	s_delay_alu instid0(VALU_DEP_2) | instskip(SKIP_1) | instid1(VALU_DEP_2)
	v_mov_b32_e32 v0, v2
	s_mul_i32 s6, s6, s8
	v_mov_b32_e32 v1, v3
	v_add3_u32 v5, s14, s6, v11
	s_mov_b32 s6, s8
	.p2align	6
.LBB127_9:                              ; =>This Inner Loop Header: Depth=1
	s_delay_alu instid0(VALU_DEP_1) | instskip(SKIP_3) | instid1(SALU_CYCLE_1)
	v_ashrrev_i32_e32 v6, 31, v5
	v_lshlrev_b64 v[12:13], 4, v[7:8]
	v_add_nc_u32_e32 v7, s4, v7
	s_add_i32 s6, s6, -1
	s_cmp_eq_u32 s6, 0
	v_lshlrev_b64 v[14:15], 4, v[5:6]
	s_delay_alu instid0(VALU_DEP_3) | instskip(SKIP_2) | instid1(VALU_DEP_4)
	v_add_co_u32 v12, vcc_lo, s2, v12
	v_add_co_ci_u32_e32 v13, vcc_lo, s5, v13, vcc_lo
	v_add_nc_u32_e32 v5, s3, v5
	v_add_co_u32 v16, vcc_lo, s0, v14
	v_add_co_ci_u32_e32 v17, vcc_lo, s1, v15, vcc_lo
	global_load_b128 v[12:15], v[12:13], off
	global_load_b128 v[16:19], v[16:17], off
	s_waitcnt vmcnt(0)
	v_mul_f64 v[20:21], v[18:19], v[14:15]
	v_mul_f64 v[14:15], v[16:17], v[14:15]
	s_delay_alu instid0(VALU_DEP_2) | instskip(NEXT) | instid1(VALU_DEP_2)
	v_fma_f64 v[16:17], v[16:17], v[12:13], -v[20:21]
	v_fma_f64 v[12:13], v[18:19], v[12:13], v[14:15]
	s_delay_alu instid0(VALU_DEP_2) | instskip(NEXT) | instid1(VALU_DEP_2)
	v_add_f64 v[0:1], v[0:1], v[16:17]
	v_add_f64 v[2:3], v[2:3], v[12:13]
	s_cbranch_scc0 .LBB127_9
.LBB127_10:
	s_sub_i32 s6, s10, s9
	s_delay_alu instid0(SALU_CYCLE_1) | instskip(NEXT) | instid1(SALU_CYCLE_1)
	s_min_i32 s6, s6, s8
	s_cmp_lt_i32 s6, 1
	s_cbranch_scc1 .LBB127_13
; %bb.11:
	s_mul_i32 s7, s3, s11
	s_mul_i32 s9, s8, s8
	;; [unrolled: 1-line block ×3, first 2 shown]
	v_lshl_add_u32 v5, s9, 1, v10
	v_add3_u32 v7, s14, s7, v11
	v_mov_b32_e32 v6, 0
	.p2align	6
.LBB127_12:                             ; =>This Inner Loop Header: Depth=1
	s_delay_alu instid0(VALU_DEP_2) | instskip(NEXT) | instid1(VALU_DEP_2)
	v_ashrrev_i32_e32 v8, 31, v7
	v_lshlrev_b64 v[10:11], 4, v[5:6]
	v_add_nc_u32_e32 v5, s4, v5
	s_add_i32 s6, s6, -1
	s_delay_alu instid0(SALU_CYCLE_1) | instskip(SKIP_1) | instid1(VALU_DEP_3)
	s_cmp_lg_u32 s6, 0
	v_lshlrev_b64 v[12:13], 4, v[7:8]
	v_add_co_u32 v10, vcc_lo, s2, v10
	v_add_co_ci_u32_e32 v11, vcc_lo, s5, v11, vcc_lo
	v_add_nc_u32_e32 v7, s3, v7
	s_delay_alu instid0(VALU_DEP_4)
	v_add_co_u32 v14, vcc_lo, s0, v12
	v_add_co_ci_u32_e32 v15, vcc_lo, s1, v13, vcc_lo
	global_load_b128 v[10:13], v[10:11], off
	global_load_b128 v[14:17], v[14:15], off
	s_waitcnt vmcnt(0)
	v_mul_f64 v[18:19], v[16:17], v[12:13]
	v_mul_f64 v[12:13], v[14:15], v[12:13]
	s_delay_alu instid0(VALU_DEP_2) | instskip(NEXT) | instid1(VALU_DEP_2)
	v_fma_f64 v[14:15], v[14:15], v[10:11], -v[18:19]
	v_fma_f64 v[10:11], v[16:17], v[10:11], v[12:13]
	s_delay_alu instid0(VALU_DEP_2) | instskip(NEXT) | instid1(VALU_DEP_2)
	v_add_f64 v[0:1], v[0:1], v[14:15]
	v_add_f64 v[2:3], v[2:3], v[10:11]
	s_cbranch_scc1 .LBB127_12
.LBB127_13:
	v_mad_u64_u32 v[5:6], null, v9, s3, v[4:5]
	s_barrier
	buffer_gl0_inv
	v_ashrrev_i32_e32 v6, 31, v5
	s_delay_alu instid0(VALU_DEP_1) | instskip(NEXT) | instid1(VALU_DEP_1)
	v_lshlrev_b64 v[4:5], 4, v[5:6]
	v_add_co_u32 v4, vcc_lo, s0, v4
	s_delay_alu instid0(VALU_DEP_2)
	v_add_co_ci_u32_e32 v5, vcc_lo, s1, v5, vcc_lo
	global_store_b128 v[4:5], v[0:3], off
	s_nop 0
	s_sendmsg sendmsg(MSG_DEALLOC_VGPRS)
	s_endpgm
	.section	.rodata,"a",@progbits
	.p2align	6, 0x0
	.amdhsa_kernel _ZN9rocsolver6v33100L21syevj_offd_rotate_orgILb0E19rocblas_complex_numIdEdPS3_EEvbiiT2_iilPT0_PiS8_S8_
		.amdhsa_group_segment_fixed_size 0
		.amdhsa_private_segment_fixed_size 0
		.amdhsa_kernarg_size 328
		.amdhsa_user_sgpr_count 13
		.amdhsa_user_sgpr_dispatch_ptr 0
		.amdhsa_user_sgpr_queue_ptr 0
		.amdhsa_user_sgpr_kernarg_segment_ptr 1
		.amdhsa_user_sgpr_dispatch_id 0
		.amdhsa_user_sgpr_private_segment_size 0
		.amdhsa_wavefront_size32 1
		.amdhsa_uses_dynamic_stack 0
		.amdhsa_enable_private_segment 0
		.amdhsa_system_sgpr_workgroup_id_x 1
		.amdhsa_system_sgpr_workgroup_id_y 1
		.amdhsa_system_sgpr_workgroup_id_z 1
		.amdhsa_system_sgpr_workgroup_info 0
		.amdhsa_system_vgpr_workitem_id 1
		.amdhsa_next_free_vgpr 22
		.amdhsa_next_free_sgpr 21
		.amdhsa_reserve_vcc 1
		.amdhsa_float_round_mode_32 0
		.amdhsa_float_round_mode_16_64 0
		.amdhsa_float_denorm_mode_32 3
		.amdhsa_float_denorm_mode_16_64 3
		.amdhsa_dx10_clamp 1
		.amdhsa_ieee_mode 1
		.amdhsa_fp16_overflow 0
		.amdhsa_workgroup_processor_mode 1
		.amdhsa_memory_ordered 1
		.amdhsa_forward_progress 0
		.amdhsa_shared_vgpr_count 0
		.amdhsa_exception_fp_ieee_invalid_op 0
		.amdhsa_exception_fp_denorm_src 0
		.amdhsa_exception_fp_ieee_div_zero 0
		.amdhsa_exception_fp_ieee_overflow 0
		.amdhsa_exception_fp_ieee_underflow 0
		.amdhsa_exception_fp_ieee_inexact 0
		.amdhsa_exception_int_div_zero 0
	.end_amdhsa_kernel
	.section	.text._ZN9rocsolver6v33100L21syevj_offd_rotate_orgILb0E19rocblas_complex_numIdEdPS3_EEvbiiT2_iilPT0_PiS8_S8_,"axG",@progbits,_ZN9rocsolver6v33100L21syevj_offd_rotate_orgILb0E19rocblas_complex_numIdEdPS3_EEvbiiT2_iilPT0_PiS8_S8_,comdat
.Lfunc_end127:
	.size	_ZN9rocsolver6v33100L21syevj_offd_rotate_orgILb0E19rocblas_complex_numIdEdPS3_EEvbiiT2_iilPT0_PiS8_S8_, .Lfunc_end127-_ZN9rocsolver6v33100L21syevj_offd_rotate_orgILb0E19rocblas_complex_numIdEdPS3_EEvbiiT2_iilPT0_PiS8_S8_
                                        ; -- End function
	.section	.AMDGPU.csdata,"",@progbits
; Kernel info:
; codeLenInByte = 992
; NumSgprs: 23
; NumVgprs: 22
; ScratchSize: 0
; MemoryBound: 0
; FloatMode: 240
; IeeeMode: 1
; LDSByteSize: 0 bytes/workgroup (compile time only)
; SGPRBlocks: 2
; VGPRBlocks: 2
; NumSGPRsForWavesPerEU: 23
; NumVGPRsForWavesPerEU: 22
; Occupancy: 16
; WaveLimiterHint : 0
; COMPUTE_PGM_RSRC2:SCRATCH_EN: 0
; COMPUTE_PGM_RSRC2:USER_SGPR: 13
; COMPUTE_PGM_RSRC2:TRAP_HANDLER: 0
; COMPUTE_PGM_RSRC2:TGID_X_EN: 1
; COMPUTE_PGM_RSRC2:TGID_Y_EN: 1
; COMPUTE_PGM_RSRC2:TGID_Z_EN: 1
; COMPUTE_PGM_RSRC2:TIDIG_COMP_CNT: 1
	.section	.text._ZN9rocsolver6v33100L17syevj_offd_rotateILb0E19rocblas_complex_numIdEdPS3_EEvbiiT2_iilPT0_PiS8_S8_i,"axG",@progbits,_ZN9rocsolver6v33100L17syevj_offd_rotateILb0E19rocblas_complex_numIdEdPS3_EEvbiiT2_iilPT0_PiS8_S8_i,comdat
	.globl	_ZN9rocsolver6v33100L17syevj_offd_rotateILb0E19rocblas_complex_numIdEdPS3_EEvbiiT2_iilPT0_PiS8_S8_i ; -- Begin function _ZN9rocsolver6v33100L17syevj_offd_rotateILb0E19rocblas_complex_numIdEdPS3_EEvbiiT2_iilPT0_PiS8_S8_i
	.p2align	8
	.type	_ZN9rocsolver6v33100L17syevj_offd_rotateILb0E19rocblas_complex_numIdEdPS3_EEvbiiT2_iilPT0_PiS8_S8_i,@function
_ZN9rocsolver6v33100L17syevj_offd_rotateILb0E19rocblas_complex_numIdEdPS3_EEvbiiT2_iilPT0_PiS8_S8_i: ; @_ZN9rocsolver6v33100L17syevj_offd_rotateILb0E19rocblas_complex_numIdEdPS3_EEvbiiT2_iilPT0_PiS8_S8_i
; %bb.0:
	s_clause 0x1
	s_load_b128 s[16:19], s[0:1], 0x0
	s_load_b32 s12, s[0:1], 0x48
	s_waitcnt lgkmcnt(0)
	s_abs_i32 s2, s17
	s_cmp_ge_u32 s15, s12
	v_cvt_f32_u32_e32 v1, s2
	s_delay_alu instid0(VALU_DEP_1) | instskip(SKIP_2) | instid1(VALU_DEP_1)
	v_rcp_iflag_f32_e32 v1, v1
	s_waitcnt_depctr 0xfff
	v_mul_f32_e32 v1, 0x4f7ffffe, v1
	v_cvt_u32_f32_e32 v1, v1
	s_delay_alu instid0(VALU_DEP_1)
	v_readfirstlane_b32 s3, v1
	s_cbranch_scc1 .LBB128_35
; %bb.1:
	s_sub_i32 s5, 0, s2
	s_add_i32 s4, s18, -1
	s_delay_alu instid0(VALU_DEP_1)
	s_mul_i32 s5, s5, s3
	s_ashr_i32 s6, s4, 31
	s_mul_hi_u32 s5, s3, s5
	s_ashr_i32 s7, s17, 31
	s_abs_i32 s4, s4
	s_add_i32 s3, s3, s5
	s_bitcmp1_b32 s16, 0
	s_mul_hi_u32 s3, s4, s3
	s_cselect_b32 s5, -1, 0
	s_mov_b32 s24, s15
	v_cndmask_b32_e64 v7, 0, 1, s5
	s_xor_b32 s15, s5, -1
	s_mul_i32 s5, s3, s2
	s_xor_b32 s6, s6, s7
	s_sub_i32 s4, s4, s5
	s_add_i32 s5, s3, 1
	s_sub_i32 s7, s4, s2
	s_cmp_ge_u32 s4, s2
	s_load_b128 s[20:23], s[0:1], 0x50
	s_cselect_b32 s3, s5, s3
	s_cselect_b32 s4, s7, s4
	s_add_i32 s5, s3, 1
	s_cmp_ge_u32 s4, s2
	s_load_b128 s[44:47], s[0:1], 0x10
	s_cselect_b32 s2, s5, s3
	s_lshl_b32 s28, s17, 1
	s_xor_b32 s2, s2, s6
	v_and_b32_e32 v4, 0x3ff, v0
	s_sub_i32 s16, s2, s6
	s_load_b64 s[2:3], s[0:1], 0x40
	s_add_i32 s26, s16, 1
	v_bfe_u32 v8, v0, 10, 10
	s_lshr_b32 s4, s26, 31
	v_lshl_add_u32 v11, v4, 4, 0
	s_add_i32 s25, s26, s4
	s_load_b256 s[4:11], s[0:1], 0x20
	s_and_b32 s0, s25, -2
	v_mov_b32_e32 v6, 0
	s_sub_i32 s0, s26, s0
	s_waitcnt lgkmcnt(0)
	s_lshr_b32 s27, s23, 16
	s_add_i32 s0, s0, s26
	s_and_b32 s23, s23, 0xffff
	s_lshr_b32 s1, s0, 31
	v_mad_u32_u24 v9, v8, s23, v4
	s_add_i32 s0, s0, s1
	s_mul_i32 s1, s28, s17
	s_ashr_i32 s29, s0, 1
	s_lshl_b32 s0, s1, 4
	s_mul_i32 s25, s1, 3
	s_add_i32 s30, s0, 0
	s_mov_b64 s[0:1], src_shared_base
	s_cmpk_lt_u32 s25, 0x1001
	s_mov_b32 s31, s1
	s_mul_i32 s1, s17, s17
	s_cselect_b32 s33, -1, 0
	s_ashr_i32 s43, s46, 31
	s_lshl_b32 s34, s1, 2
	s_cmp_lt_u32 s13, s29
	s_mul_i32 s0, s16, s17
	s_cselect_b32 s35, -1, 0
	s_sub_i32 s36, s18, s0
	s_cmp_lt_u32 s14, s26
	s_mov_b32 s42, s46
	s_cselect_b32 s38, -1, 0
	s_ashr_i32 s39, s47, 31
	s_add_u32 s40, s2, 4
	s_addc_u32 s41, s3, 0
	s_lshl_b64 s[2:3], s[42:43], 4
	v_lshlrev_b32_e32 v0, 4, v9
	s_add_u32 s42, s44, s2
	s_addc_u32 s43, s45, s3
	s_lshl_b32 s1, s1, 5
	v_cmp_gt_u32_e64 s0, s34, v9
	v_add3_u32 v10, 0, s1, v0
	s_mul_i32 s37, s27, s23
	s_mov_b32 s19, 0
	s_mov_b32 s44, s47
	s_lshl_b32 s45, s37, 4
	s_mul_i32 s46, s14, s17
	s_mul_i32 s47, s21, s17
	s_lshl_b32 s48, s27, 4
	s_lshl_b32 s49, s23, 4
	s_branch .LBB128_3
.LBB128_2:                              ;   in Loop: Header=BB128_3 Depth=1
	s_add_i32 s24, s24, s22
	s_delay_alu instid0(SALU_CYCLE_1)
	s_cmp_ge_u32 s24, s12
	s_cbranch_scc1 .LBB128_35
.LBB128_3:                              ; =>This Loop Header: Depth=1
                                        ;     Child Loop BB128_7 Depth 2
                                        ;       Child Loop BB128_11 Depth 3
                                        ;       Child Loop BB128_17 Depth 3
                                        ;         Child Loop BB128_23 Depth 4
                                        ;           Child Loop BB128_25 Depth 5
                                        ;         Child Loop BB128_29 Depth 4
                                        ;           Child Loop BB128_32 Depth 5
                                        ;             Child Loop BB128_34 Depth 6
	s_mov_b32 s25, s19
	s_delay_alu instid0(SALU_CYCLE_1) | instskip(NEXT) | instid1(SALU_CYCLE_1)
	s_lshl_b64 s[2:3], s[24:25], 2
	s_add_u32 s2, s40, s2
	s_addc_u32 s3, s41, s3
	s_load_b32 s1, s[2:3], 0x0
	s_waitcnt lgkmcnt(0)
	s_cmp_lg_u32 s1, 0
	s_cbranch_scc1 .LBB128_2
; %bb.4:                                ;   in Loop: Header=BB128_3 Depth=1
	s_and_not1_b32 vcc_lo, exec_lo, s35
	s_cbranch_vccnz .LBB128_2
; %bb.5:                                ;   in Loop: Header=BB128_3 Depth=1
	s_mul_i32 s1, s24, s5
	s_mul_hi_u32 s3, s24, s4
	s_mul_i32 s2, s24, s4
	s_add_i32 s3, s3, s1
	s_mul_i32 s25, s24, s29
	s_lshl_b64 s[2:3], s[2:3], 4
	s_mov_b32 s18, s13
	s_add_u32 s50, s42, s2
	s_addc_u32 s51, s43, s3
	s_branch .LBB128_7
.LBB128_6:                              ;   in Loop: Header=BB128_7 Depth=2
	s_add_i32 s18, s18, s20
	s_delay_alu instid0(SALU_CYCLE_1)
	s_cmp_lt_u32 s18, s29
	s_cbranch_scc0 .LBB128_2
.LBB128_7:                              ;   Parent Loop BB128_3 Depth=1
                                        ; =>  This Loop Header: Depth=2
                                        ;       Child Loop BB128_11 Depth 3
                                        ;       Child Loop BB128_17 Depth 3
                                        ;         Child Loop BB128_23 Depth 4
                                        ;           Child Loop BB128_25 Depth 5
                                        ;         Child Loop BB128_29 Depth 4
                                        ;           Child Loop BB128_32 Depth 5
                                        ;             Child Loop BB128_34 Depth 6
	s_lshl_b64 s[2:3], s[18:19], 2
	s_delay_alu instid0(SALU_CYCLE_1)
	s_add_u32 s52, s8, s2
	s_addc_u32 s53, s9, s3
	s_add_u32 s2, s10, s2
	s_addc_u32 s3, s11, s3
	s_clause 0x1
	global_load_b32 v0, v6, s[2:3]
	global_load_b32 v1, v6, s[52:53]
	s_waitcnt vmcnt(1)
	v_readfirstlane_b32 s1, v0
	s_waitcnt vmcnt(0)
	v_readfirstlane_b32 s2, v1
	s_delay_alu instid0(VALU_DEP_1) | instskip(NEXT) | instid1(SALU_CYCLE_1)
	s_max_i32 s52, s2, s1
	s_cmp_gt_i32 s52, s16
	s_cbranch_scc1 .LBB128_6
; %bb.8:                                ;   in Loop: Header=BB128_7 Depth=2
	s_add_i32 s3, s18, s25
	s_mov_b32 s55, s19
	s_mul_i32 s54, s34, s3
	s_delay_alu instid0(SALU_CYCLE_1) | instskip(NEXT) | instid1(SALU_CYCLE_1)
	s_lshl_b64 s[54:55], s[54:55], 4
	s_add_u32 s3, s6, s54
	s_addc_u32 s56, s7, s55
	s_and_not1_b32 vcc_lo, exec_lo, s33
	s_cbranch_vccnz .LBB128_13
; %bb.9:                                ;   in Loop: Header=BB128_7 Depth=2
	s_barrier
	buffer_gl0_inv
	s_and_saveexec_b32 s53, s0
	s_cbranch_execz .LBB128_12
; %bb.10:                               ;   in Loop: Header=BB128_7 Depth=2
	v_dual_mov_b32 v0, v10 :: v_dual_mov_b32 v5, v9
	s_mov_b32 s54, 0
.LBB128_11:                             ;   Parent Loop BB128_3 Depth=1
                                        ;     Parent Loop BB128_7 Depth=2
                                        ; =>    This Inner Loop Header: Depth=3
	s_delay_alu instid0(VALU_DEP_1) | instskip(SKIP_1) | instid1(VALU_DEP_2)
	v_lshlrev_b64 v[1:2], 4, v[5:6]
	v_add_nc_u32_e32 v5, s37, v5
	v_add_co_u32 v1, vcc_lo, s3, v1
	s_delay_alu instid0(VALU_DEP_3) | instskip(NEXT) | instid1(VALU_DEP_3)
	v_add_co_ci_u32_e32 v2, vcc_lo, s56, v2, vcc_lo
	v_cmp_le_u32_e32 vcc_lo, s34, v5
	global_load_b128 v[12:15], v[1:2], off
	s_or_b32 s54, vcc_lo, s54
	s_waitcnt vmcnt(0)
	ds_store_2addr_b64 v0, v[12:13], v[14:15] offset1:1
	v_add_nc_u32_e32 v0, s45, v0
	s_and_not1_b32 exec_lo, exec_lo, s54
	s_cbranch_execnz .LBB128_11
.LBB128_12:                             ;   in Loop: Header=BB128_7 Depth=2
	s_or_b32 exec_lo, exec_lo, s53
	s_waitcnt lgkmcnt(0)
	s_barrier
	buffer_gl0_inv
.LBB128_13:                             ;   in Loop: Header=BB128_7 Depth=2
	s_and_not1_b32 vcc_lo, exec_lo, s38
	s_cbranch_vccnz .LBB128_6
; %bb.14:                               ;   in Loop: Header=BB128_7 Depth=2
	s_min_i32 s53, s1, s2
	s_mul_i32 s2, s52, s17
	s_cmp_eq_u32 s16, s53
	s_mul_i32 s60, s53, s17
	s_cselect_b32 s54, s36, s17
	s_cmp_eq_u32 s16, s52
	s_mov_b32 s61, s46
	s_cselect_b32 s1, s36, s17
	s_mov_b32 s62, s14
	s_add_i32 s55, s54, s1
	s_and_b32 s1, s33, exec_lo
	s_cselect_b32 s56, s31, s56
	s_cselect_b32 s57, s30, s3
	s_sub_i32 s58, s2, s54
	v_cmp_gt_u32_e64 s1, s55, v8
	s_cmp_gt_i32 s55, 0
	s_cselect_b32 s59, -1, 0
	s_branch .LBB128_17
.LBB128_15:                             ;   in Loop: Header=BB128_17 Depth=3
	s_or_b32 exec_lo, exec_lo, s64
	s_waitcnt_vscnt null, 0x0
	s_barrier
	buffer_gl0_inv
.LBB128_16:                             ;   in Loop: Header=BB128_17 Depth=3
	s_add_i32 s62, s62, s21
	s_add_i32 s61, s61, s47
	s_cmp_lt_u32 s62, s26
	s_cbranch_scc0 .LBB128_6
.LBB128_17:                             ;   Parent Loop BB128_3 Depth=1
                                        ;     Parent Loop BB128_7 Depth=2
                                        ; =>    This Loop Header: Depth=3
                                        ;         Child Loop BB128_23 Depth 4
                                        ;           Child Loop BB128_25 Depth 5
                                        ;         Child Loop BB128_29 Depth 4
                                        ;           Child Loop BB128_32 Depth 5
                                        ;             Child Loop BB128_34 Depth 6
	v_cmp_ne_u32_e32 vcc_lo, 1, v7
	s_mov_b32 s2, s15
	s_cbranch_vccz .LBB128_19
; %bb.18:                               ;   in Loop: Header=BB128_17 Depth=3
	s_and_not1_b32 vcc_lo, exec_lo, s2
	s_cbranch_vccnz .LBB128_16
	s_branch .LBB128_20
.LBB128_19:                             ;   in Loop: Header=BB128_17 Depth=3
	s_cmp_lg_u32 s62, s53
	s_cselect_b32 s2, -1, 0
	s_cmp_lg_u32 s62, s52
	s_cselect_b32 s3, -1, 0
	s_delay_alu instid0(SALU_CYCLE_1) | instskip(NEXT) | instid1(SALU_CYCLE_1)
	s_and_b32 s2, s2, s3
	s_and_not1_b32 vcc_lo, exec_lo, s2
	s_cbranch_vccnz .LBB128_16
.LBB128_20:                             ;   in Loop: Header=BB128_17 Depth=3
	s_cmp_eq_u32 s16, s62
	s_cselect_b32 s63, s36, s17
	s_barrier
	buffer_gl0_inv
	s_and_saveexec_b32 s3, s1
	s_cbranch_execz .LBB128_26
; %bb.21:                               ;   in Loop: Header=BB128_17 Depth=3
	v_mad_u64_u32 v[0:1], null, v8, s63, v[4:5]
	v_cmp_gt_u32_e32 vcc_lo, s63, v4
	v_mov_b32_e32 v1, v8
	s_mul_i32 s64, s48, s63
	s_mov_b32 s65, 0
	s_delay_alu instid0(VALU_DEP_3)
	v_lshl_add_u32 v0, v0, 4, 0
	s_branch .LBB128_23
.LBB128_22:                             ;   in Loop: Header=BB128_23 Depth=4
	s_or_b32 exec_lo, exec_lo, s66
	v_add_nc_u32_e32 v1, s27, v1
	v_add_nc_u32_e32 v0, s64, v0
	s_delay_alu instid0(VALU_DEP_2) | instskip(NEXT) | instid1(VALU_DEP_1)
	v_cmp_le_u32_e64 s2, s55, v1
	s_or_b32 s65, s2, s65
	s_delay_alu instid0(SALU_CYCLE_1)
	s_and_not1_b32 exec_lo, exec_lo, s65
	s_cbranch_execz .LBB128_26
.LBB128_23:                             ;   Parent Loop BB128_3 Depth=1
                                        ;     Parent Loop BB128_7 Depth=2
                                        ;       Parent Loop BB128_17 Depth=3
                                        ; =>      This Loop Header: Depth=4
                                        ;           Child Loop BB128_25 Depth 5
	s_and_saveexec_b32 s66, vcc_lo
	s_cbranch_execz .LBB128_22
; %bb.24:                               ;   in Loop: Header=BB128_23 Depth=4
	v_mov_b32_e32 v2, s60
	v_cmp_gt_u32_e64 s2, s54, v1
	s_mov_b32 s67, 0
	s_delay_alu instid0(VALU_DEP_1) | instskip(NEXT) | instid1(VALU_DEP_1)
	v_cndmask_b32_e64 v2, s58, v2, s2
	v_add_nc_u32_e32 v5, v1, v2
	s_delay_alu instid0(VALU_DEP_1) | instskip(NEXT) | instid1(VALU_DEP_1)
	v_mad_u64_u32 v[2:3], null, v5, s44, 0
	v_mad_u64_u32 v[12:13], null, v5, s39, v[3:4]
	s_delay_alu instid0(VALU_DEP_1) | instskip(NEXT) | instid1(VALU_DEP_1)
	v_mov_b32_e32 v3, v12
	v_lshlrev_b64 v[12:13], 4, v[2:3]
	v_mov_b32_e32 v2, v0
	s_delay_alu instid0(VALU_DEP_2) | instskip(NEXT) | instid1(VALU_DEP_1)
	v_add_co_u32 v3, s2, s50, v12
	v_add_co_ci_u32_e64 v12, s2, s51, v13, s2
	v_mov_b32_e32 v13, v4
	.p2align	6
.LBB128_25:                             ;   Parent Loop BB128_3 Depth=1
                                        ;     Parent Loop BB128_7 Depth=2
                                        ;       Parent Loop BB128_17 Depth=3
                                        ;         Parent Loop BB128_23 Depth=4
                                        ; =>        This Inner Loop Header: Depth=5
	s_delay_alu instid0(VALU_DEP_1) | instskip(SKIP_1) | instid1(VALU_DEP_2)
	v_add_nc_u32_e32 v5, s61, v13
	v_add_nc_u32_e32 v13, s23, v13
	v_lshlrev_b64 v[14:15], 4, v[5:6]
	s_delay_alu instid0(VALU_DEP_1) | instskip(NEXT) | instid1(VALU_DEP_1)
	v_add_co_u32 v14, s2, v3, v14
	v_add_co_ci_u32_e64 v15, s2, v12, v15, s2
	s_delay_alu instid0(VALU_DEP_4)
	v_cmp_le_u32_e64 s2, s63, v13
	global_load_b128 v[14:17], v[14:15], off
	s_or_b32 s67, s2, s67
	s_waitcnt vmcnt(0)
	ds_store_2addr_b64 v2, v[14:15], v[16:17] offset1:1
	v_add_nc_u32_e32 v2, s49, v2
	s_and_not1_b32 exec_lo, exec_lo, s67
	s_cbranch_execnz .LBB128_25
	s_branch .LBB128_22
.LBB128_26:                             ;   in Loop: Header=BB128_17 Depth=3
	s_or_b32 exec_lo, exec_lo, s3
	s_waitcnt lgkmcnt(0)
	s_barrier
	buffer_gl0_inv
	s_and_saveexec_b32 s64, s1
	s_cbranch_execz .LBB128_15
; %bb.27:                               ;   in Loop: Header=BB128_17 Depth=3
	v_cmp_gt_u32_e64 s2, s63, v4
	v_mov_b32_e32 v12, v8
	s_mul_i32 s65, s62, s17
	s_lshl_b32 s66, s63, 4
	s_mov_b32 s67, 0
	s_branch .LBB128_29
.LBB128_28:                             ;   in Loop: Header=BB128_29 Depth=4
	s_or_b32 exec_lo, exec_lo, s68
	v_add_nc_u32_e32 v12, s27, v12
	s_delay_alu instid0(VALU_DEP_1) | instskip(SKIP_1) | instid1(SALU_CYCLE_1)
	v_cmp_le_u32_e32 vcc_lo, s55, v12
	s_or_b32 s67, vcc_lo, s67
	s_and_not1_b32 exec_lo, exec_lo, s67
	s_cbranch_execz .LBB128_15
.LBB128_29:                             ;   Parent Loop BB128_3 Depth=1
                                        ;     Parent Loop BB128_7 Depth=2
                                        ;       Parent Loop BB128_17 Depth=3
                                        ; =>      This Loop Header: Depth=4
                                        ;           Child Loop BB128_32 Depth 5
                                        ;             Child Loop BB128_34 Depth 6
	s_and_saveexec_b32 s68, s2
	s_cbranch_execz .LBB128_28
; %bb.30:                               ;   in Loop: Header=BB128_29 Depth=4
	v_mov_b32_e32 v0, s60
	v_cmp_gt_u32_e32 vcc_lo, s54, v12
	v_mov_b32_e32 v16, v4
	s_mov_b32 s69, 0
	s_delay_alu instid0(VALU_DEP_3) | instskip(NEXT) | instid1(VALU_DEP_1)
	v_dual_mov_b32 v13, v11 :: v_dual_cndmask_b32 v0, s58, v0
	v_add_nc_u32_e32 v5, v12, v0
	s_delay_alu instid0(VALU_DEP_1) | instskip(NEXT) | instid1(VALU_DEP_1)
	v_mad_u64_u32 v[0:1], null, v5, s44, 0
	v_mad_u64_u32 v[2:3], null, v5, s39, v[1:2]
	s_delay_alu instid0(VALU_DEP_1) | instskip(NEXT) | instid1(VALU_DEP_1)
	v_mov_b32_e32 v1, v2
	v_lshlrev_b64 v[0:1], 4, v[0:1]
	s_delay_alu instid0(VALU_DEP_1) | instskip(NEXT) | instid1(VALU_DEP_2)
	v_add_co_u32 v14, vcc_lo, s50, v0
	v_add_co_ci_u32_e32 v15, vcc_lo, s51, v1, vcc_lo
	s_branch .LBB128_32
.LBB128_31:                             ;   in Loop: Header=BB128_32 Depth=5
	v_add_nc_u32_e32 v5, s65, v16
	v_add_nc_u32_e32 v16, s23, v16
	;; [unrolled: 1-line block ×3, first 2 shown]
	s_delay_alu instid0(VALU_DEP_3) | instskip(NEXT) | instid1(VALU_DEP_3)
	v_lshlrev_b64 v[17:18], 4, v[5:6]
	v_cmp_le_u32_e32 vcc_lo, s63, v16
	s_or_b32 s69, vcc_lo, s69
	s_delay_alu instid0(VALU_DEP_2) | instskip(NEXT) | instid1(VALU_DEP_1)
	v_add_co_u32 v17, s3, v14, v17
	v_add_co_ci_u32_e64 v18, s3, v15, v18, s3
	global_store_b128 v[17:18], v[0:3], off
	s_and_not1_b32 exec_lo, exec_lo, s69
	s_cbranch_execz .LBB128_28
.LBB128_32:                             ;   Parent Loop BB128_3 Depth=1
                                        ;     Parent Loop BB128_7 Depth=2
                                        ;       Parent Loop BB128_17 Depth=3
                                        ;         Parent Loop BB128_29 Depth=4
                                        ; =>        This Loop Header: Depth=5
                                        ;             Child Loop BB128_34 Depth 6
	v_mov_b32_e32 v2, 0
	v_mov_b32_e32 v3, 0
	s_delay_alu instid0(VALU_DEP_2) | instskip(SKIP_1) | instid1(VALU_DEP_2)
	v_mov_b32_e32 v0, v2
	s_and_not1_b32 vcc_lo, exec_lo, s59
	v_mov_b32_e32 v1, v3
	s_cbranch_vccnz .LBB128_31
; %bb.33:                               ;   in Loop: Header=BB128_32 Depth=5
	v_dual_mov_b32 v2, 0 :: v_dual_mov_b32 v5, v12
	v_mov_b32_e32 v3, 0
	s_delay_alu instid0(VALU_DEP_2) | instskip(SKIP_1) | instid1(VALU_DEP_2)
	v_dual_mov_b32 v17, v13 :: v_dual_mov_b32 v0, v2
	s_mov_b32 s3, s55
	v_mov_b32_e32 v1, v3
	.p2align	6
.LBB128_34:                             ;   Parent Loop BB128_3 Depth=1
                                        ;     Parent Loop BB128_7 Depth=2
                                        ;       Parent Loop BB128_17 Depth=3
                                        ;         Parent Loop BB128_29 Depth=4
                                        ;           Parent Loop BB128_32 Depth=5
                                        ; =>          This Inner Loop Header: Depth=6
	v_lshlrev_b64 v[18:19], 4, v[5:6]
	ds_load_2addr_b64 v[22:25], v17 offset1:1
	v_add_nc_u32_e32 v17, s66, v17
	v_add_nc_u32_e32 v5, s28, v5
	s_add_i32 s3, s3, -1
	s_delay_alu instid0(SALU_CYCLE_1)
	s_cmp_eq_u32 s3, 0
	v_add_co_u32 v18, vcc_lo, s57, v18
	v_add_co_ci_u32_e32 v19, vcc_lo, s56, v19, vcc_lo
	flat_load_b128 v[18:21], v[18:19]
	s_waitcnt vmcnt(0) lgkmcnt(0)
	v_mul_f64 v[26:27], v[24:25], v[20:21]
	v_mul_f64 v[20:21], v[22:23], v[20:21]
	s_delay_alu instid0(VALU_DEP_2) | instskip(NEXT) | instid1(VALU_DEP_2)
	v_fma_f64 v[22:23], v[22:23], v[18:19], -v[26:27]
	v_fma_f64 v[18:19], v[24:25], v[18:19], v[20:21]
	s_delay_alu instid0(VALU_DEP_2) | instskip(NEXT) | instid1(VALU_DEP_2)
	v_add_f64 v[0:1], v[0:1], v[22:23]
	v_add_f64 v[2:3], v[2:3], v[18:19]
	s_cbranch_scc0 .LBB128_34
	s_branch .LBB128_31
.LBB128_35:
	s_endpgm
	.section	.rodata,"a",@progbits
	.p2align	6, 0x0
	.amdhsa_kernel _ZN9rocsolver6v33100L17syevj_offd_rotateILb0E19rocblas_complex_numIdEdPS3_EEvbiiT2_iilPT0_PiS8_S8_i
		.amdhsa_group_segment_fixed_size 0
		.amdhsa_private_segment_fixed_size 0
		.amdhsa_kernarg_size 336
		.amdhsa_user_sgpr_count 13
		.amdhsa_user_sgpr_dispatch_ptr 0
		.amdhsa_user_sgpr_queue_ptr 0
		.amdhsa_user_sgpr_kernarg_segment_ptr 1
		.amdhsa_user_sgpr_dispatch_id 0
		.amdhsa_user_sgpr_private_segment_size 0
		.amdhsa_wavefront_size32 1
		.amdhsa_uses_dynamic_stack 0
		.amdhsa_enable_private_segment 0
		.amdhsa_system_sgpr_workgroup_id_x 1
		.amdhsa_system_sgpr_workgroup_id_y 1
		.amdhsa_system_sgpr_workgroup_id_z 1
		.amdhsa_system_sgpr_workgroup_info 0
		.amdhsa_system_vgpr_workitem_id 1
		.amdhsa_next_free_vgpr 28
		.amdhsa_next_free_sgpr 70
		.amdhsa_reserve_vcc 1
		.amdhsa_float_round_mode_32 0
		.amdhsa_float_round_mode_16_64 0
		.amdhsa_float_denorm_mode_32 3
		.amdhsa_float_denorm_mode_16_64 3
		.amdhsa_dx10_clamp 1
		.amdhsa_ieee_mode 1
		.amdhsa_fp16_overflow 0
		.amdhsa_workgroup_processor_mode 1
		.amdhsa_memory_ordered 1
		.amdhsa_forward_progress 0
		.amdhsa_shared_vgpr_count 0
		.amdhsa_exception_fp_ieee_invalid_op 0
		.amdhsa_exception_fp_denorm_src 0
		.amdhsa_exception_fp_ieee_div_zero 0
		.amdhsa_exception_fp_ieee_overflow 0
		.amdhsa_exception_fp_ieee_underflow 0
		.amdhsa_exception_fp_ieee_inexact 0
		.amdhsa_exception_int_div_zero 0
	.end_amdhsa_kernel
	.section	.text._ZN9rocsolver6v33100L17syevj_offd_rotateILb0E19rocblas_complex_numIdEdPS3_EEvbiiT2_iilPT0_PiS8_S8_i,"axG",@progbits,_ZN9rocsolver6v33100L17syevj_offd_rotateILb0E19rocblas_complex_numIdEdPS3_EEvbiiT2_iilPT0_PiS8_S8_i,comdat
.Lfunc_end128:
	.size	_ZN9rocsolver6v33100L17syevj_offd_rotateILb0E19rocblas_complex_numIdEdPS3_EEvbiiT2_iilPT0_PiS8_S8_i, .Lfunc_end128-_ZN9rocsolver6v33100L17syevj_offd_rotateILb0E19rocblas_complex_numIdEdPS3_EEvbiiT2_iilPT0_PiS8_S8_i
                                        ; -- End function
	.section	.AMDGPU.csdata,"",@progbits
; Kernel info:
; codeLenInByte = 1740
; NumSgprs: 72
; NumVgprs: 28
; ScratchSize: 0
; MemoryBound: 0
; FloatMode: 240
; IeeeMode: 1
; LDSByteSize: 0 bytes/workgroup (compile time only)
; SGPRBlocks: 8
; VGPRBlocks: 3
; NumSGPRsForWavesPerEU: 72
; NumVGPRsForWavesPerEU: 28
; Occupancy: 16
; WaveLimiterHint : 1
; COMPUTE_PGM_RSRC2:SCRATCH_EN: 0
; COMPUTE_PGM_RSRC2:USER_SGPR: 13
; COMPUTE_PGM_RSRC2:TRAP_HANDLER: 0
; COMPUTE_PGM_RSRC2:TGID_X_EN: 1
; COMPUTE_PGM_RSRC2:TGID_Y_EN: 1
; COMPUTE_PGM_RSRC2:TGID_Z_EN: 1
; COMPUTE_PGM_RSRC2:TIDIG_COMP_CNT: 1
	.section	.text._ZN9rocsolver6v33100L21syevj_offd_rotate_orgILb1E19rocblas_complex_numIdEdPS3_EEvbiiT2_iilPT0_PiS8_S8_,"axG",@progbits,_ZN9rocsolver6v33100L21syevj_offd_rotate_orgILb1E19rocblas_complex_numIdEdPS3_EEvbiiT2_iilPT0_PiS8_S8_,comdat
	.globl	_ZN9rocsolver6v33100L21syevj_offd_rotate_orgILb1E19rocblas_complex_numIdEdPS3_EEvbiiT2_iilPT0_PiS8_S8_ ; -- Begin function _ZN9rocsolver6v33100L21syevj_offd_rotate_orgILb1E19rocblas_complex_numIdEdPS3_EEvbiiT2_iilPT0_PiS8_S8_
	.p2align	8
	.type	_ZN9rocsolver6v33100L21syevj_offd_rotate_orgILb1E19rocblas_complex_numIdEdPS3_EEvbiiT2_iilPT0_PiS8_S8_,@function
_ZN9rocsolver6v33100L21syevj_offd_rotate_orgILb1E19rocblas_complex_numIdEdPS3_EEvbiiT2_iilPT0_PiS8_S8_: ; @_ZN9rocsolver6v33100L21syevj_offd_rotate_orgILb1E19rocblas_complex_numIdEdPS3_EEvbiiT2_iilPT0_PiS8_S8_
; %bb.0:
	s_load_b64 s[2:3], s[0:1], 0x40
	s_mov_b32 s12, s15
	s_mov_b32 s16, s13
	s_ashr_i32 s13, s15, 31
	s_delay_alu instid0(SALU_CYCLE_1)
	s_lshl_b64 s[4:5], s[12:13], 2
	s_waitcnt lgkmcnt(0)
	s_add_u32 s2, s2, s4
	s_addc_u32 s3, s3, s5
	s_load_b32 s2, s[2:3], 0x4
	s_waitcnt lgkmcnt(0)
	s_cmp_lg_u32 s2, 0
	s_cbranch_scc0 .LBB129_2
.LBB129_1:
	s_endpgm
.LBB129_2:
	s_load_b256 s[4:11], s[0:1], 0x20
	s_ashr_i32 s17, s16, 31
	s_delay_alu instid0(SALU_CYCLE_1)
	s_lshl_b64 s[2:3], s[16:17], 2
	s_waitcnt lgkmcnt(0)
	s_add_u32 s8, s8, s2
	s_addc_u32 s9, s9, s3
	s_add_u32 s2, s10, s2
	s_addc_u32 s3, s11, s3
	s_load_b32 s17, s[8:9], 0x0
	s_load_b32 s18, s[2:3], 0x0
	s_load_b128 s[8:11], s[0:1], 0x0
	s_waitcnt lgkmcnt(0)
	s_max_i32 s15, s17, s18
	s_delay_alu instid0(SALU_CYCLE_1)
	s_cmp_ge_i32 s15, s9
	s_cbranch_scc1 .LBB129_1
; %bb.3:
	s_add_u32 s2, s0, 0x48
	s_addc_u32 s3, s1, 0
	s_bitcmp1_b32 s8, 0
	s_cselect_b32 s8, -1, 0
	s_min_i32 s11, s17, s18
	s_xor_b32 s8, s8, -1
	s_delay_alu instid0(SALU_CYCLE_1)
	s_and_b32 vcc_lo, exec_lo, s8
	s_cbranch_vccnz .LBB129_5
; %bb.4:
	s_lshr_b32 s8, s14, 31
	s_delay_alu instid0(SALU_CYCLE_1) | instskip(NEXT) | instid1(SALU_CYCLE_1)
	s_add_i32 s8, s14, s8
	s_ashr_i32 s8, s8, 1
	s_delay_alu instid0(SALU_CYCLE_1) | instskip(SKIP_3) | instid1(SALU_CYCLE_1)
	s_cmp_lg_u32 s8, s11
	s_cselect_b32 s9, -1, 0
	s_cmp_lg_u32 s8, s15
	s_cselect_b32 s8, -1, 0
	s_and_b32 s8, s9, s8
.LBB129_5:
	s_delay_alu instid0(SALU_CYCLE_1)
	s_and_not1_b32 vcc_lo, exec_lo, s8
	s_cbranch_vccnz .LBB129_1
; %bb.6:
	s_load_b32 s17, s[2:3], 0xc
	v_bfe_u32 v2, v0, 10, 10
	s_waitcnt lgkmcnt(0)
	s_bfe_u32 s8, s17, 0xf0001
	s_lshr_b32 s2, s17, 16
	s_mul_i32 s11, s11, s8
	s_delay_alu instid0(SALU_CYCLE_1) | instskip(SKIP_1) | instid1(SALU_CYCLE_1)
	v_dual_mov_b32 v1, s11 :: v_dual_and_b32 v10, 0x3ff, v0
	s_mul_i32 s9, s15, s8
	s_sub_i32 s3, s9, s8
	s_delay_alu instid0(VALU_DEP_1) | instskip(NEXT) | instid1(VALU_DEP_2)
	v_cmp_gt_u32_e32 vcc_lo, s8, v10
	v_cndmask_b32_e32 v3, s3, v1, vcc_lo
	s_delay_alu instid0(VALU_DEP_1) | instskip(SKIP_2) | instid1(VALU_DEP_1)
	v_mad_u64_u32 v[0:1], null, s14, s2, v[2:3]
	v_add_nc_u32_e32 v8, v3, v10
	s_mov_b32 s2, exec_lo
	v_max_i32_e32 v1, v8, v0
	s_delay_alu instid0(VALU_DEP_1)
	v_cmpx_gt_i32_e64 s10, v1
	s_cbranch_execz .LBB129_1
; %bb.7:
	s_clause 0x1
	s_load_b32 s18, s[0:1], 0x48
	s_load_b128 s[0:3], s[0:1], 0x10
	s_mul_i32 s5, s12, s5
	s_mul_hi_u32 s14, s12, s4
	s_mul_i32 s13, s13, s4
	s_add_i32 s5, s14, s5
	s_mul_i32 s14, s12, s4
	s_add_i32 s15, s5, s13
	s_and_b32 s17, s17, 0xffff
	s_lshl_b64 s[14:15], s[14:15], 4
	s_lshl_b32 s4, s8, 1
	s_waitcnt lgkmcnt(0)
	s_mul_i32 s5, s18, s12
	s_ashr_i32 s13, s2, 31
	s_mov_b32 s12, s2
	s_add_i32 s2, s5, s16
	s_add_u32 s5, s0, s14
	s_mul_i32 s2, s2, s8
	s_addc_u32 s14, s1, s15
	s_lshl_b64 s[0:1], s[12:13], 4
	s_mul_i32 s2, s2, s8
	s_add_u32 s0, s5, s0
	s_addc_u32 s1, s14, s1
	s_lshl_b32 s12, s2, 2
	v_mul_lo_u32 v11, v0, s3
	s_ashr_i32 s13, s12, 31
	s_delay_alu instid0(SALU_CYCLE_1) | instskip(NEXT) | instid1(SALU_CYCLE_1)
	s_lshl_b64 s[12:13], s[12:13], 4
	s_add_u32 s2, s6, s12
	s_addc_u32 s5, s7, s13
	s_cmp_gt_u32 s17, 1
	s_cbranch_scc0 .LBB129_11
; %bb.8:
	v_mul_lo_u32 v9, v0, s3
	v_dual_mov_b32 v2, 0 :: v_dual_mov_b32 v5, 0
	v_dual_mov_b32 v3, 0 :: v_dual_mov_b32 v4, v10
	s_delay_alu instid0(VALU_DEP_2) | instskip(SKIP_1) | instid1(VALU_DEP_2)
	v_mov_b32_e32 v0, v2
	s_mov_b32 s3, s8
	v_dual_mov_b32 v1, v3 :: v_dual_add_nc_u32 v6, s11, v9
	.p2align	6
.LBB129_9:                              ; =>This Inner Loop Header: Depth=1
	s_delay_alu instid0(VALU_DEP_1) | instskip(SKIP_3) | instid1(SALU_CYCLE_1)
	v_ashrrev_i32_e32 v7, 31, v6
	v_lshlrev_b64 v[12:13], 4, v[4:5]
	v_add_nc_u32_e32 v4, s4, v4
	s_add_i32 s3, s3, -1
	s_cmp_eq_u32 s3, 0
	v_lshlrev_b64 v[14:15], 4, v[6:7]
	s_delay_alu instid0(VALU_DEP_3) | instskip(SKIP_2) | instid1(VALU_DEP_4)
	v_add_co_u32 v12, vcc_lo, s2, v12
	v_add_co_ci_u32_e32 v13, vcc_lo, s5, v13, vcc_lo
	v_add_nc_u32_e32 v6, 1, v6
	v_add_co_u32 v16, vcc_lo, s0, v14
	v_add_co_ci_u32_e32 v17, vcc_lo, s1, v15, vcc_lo
	global_load_b128 v[12:15], v[12:13], off
	global_load_b128 v[16:19], v[16:17], off
	s_waitcnt vmcnt(0)
	v_mul_f64 v[20:21], v[14:15], v[18:19]
	v_mul_f64 v[14:15], v[14:15], v[16:17]
	s_delay_alu instid0(VALU_DEP_2) | instskip(NEXT) | instid1(VALU_DEP_2)
	v_fma_f64 v[16:17], v[12:13], v[16:17], v[20:21]
	v_fma_f64 v[12:13], v[12:13], v[18:19], -v[14:15]
	s_delay_alu instid0(VALU_DEP_2) | instskip(NEXT) | instid1(VALU_DEP_2)
	v_add_f64 v[0:1], v[0:1], v[16:17]
	v_add_f64 v[2:3], v[2:3], v[12:13]
	s_cbranch_scc0 .LBB129_9
; %bb.10:
	s_mov_b32 s3, 0
	s_branch .LBB129_12
.LBB129_11:
	s_mov_b32 s3, -1
                                        ; implicit-def: $vgpr2_vgpr3
                                        ; implicit-def: $vgpr9
.LBB129_12:
	s_delay_alu instid0(SALU_CYCLE_1)
	s_and_b32 vcc_lo, exec_lo, s3
	s_cbranch_vccz .LBB129_14
; %bb.13:
	v_dual_mov_b32 v0, 0 :: v_dual_mov_b32 v9, v11
	v_mov_b32_e32 v1, 0
	s_delay_alu instid0(VALU_DEP_1)
	v_dual_mov_b32 v3, v1 :: v_dual_mov_b32 v2, v0
.LBB129_14:
	s_sub_i32 s3, s10, s9
	s_delay_alu instid0(SALU_CYCLE_1) | instskip(NEXT) | instid1(SALU_CYCLE_1)
	s_min_i32 s3, s3, s8
	s_cmp_lt_i32 s3, 1
	s_cbranch_scc1 .LBB129_17
; %bb.15:
	s_mul_i32 s8, s8, s8
	v_dual_mov_b32 v7, 0 :: v_dual_add_nc_u32 v4, s9, v9
	v_lshl_add_u32 v6, s8, 1, v10
	.p2align	6
.LBB129_16:                             ; =>This Inner Loop Header: Depth=1
	s_delay_alu instid0(VALU_DEP_2) | instskip(NEXT) | instid1(VALU_DEP_2)
	v_ashrrev_i32_e32 v5, 31, v4
	v_lshlrev_b64 v[10:11], 4, v[6:7]
	v_add_nc_u32_e32 v6, s4, v6
	s_add_i32 s3, s3, -1
	s_delay_alu instid0(SALU_CYCLE_1) | instskip(SKIP_1) | instid1(VALU_DEP_3)
	s_cmp_lg_u32 s3, 0
	v_lshlrev_b64 v[12:13], 4, v[4:5]
	v_add_co_u32 v10, vcc_lo, s2, v10
	v_add_co_ci_u32_e32 v11, vcc_lo, s5, v11, vcc_lo
	v_add_nc_u32_e32 v4, 1, v4
	s_delay_alu instid0(VALU_DEP_4)
	v_add_co_u32 v14, vcc_lo, s0, v12
	v_add_co_ci_u32_e32 v15, vcc_lo, s1, v13, vcc_lo
	global_load_b128 v[10:13], v[10:11], off
	global_load_b128 v[14:17], v[14:15], off
	s_waitcnt vmcnt(0)
	v_mul_f64 v[18:19], v[12:13], v[16:17]
	v_mul_f64 v[12:13], v[12:13], v[14:15]
	s_delay_alu instid0(VALU_DEP_2) | instskip(NEXT) | instid1(VALU_DEP_2)
	v_fma_f64 v[14:15], v[10:11], v[14:15], v[18:19]
	v_fma_f64 v[10:11], v[10:11], v[16:17], -v[12:13]
	s_delay_alu instid0(VALU_DEP_2) | instskip(NEXT) | instid1(VALU_DEP_2)
	v_add_f64 v[0:1], v[0:1], v[14:15]
	v_add_f64 v[2:3], v[2:3], v[10:11]
	s_cbranch_scc1 .LBB129_16
.LBB129_17:
	v_add_nc_u32_e32 v4, v8, v9
	s_barrier
	buffer_gl0_inv
	v_ashrrev_i32_e32 v5, 31, v4
	s_delay_alu instid0(VALU_DEP_1) | instskip(NEXT) | instid1(VALU_DEP_1)
	v_lshlrev_b64 v[4:5], 4, v[4:5]
	v_add_co_u32 v4, vcc_lo, s0, v4
	s_delay_alu instid0(VALU_DEP_2)
	v_add_co_ci_u32_e32 v5, vcc_lo, s1, v5, vcc_lo
	global_store_b128 v[4:5], v[0:3], off
	s_nop 0
	s_sendmsg sendmsg(MSG_DEALLOC_VGPRS)
	s_endpgm
	.section	.rodata,"a",@progbits
	.p2align	6, 0x0
	.amdhsa_kernel _ZN9rocsolver6v33100L21syevj_offd_rotate_orgILb1E19rocblas_complex_numIdEdPS3_EEvbiiT2_iilPT0_PiS8_S8_
		.amdhsa_group_segment_fixed_size 0
		.amdhsa_private_segment_fixed_size 0
		.amdhsa_kernarg_size 328
		.amdhsa_user_sgpr_count 13
		.amdhsa_user_sgpr_dispatch_ptr 0
		.amdhsa_user_sgpr_queue_ptr 0
		.amdhsa_user_sgpr_kernarg_segment_ptr 1
		.amdhsa_user_sgpr_dispatch_id 0
		.amdhsa_user_sgpr_private_segment_size 0
		.amdhsa_wavefront_size32 1
		.amdhsa_uses_dynamic_stack 0
		.amdhsa_enable_private_segment 0
		.amdhsa_system_sgpr_workgroup_id_x 1
		.amdhsa_system_sgpr_workgroup_id_y 1
		.amdhsa_system_sgpr_workgroup_id_z 1
		.amdhsa_system_sgpr_workgroup_info 0
		.amdhsa_system_vgpr_workitem_id 1
		.amdhsa_next_free_vgpr 22
		.amdhsa_next_free_sgpr 19
		.amdhsa_reserve_vcc 1
		.amdhsa_float_round_mode_32 0
		.amdhsa_float_round_mode_16_64 0
		.amdhsa_float_denorm_mode_32 3
		.amdhsa_float_denorm_mode_16_64 3
		.amdhsa_dx10_clamp 1
		.amdhsa_ieee_mode 1
		.amdhsa_fp16_overflow 0
		.amdhsa_workgroup_processor_mode 1
		.amdhsa_memory_ordered 1
		.amdhsa_forward_progress 0
		.amdhsa_shared_vgpr_count 0
		.amdhsa_exception_fp_ieee_invalid_op 0
		.amdhsa_exception_fp_denorm_src 0
		.amdhsa_exception_fp_ieee_div_zero 0
		.amdhsa_exception_fp_ieee_overflow 0
		.amdhsa_exception_fp_ieee_underflow 0
		.amdhsa_exception_fp_ieee_inexact 0
		.amdhsa_exception_int_div_zero 0
	.end_amdhsa_kernel
	.section	.text._ZN9rocsolver6v33100L21syevj_offd_rotate_orgILb1E19rocblas_complex_numIdEdPS3_EEvbiiT2_iilPT0_PiS8_S8_,"axG",@progbits,_ZN9rocsolver6v33100L21syevj_offd_rotate_orgILb1E19rocblas_complex_numIdEdPS3_EEvbiiT2_iilPT0_PiS8_S8_,comdat
.Lfunc_end129:
	.size	_ZN9rocsolver6v33100L21syevj_offd_rotate_orgILb1E19rocblas_complex_numIdEdPS3_EEvbiiT2_iilPT0_PiS8_S8_, .Lfunc_end129-_ZN9rocsolver6v33100L21syevj_offd_rotate_orgILb1E19rocblas_complex_numIdEdPS3_EEvbiiT2_iilPT0_PiS8_S8_
                                        ; -- End function
	.section	.AMDGPU.csdata,"",@progbits
; Kernel info:
; codeLenInByte = 1000
; NumSgprs: 21
; NumVgprs: 22
; ScratchSize: 0
; MemoryBound: 0
; FloatMode: 240
; IeeeMode: 1
; LDSByteSize: 0 bytes/workgroup (compile time only)
; SGPRBlocks: 2
; VGPRBlocks: 2
; NumSGPRsForWavesPerEU: 21
; NumVGPRsForWavesPerEU: 22
; Occupancy: 16
; WaveLimiterHint : 0
; COMPUTE_PGM_RSRC2:SCRATCH_EN: 0
; COMPUTE_PGM_RSRC2:USER_SGPR: 13
; COMPUTE_PGM_RSRC2:TRAP_HANDLER: 0
; COMPUTE_PGM_RSRC2:TGID_X_EN: 1
; COMPUTE_PGM_RSRC2:TGID_Y_EN: 1
; COMPUTE_PGM_RSRC2:TGID_Z_EN: 1
; COMPUTE_PGM_RSRC2:TIDIG_COMP_CNT: 1
	.section	.text._ZN9rocsolver6v33100L17syevj_offd_rotateILb1E19rocblas_complex_numIdEdPS3_EEvbiiT2_iilPT0_PiS8_S8_i,"axG",@progbits,_ZN9rocsolver6v33100L17syevj_offd_rotateILb1E19rocblas_complex_numIdEdPS3_EEvbiiT2_iilPT0_PiS8_S8_i,comdat
	.globl	_ZN9rocsolver6v33100L17syevj_offd_rotateILb1E19rocblas_complex_numIdEdPS3_EEvbiiT2_iilPT0_PiS8_S8_i ; -- Begin function _ZN9rocsolver6v33100L17syevj_offd_rotateILb1E19rocblas_complex_numIdEdPS3_EEvbiiT2_iilPT0_PiS8_S8_i
	.p2align	8
	.type	_ZN9rocsolver6v33100L17syevj_offd_rotateILb1E19rocblas_complex_numIdEdPS3_EEvbiiT2_iilPT0_PiS8_S8_i,@function
_ZN9rocsolver6v33100L17syevj_offd_rotateILb1E19rocblas_complex_numIdEdPS3_EEvbiiT2_iilPT0_PiS8_S8_i: ; @_ZN9rocsolver6v33100L17syevj_offd_rotateILb1E19rocblas_complex_numIdEdPS3_EEvbiiT2_iilPT0_PiS8_S8_i
; %bb.0:
	s_clause 0x1
	s_load_b128 s[16:19], s[0:1], 0x0
	s_load_b32 s3, s[0:1], 0x48
	s_waitcnt lgkmcnt(0)
	s_abs_i32 s2, s17
	s_cmp_ge_u32 s15, s3
	v_cvt_f32_u32_e32 v1, s2
	s_delay_alu instid0(VALU_DEP_1) | instskip(SKIP_2) | instid1(VALU_DEP_1)
	v_rcp_iflag_f32_e32 v1, v1
	s_waitcnt_depctr 0xfff
	v_mul_f32_e32 v1, 0x4f7ffffe, v1
	v_cvt_u32_f32_e32 v1, v1
	s_delay_alu instid0(VALU_DEP_1)
	v_readfirstlane_b32 s4, v1
	s_cbranch_scc1 .LBB130_35
; %bb.1:
	s_sub_i32 s6, 0, s2
	s_add_i32 s5, s18, -1
	s_delay_alu instid0(VALU_DEP_1)
	s_mul_i32 s6, s6, s4
	s_ashr_i32 s7, s5, 31
	s_mul_hi_u32 s6, s4, s6
	s_ashr_i32 s8, s17, 31
	s_abs_i32 s5, s5
	s_add_i32 s4, s4, s6
	s_bitcmp1_b32 s16, 0
	s_mul_hi_u32 s4, s5, s4
	s_cselect_b32 s6, -1, 0
	s_xor_b32 s7, s7, s8
	v_cndmask_b32_e64 v9, 0, 1, s6
	s_xor_b32 s12, s6, -1
	s_mul_i32 s6, s4, s2
	s_mov_b32 s24, s15
	s_sub_i32 s5, s5, s6
	s_add_i32 s6, s4, 1
	s_sub_i32 s8, s5, s2
	s_cmp_ge_u32 s5, s2
	s_clause 0x1
	s_load_b128 s[20:23], s[0:1], 0x50
	s_load_b64 s[40:41], s[0:1], 0x40
	s_cselect_b32 s4, s6, s4
	s_cselect_b32 s5, s8, s5
	s_add_i32 s6, s4, 1
	s_cmp_ge_u32 s5, s2
	s_load_b128 s[44:47], s[0:1], 0x10
	s_cselect_b32 s2, s6, s4
	s_lshl_b32 s27, s17, 1
	s_xor_b32 s2, s2, s7
	v_and_b32_e32 v4, 0x3ff, v0
	s_sub_i32 s15, s2, s7
	s_load_b256 s[4:11], s[0:1], 0x20
	s_add_i32 s16, s15, 1
	v_bfe_u32 v10, v0, 10, 10
	s_lshr_b32 s2, s16, 31
	v_mov_b32_e32 v6, 0
	s_add_i32 s2, s16, s2
	s_mov_b32 s19, 0
	s_and_b32 s0, s2, -2
	s_waitcnt lgkmcnt(0)
	s_lshr_b32 s26, s23, 16
	s_sub_i32 s0, s16, s0
	s_and_b32 s23, s23, 0xffff
	s_add_i32 s0, s0, s16
	v_mad_u32_u24 v11, v10, s23, v4
	s_lshr_b32 s1, s0, 31
	s_mov_b32 s42, s46
	s_add_i32 s0, s0, s1
	s_mul_i32 s1, s27, s17
	s_ashr_i32 s28, s0, 1
	s_lshl_b32 s0, s1, 4
	s_mul_i32 s2, s1, 3
	s_add_i32 s29, s0, 0
	s_mov_b64 s[0:1], src_shared_base
	s_cmpk_lt_u32 s2, 0x1001
	s_mov_b32 s30, s1
	s_mul_i32 s1, s17, s17
	s_cselect_b32 s31, -1, 0
	s_ashr_i32 s43, s46, 31
	s_lshl_b32 s33, s1, 2
	s_cmp_lt_u32 s13, s28
	s_mul_i32 s0, s15, s17
	s_cselect_b32 s34, -1, 0
	s_sub_i32 s35, s18, s0
	s_cmp_lt_u32 s14, s16
	v_lshlrev_b32_e32 v0, 4, v11
	s_cselect_b32 s37, -1, 0
	s_ashr_i32 s38, s47, 31
	s_add_u32 s39, s40, 4
	s_addc_u32 s40, s41, 0
	s_lshl_b64 s[42:43], s[42:43], 4
	v_cmp_gt_u32_e64 s0, s33, v11
	s_add_u32 s41, s44, s42
	s_addc_u32 s42, s45, s43
	s_lshl_b32 s1, s1, 5
	v_lshlrev_b32_e32 v13, 4, v10
	v_add3_u32 v12, 0, s1, v0
	s_mul_i32 s36, s26, s23
	s_mov_b32 s43, s47
	s_lshl_b32 s44, s36, 4
	s_lshl_b32 s45, s26, 4
	;; [unrolled: 1-line block ×3, first 2 shown]
	s_branch .LBB130_3
.LBB130_2:                              ;   in Loop: Header=BB130_3 Depth=1
	s_add_i32 s24, s24, s22
	s_delay_alu instid0(SALU_CYCLE_1)
	s_cmp_ge_u32 s24, s3
	s_cbranch_scc1 .LBB130_35
.LBB130_3:                              ; =>This Loop Header: Depth=1
                                        ;     Child Loop BB130_7 Depth 2
                                        ;       Child Loop BB130_11 Depth 3
                                        ;       Child Loop BB130_17 Depth 3
                                        ;         Child Loop BB130_23 Depth 4
                                        ;           Child Loop BB130_25 Depth 5
                                        ;         Child Loop BB130_29 Depth 4
                                        ;           Child Loop BB130_32 Depth 5
                                        ;             Child Loop BB130_34 Depth 6
	s_mov_b32 s25, s19
	s_delay_alu instid0(SALU_CYCLE_1) | instskip(NEXT) | instid1(SALU_CYCLE_1)
	s_lshl_b64 s[48:49], s[24:25], 2
	s_add_u32 s48, s39, s48
	s_addc_u32 s49, s40, s49
	s_load_b32 s1, s[48:49], 0x0
	s_waitcnt lgkmcnt(0)
	s_cmp_lg_u32 s1, 0
	s_cbranch_scc1 .LBB130_2
; %bb.4:                                ;   in Loop: Header=BB130_3 Depth=1
	s_and_not1_b32 vcc_lo, exec_lo, s34
	s_cbranch_vccnz .LBB130_2
; %bb.5:                                ;   in Loop: Header=BB130_3 Depth=1
	s_mul_i32 s1, s24, s5
	s_mul_hi_u32 s2, s24, s4
	s_mul_i32 s48, s24, s4
	s_add_i32 s49, s2, s1
	s_mul_i32 s25, s24, s28
	s_lshl_b64 s[48:49], s[48:49], 4
	s_mov_b32 s18, s13
	s_add_u32 s47, s41, s48
	s_addc_u32 s48, s42, s49
	s_branch .LBB130_7
.LBB130_6:                              ;   in Loop: Header=BB130_7 Depth=2
	s_add_i32 s18, s18, s20
	s_delay_alu instid0(SALU_CYCLE_1)
	s_cmp_lt_u32 s18, s28
	s_cbranch_scc0 .LBB130_2
.LBB130_7:                              ;   Parent Loop BB130_3 Depth=1
                                        ; =>  This Loop Header: Depth=2
                                        ;       Child Loop BB130_11 Depth 3
                                        ;       Child Loop BB130_17 Depth 3
                                        ;         Child Loop BB130_23 Depth 4
                                        ;           Child Loop BB130_25 Depth 5
                                        ;         Child Loop BB130_29 Depth 4
                                        ;           Child Loop BB130_32 Depth 5
                                        ;             Child Loop BB130_34 Depth 6
	s_lshl_b64 s[50:51], s[18:19], 2
	s_delay_alu instid0(SALU_CYCLE_1)
	s_add_u32 s52, s8, s50
	s_addc_u32 s53, s9, s51
	s_add_u32 s50, s10, s50
	s_addc_u32 s51, s11, s51
	s_clause 0x1
	global_load_b32 v0, v6, s[50:51]
	global_load_b32 v1, v6, s[52:53]
	s_waitcnt vmcnt(1)
	v_readfirstlane_b32 s50, v0
	s_waitcnt vmcnt(0)
	v_readfirstlane_b32 s51, v1
	s_delay_alu instid0(VALU_DEP_1) | instskip(NEXT) | instid1(SALU_CYCLE_1)
	s_max_i32 s49, s51, s50
	s_cmp_gt_i32 s49, s15
	s_cbranch_scc1 .LBB130_6
; %bb.8:                                ;   in Loop: Header=BB130_7 Depth=2
	s_add_i32 s1, s18, s25
	s_mov_b32 s53, s19
	s_mul_i32 s52, s33, s1
	s_delay_alu instid0(SALU_CYCLE_1) | instskip(NEXT) | instid1(SALU_CYCLE_1)
	s_lshl_b64 s[52:53], s[52:53], 4
	s_add_u32 s1, s6, s52
	s_addc_u32 s2, s7, s53
	s_and_not1_b32 vcc_lo, exec_lo, s31
	s_cbranch_vccnz .LBB130_13
; %bb.9:                                ;   in Loop: Header=BB130_7 Depth=2
	s_barrier
	buffer_gl0_inv
	s_and_saveexec_b32 s52, s0
	s_cbranch_execz .LBB130_12
; %bb.10:                               ;   in Loop: Header=BB130_7 Depth=2
	v_dual_mov_b32 v0, v12 :: v_dual_mov_b32 v5, v11
	s_mov_b32 s53, 0
.LBB130_11:                             ;   Parent Loop BB130_3 Depth=1
                                        ;     Parent Loop BB130_7 Depth=2
                                        ; =>    This Inner Loop Header: Depth=3
	s_delay_alu instid0(VALU_DEP_1) | instskip(SKIP_1) | instid1(VALU_DEP_2)
	v_lshlrev_b64 v[1:2], 4, v[5:6]
	v_add_nc_u32_e32 v5, s36, v5
	v_add_co_u32 v1, vcc_lo, s1, v1
	s_delay_alu instid0(VALU_DEP_3) | instskip(NEXT) | instid1(VALU_DEP_3)
	v_add_co_ci_u32_e32 v2, vcc_lo, s2, v2, vcc_lo
	v_cmp_le_u32_e32 vcc_lo, s33, v5
	global_load_b128 v[14:17], v[1:2], off
	s_or_b32 s53, vcc_lo, s53
	s_waitcnt vmcnt(0)
	ds_store_2addr_b64 v0, v[14:15], v[16:17] offset1:1
	v_add_nc_u32_e32 v0, s44, v0
	s_and_not1_b32 exec_lo, exec_lo, s53
	s_cbranch_execnz .LBB130_11
.LBB130_12:                             ;   in Loop: Header=BB130_7 Depth=2
	s_or_b32 exec_lo, exec_lo, s52
	s_waitcnt lgkmcnt(0)
	s_barrier
	buffer_gl0_inv
.LBB130_13:                             ;   in Loop: Header=BB130_7 Depth=2
	s_and_not1_b32 vcc_lo, exec_lo, s37
	s_cbranch_vccnz .LBB130_6
; %bb.14:                               ;   in Loop: Header=BB130_7 Depth=2
	s_min_i32 s50, s50, s51
	s_mov_b32 s56, s19
	s_cmp_eq_u32 s15, s50
	s_mul_i32 s55, s49, s17
	s_cselect_b32 s51, s35, s17
	s_cmp_eq_u32 s15, s49
	s_mov_b32 s59, s14
	s_cselect_b32 s52, s35, s17
	s_delay_alu instid0(SALU_CYCLE_1)
	s_add_i32 s52, s51, s52
	s_and_b32 s53, s31, exec_lo
	v_mad_u64_u32 v[0:1], null, v10, s52, v[4:5]
	v_mad_u64_u32 v[7:8], null, v13, s52, s[56:57]
	s_cselect_b32 s53, s30, s2
	s_cselect_b32 s54, s29, s1
	v_cmp_gt_u32_e64 s1, s52, v4
	s_sub_i32 s55, s55, s51
	s_delay_alu instid0(VALU_DEP_3)
	v_lshl_add_u32 v8, v0, 4, 0
	s_cmp_gt_i32 s52, 0
	s_mul_i32 s57, s50, s17
	s_cselect_b32 s56, -1, 0
	s_mul_i32 s58, s45, s52
	s_branch .LBB130_17
.LBB130_15:                             ;   in Loop: Header=BB130_17 Depth=3
	s_or_b32 exec_lo, exec_lo, s62
	s_waitcnt_vscnt null, 0x0
	s_barrier
	buffer_gl0_inv
.LBB130_16:                             ;   in Loop: Header=BB130_17 Depth=3
	s_add_i32 s59, s59, s21
	s_delay_alu instid0(SALU_CYCLE_1)
	s_cmp_lt_u32 s59, s16
	s_cbranch_scc0 .LBB130_6
.LBB130_17:                             ;   Parent Loop BB130_3 Depth=1
                                        ;     Parent Loop BB130_7 Depth=2
                                        ; =>    This Loop Header: Depth=3
                                        ;         Child Loop BB130_23 Depth 4
                                        ;           Child Loop BB130_25 Depth 5
                                        ;         Child Loop BB130_29 Depth 4
                                        ;           Child Loop BB130_32 Depth 5
                                        ;             Child Loop BB130_34 Depth 6
	v_cmp_ne_u32_e32 vcc_lo, 1, v9
	s_mov_b32 s2, s12
	s_cbranch_vccz .LBB130_19
; %bb.18:                               ;   in Loop: Header=BB130_17 Depth=3
	s_and_not1_b32 vcc_lo, exec_lo, s2
	s_cbranch_vccnz .LBB130_16
	s_branch .LBB130_20
.LBB130_19:                             ;   in Loop: Header=BB130_17 Depth=3
	s_cmp_lg_u32 s59, s50
	s_cselect_b32 s2, -1, 0
	s_cmp_lg_u32 s59, s49
	s_cselect_b32 s60, -1, 0
	s_delay_alu instid0(SALU_CYCLE_1) | instskip(NEXT) | instid1(SALU_CYCLE_1)
	s_and_b32 s2, s2, s60
	s_and_not1_b32 vcc_lo, exec_lo, s2
	s_cbranch_vccnz .LBB130_16
.LBB130_20:                             ;   in Loop: Header=BB130_17 Depth=3
	s_cmp_eq_u32 s15, s59
	s_mul_i32 s61, s59, s17
	s_cselect_b32 s60, s35, s17
	s_delay_alu instid0(SALU_CYCLE_1)
	v_cmp_gt_u32_e32 vcc_lo, s60, v10
	s_barrier
	buffer_gl0_inv
	s_and_saveexec_b32 s62, vcc_lo
	s_cbranch_execz .LBB130_26
; %bb.21:                               ;   in Loop: Header=BB130_17 Depth=3
	v_dual_mov_b32 v0, v8 :: v_dual_mov_b32 v1, v10
	s_mov_b32 s63, 0
	s_branch .LBB130_23
.LBB130_22:                             ;   in Loop: Header=BB130_23 Depth=4
	s_or_b32 exec_lo, exec_lo, s64
	v_add_nc_u32_e32 v1, s26, v1
	v_add_nc_u32_e32 v0, s58, v0
	s_delay_alu instid0(VALU_DEP_2) | instskip(NEXT) | instid1(VALU_DEP_1)
	v_cmp_le_u32_e64 s2, s60, v1
	s_or_b32 s63, s2, s63
	s_delay_alu instid0(SALU_CYCLE_1)
	s_and_not1_b32 exec_lo, exec_lo, s63
	s_cbranch_execz .LBB130_26
.LBB130_23:                             ;   Parent Loop BB130_3 Depth=1
                                        ;     Parent Loop BB130_7 Depth=2
                                        ;       Parent Loop BB130_17 Depth=3
                                        ; =>      This Loop Header: Depth=4
                                        ;           Child Loop BB130_25 Depth 5
	s_and_saveexec_b32 s64, s1
	s_cbranch_execz .LBB130_22
; %bb.24:                               ;   in Loop: Header=BB130_23 Depth=4
	v_add_nc_u32_e32 v5, s61, v1
	s_mov_b32 s65, 0
	s_delay_alu instid0(VALU_DEP_1) | instskip(NEXT) | instid1(VALU_DEP_1)
	v_mad_u64_u32 v[2:3], null, v5, s43, 0
	v_mad_u64_u32 v[14:15], null, v5, s38, v[3:4]
	s_delay_alu instid0(VALU_DEP_1) | instskip(NEXT) | instid1(VALU_DEP_1)
	v_mov_b32_e32 v3, v14
	v_lshlrev_b64 v[14:15], 4, v[2:3]
	v_mov_b32_e32 v2, v0
	s_delay_alu instid0(VALU_DEP_2) | instskip(NEXT) | instid1(VALU_DEP_1)
	v_add_co_u32 v3, s2, s47, v14
	v_add_co_ci_u32_e64 v14, s2, s48, v15, s2
	v_mov_b32_e32 v15, v4
	.p2align	6
.LBB130_25:                             ;   Parent Loop BB130_3 Depth=1
                                        ;     Parent Loop BB130_7 Depth=2
                                        ;       Parent Loop BB130_17 Depth=3
                                        ;         Parent Loop BB130_23 Depth=4
                                        ; =>        This Inner Loop Header: Depth=5
	v_mov_b32_e32 v5, s57
	s_delay_alu instid0(VALU_DEP_2) | instskip(NEXT) | instid1(VALU_DEP_1)
	v_cmp_gt_u32_e64 s2, s51, v15
	v_cndmask_b32_e64 v5, s55, v5, s2
	s_delay_alu instid0(VALU_DEP_1) | instskip(SKIP_1) | instid1(VALU_DEP_2)
	v_add_nc_u32_e32 v5, v5, v15
	v_add_nc_u32_e32 v15, s23, v15
	v_lshlrev_b64 v[16:17], 4, v[5:6]
	s_delay_alu instid0(VALU_DEP_1) | instskip(NEXT) | instid1(VALU_DEP_1)
	v_add_co_u32 v16, s2, v3, v16
	v_add_co_ci_u32_e64 v17, s2, v14, v17, s2
	s_delay_alu instid0(VALU_DEP_4)
	v_cmp_le_u32_e64 s2, s52, v15
	global_load_b128 v[16:19], v[16:17], off
	s_or_b32 s65, s2, s65
	s_waitcnt vmcnt(0)
	ds_store_2addr_b64 v2, v[16:17], v[18:19] offset1:1
	v_add_nc_u32_e32 v2, s46, v2
	s_and_not1_b32 exec_lo, exec_lo, s65
	s_cbranch_execnz .LBB130_25
	s_branch .LBB130_22
.LBB130_26:                             ;   in Loop: Header=BB130_17 Depth=3
	s_or_b32 exec_lo, exec_lo, s62
	s_waitcnt lgkmcnt(0)
	s_barrier
	buffer_gl0_inv
	s_and_saveexec_b32 s62, vcc_lo
	s_cbranch_execz .LBB130_15
; %bb.27:                               ;   in Loop: Header=BB130_17 Depth=3
	v_dual_mov_b32 v14, v7 :: v_dual_mov_b32 v15, v10
	s_mov_b32 s63, 0
	s_branch .LBB130_29
.LBB130_28:                             ;   in Loop: Header=BB130_29 Depth=4
	s_or_b32 exec_lo, exec_lo, s64
	v_add_nc_u32_e32 v15, s26, v15
	v_add_nc_u32_e32 v14, s58, v14
	s_delay_alu instid0(VALU_DEP_2) | instskip(SKIP_1) | instid1(SALU_CYCLE_1)
	v_cmp_le_u32_e32 vcc_lo, s60, v15
	s_or_b32 s63, vcc_lo, s63
	s_and_not1_b32 exec_lo, exec_lo, s63
	s_cbranch_execz .LBB130_15
.LBB130_29:                             ;   Parent Loop BB130_3 Depth=1
                                        ;     Parent Loop BB130_7 Depth=2
                                        ;       Parent Loop BB130_17 Depth=3
                                        ; =>      This Loop Header: Depth=4
                                        ;           Child Loop BB130_32 Depth 5
                                        ;             Child Loop BB130_34 Depth 6
	s_and_saveexec_b32 s64, s1
	s_cbranch_execz .LBB130_28
; %bb.30:                               ;   in Loop: Header=BB130_29 Depth=4
	v_dual_mov_b32 v18, v4 :: v_dual_add_nc_u32 v5, s61, v15
	s_mov_b32 s65, 0
	s_delay_alu instid0(VALU_DEP_1) | instskip(NEXT) | instid1(VALU_DEP_1)
	v_mad_u64_u32 v[0:1], null, v5, s43, 0
	v_mad_u64_u32 v[2:3], null, v5, s38, v[1:2]
	s_delay_alu instid0(VALU_DEP_1) | instskip(NEXT) | instid1(VALU_DEP_1)
	v_mov_b32_e32 v1, v2
	v_lshlrev_b64 v[0:1], 4, v[0:1]
	s_delay_alu instid0(VALU_DEP_1) | instskip(NEXT) | instid1(VALU_DEP_2)
	v_add_co_u32 v16, vcc_lo, s47, v0
	v_add_co_ci_u32_e32 v17, vcc_lo, s48, v1, vcc_lo
	s_branch .LBB130_32
.LBB130_31:                             ;   in Loop: Header=BB130_32 Depth=5
	v_mov_b32_e32 v5, s57
	v_cmp_gt_u32_e32 vcc_lo, s51, v18
	s_delay_alu instid0(VALU_DEP_2) | instskip(NEXT) | instid1(VALU_DEP_1)
	v_cndmask_b32_e32 v5, s55, v5, vcc_lo
	v_add_nc_u32_e32 v5, v18, v5
	v_add_nc_u32_e32 v18, s23, v18
	s_delay_alu instid0(VALU_DEP_2) | instskip(NEXT) | instid1(VALU_DEP_2)
	v_lshlrev_b64 v[19:20], 4, v[5:6]
	v_cmp_le_u32_e32 vcc_lo, s52, v18
	s_or_b32 s65, vcc_lo, s65
	s_delay_alu instid0(VALU_DEP_2) | instskip(NEXT) | instid1(VALU_DEP_1)
	v_add_co_u32 v19, s2, v16, v19
	v_add_co_ci_u32_e64 v20, s2, v17, v20, s2
	global_store_b128 v[19:20], v[0:3], off
	s_and_not1_b32 exec_lo, exec_lo, s65
	s_cbranch_execz .LBB130_28
.LBB130_32:                             ;   Parent Loop BB130_3 Depth=1
                                        ;     Parent Loop BB130_7 Depth=2
                                        ;       Parent Loop BB130_17 Depth=3
                                        ;         Parent Loop BB130_29 Depth=4
                                        ; =>        This Loop Header: Depth=5
                                        ;             Child Loop BB130_34 Depth 6
	v_mov_b32_e32 v2, 0
	v_mov_b32_e32 v3, 0
	s_delay_alu instid0(VALU_DEP_2) | instskip(SKIP_1) | instid1(VALU_DEP_2)
	v_mov_b32_e32 v0, v2
	s_and_not1_b32 vcc_lo, exec_lo, s56
	v_mov_b32_e32 v1, v3
	s_cbranch_vccnz .LBB130_31
; %bb.33:                               ;   in Loop: Header=BB130_32 Depth=5
	v_dual_mov_b32 v2, 0 :: v_dual_mov_b32 v19, v14
	v_mov_b32_e32 v3, 0
	v_mov_b32_e32 v5, v18
	s_delay_alu instid0(VALU_DEP_3) | instskip(SKIP_1) | instid1(VALU_DEP_3)
	v_mov_b32_e32 v0, v2
	s_mov_b32 s2, s52
	v_mov_b32_e32 v1, v3
	.p2align	6
.LBB130_34:                             ;   Parent Loop BB130_3 Depth=1
                                        ;     Parent Loop BB130_7 Depth=2
                                        ;       Parent Loop BB130_17 Depth=3
                                        ;         Parent Loop BB130_29 Depth=4
                                        ;           Parent Loop BB130_32 Depth=5
                                        ; =>          This Inner Loop Header: Depth=6
	s_delay_alu instid0(VALU_DEP_3) | instskip(SKIP_4) | instid1(SALU_CYCLE_1)
	v_lshlrev_b64 v[20:21], 4, v[5:6]
	ds_load_2addr_b64 v[24:27], v19 offset1:1
	v_add_nc_u32_e32 v5, s27, v5
	v_add_nc_u32_e32 v19, 16, v19
	s_add_i32 s2, s2, -1
	s_cmp_eq_u32 s2, 0
	v_add_co_u32 v20, vcc_lo, s54, v20
	v_add_co_ci_u32_e32 v21, vcc_lo, s53, v21, vcc_lo
	flat_load_b128 v[20:23], v[20:21]
	s_waitcnt vmcnt(0) lgkmcnt(0)
	v_mul_f64 v[28:29], v[22:23], v[26:27]
	v_mul_f64 v[22:23], v[22:23], v[24:25]
	s_delay_alu instid0(VALU_DEP_2) | instskip(NEXT) | instid1(VALU_DEP_2)
	v_fma_f64 v[24:25], v[20:21], v[24:25], v[28:29]
	v_fma_f64 v[20:21], v[20:21], v[26:27], -v[22:23]
	s_delay_alu instid0(VALU_DEP_2) | instskip(NEXT) | instid1(VALU_DEP_2)
	v_add_f64 v[0:1], v[0:1], v[24:25]
	v_add_f64 v[2:3], v[2:3], v[20:21]
	s_cbranch_scc0 .LBB130_34
	s_branch .LBB130_31
.LBB130_35:
	s_endpgm
	.section	.rodata,"a",@progbits
	.p2align	6, 0x0
	.amdhsa_kernel _ZN9rocsolver6v33100L17syevj_offd_rotateILb1E19rocblas_complex_numIdEdPS3_EEvbiiT2_iilPT0_PiS8_S8_i
		.amdhsa_group_segment_fixed_size 0
		.amdhsa_private_segment_fixed_size 0
		.amdhsa_kernarg_size 336
		.amdhsa_user_sgpr_count 13
		.amdhsa_user_sgpr_dispatch_ptr 0
		.amdhsa_user_sgpr_queue_ptr 0
		.amdhsa_user_sgpr_kernarg_segment_ptr 1
		.amdhsa_user_sgpr_dispatch_id 0
		.amdhsa_user_sgpr_private_segment_size 0
		.amdhsa_wavefront_size32 1
		.amdhsa_uses_dynamic_stack 0
		.amdhsa_enable_private_segment 0
		.amdhsa_system_sgpr_workgroup_id_x 1
		.amdhsa_system_sgpr_workgroup_id_y 1
		.amdhsa_system_sgpr_workgroup_id_z 1
		.amdhsa_system_sgpr_workgroup_info 0
		.amdhsa_system_vgpr_workitem_id 1
		.amdhsa_next_free_vgpr 30
		.amdhsa_next_free_sgpr 66
		.amdhsa_reserve_vcc 1
		.amdhsa_float_round_mode_32 0
		.amdhsa_float_round_mode_16_64 0
		.amdhsa_float_denorm_mode_32 3
		.amdhsa_float_denorm_mode_16_64 3
		.amdhsa_dx10_clamp 1
		.amdhsa_ieee_mode 1
		.amdhsa_fp16_overflow 0
		.amdhsa_workgroup_processor_mode 1
		.amdhsa_memory_ordered 1
		.amdhsa_forward_progress 0
		.amdhsa_shared_vgpr_count 0
		.amdhsa_exception_fp_ieee_invalid_op 0
		.amdhsa_exception_fp_denorm_src 0
		.amdhsa_exception_fp_ieee_div_zero 0
		.amdhsa_exception_fp_ieee_overflow 0
		.amdhsa_exception_fp_ieee_underflow 0
		.amdhsa_exception_fp_ieee_inexact 0
		.amdhsa_exception_int_div_zero 0
	.end_amdhsa_kernel
	.section	.text._ZN9rocsolver6v33100L17syevj_offd_rotateILb1E19rocblas_complex_numIdEdPS3_EEvbiiT2_iilPT0_PiS8_S8_i,"axG",@progbits,_ZN9rocsolver6v33100L17syevj_offd_rotateILb1E19rocblas_complex_numIdEdPS3_EEvbiiT2_iilPT0_PiS8_S8_i,comdat
.Lfunc_end130:
	.size	_ZN9rocsolver6v33100L17syevj_offd_rotateILb1E19rocblas_complex_numIdEdPS3_EEvbiiT2_iilPT0_PiS8_S8_i, .Lfunc_end130-_ZN9rocsolver6v33100L17syevj_offd_rotateILb1E19rocblas_complex_numIdEdPS3_EEvbiiT2_iilPT0_PiS8_S8_i
                                        ; -- End function
	.section	.AMDGPU.csdata,"",@progbits
; Kernel info:
; codeLenInByte = 1740
; NumSgprs: 68
; NumVgprs: 30
; ScratchSize: 0
; MemoryBound: 0
; FloatMode: 240
; IeeeMode: 1
; LDSByteSize: 0 bytes/workgroup (compile time only)
; SGPRBlocks: 8
; VGPRBlocks: 3
; NumSGPRsForWavesPerEU: 68
; NumVGPRsForWavesPerEU: 30
; Occupancy: 16
; WaveLimiterHint : 1
; COMPUTE_PGM_RSRC2:SCRATCH_EN: 0
; COMPUTE_PGM_RSRC2:USER_SGPR: 13
; COMPUTE_PGM_RSRC2:TRAP_HANDLER: 0
; COMPUTE_PGM_RSRC2:TGID_X_EN: 1
; COMPUTE_PGM_RSRC2:TGID_Y_EN: 1
; COMPUTE_PGM_RSRC2:TGID_Z_EN: 1
; COMPUTE_PGM_RSRC2:TIDIG_COMP_CNT: 1
	.section	.text._ZN9rocsolver6v33100L17syevj_cycle_pairsI19rocblas_complex_numIdEEEviPiS4_,"axG",@progbits,_ZN9rocsolver6v33100L17syevj_cycle_pairsI19rocblas_complex_numIdEEEviPiS4_,comdat
	.globl	_ZN9rocsolver6v33100L17syevj_cycle_pairsI19rocblas_complex_numIdEEEviPiS4_ ; -- Begin function _ZN9rocsolver6v33100L17syevj_cycle_pairsI19rocblas_complex_numIdEEEviPiS4_
	.p2align	8
	.type	_ZN9rocsolver6v33100L17syevj_cycle_pairsI19rocblas_complex_numIdEEEviPiS4_,@function
_ZN9rocsolver6v33100L17syevj_cycle_pairsI19rocblas_complex_numIdEEEviPiS4_: ; @_ZN9rocsolver6v33100L17syevj_cycle_pairsI19rocblas_complex_numIdEEEviPiS4_
; %bb.0:
	s_clause 0x2
	s_load_b32 s2, s[0:1], 0x0
	s_load_b128 s[4:7], s[0:1], 0x8
	s_load_b32 s0, s[0:1], 0x24
	s_mov_b32 s8, -1
	s_mov_b32 s3, exec_lo
	s_waitcnt lgkmcnt(0)
	s_add_i32 s1, s2, -1
	v_cmpx_eq_u32_e32 0, v0
	s_cbranch_execz .LBB131_6
; %bb.1:
	s_lshl_b32 s9, s1, 1
	s_bfe_i32 s11, s1, 0x1001e
	s_or_b32 s10, s9, 1
	s_delay_alu instid0(SALU_CYCLE_1) | instskip(NEXT) | instid1(SALU_CYCLE_1)
	s_add_i32 s12, s10, s11
	s_xor_b32 s11, s12, s11
	s_load_b32 s12, s[6:7], 0x0
	v_cvt_f32_u32_e32 v1, s11
	s_sub_i32 s14, 0, s11
	s_delay_alu instid0(VALU_DEP_1) | instskip(SKIP_4) | instid1(VALU_DEP_1)
	v_rcp_iflag_f32_e32 v1, v1
	s_waitcnt_depctr 0xfff
	v_mul_f32_e32 v1, 0x4f7ffffe, v1
	s_waitcnt lgkmcnt(0)
	s_add_i32 s12, s12, -1
	v_cvt_u32_f32_e32 v1, v1
	s_abs_i32 s15, s12
	s_ashr_i32 s12, s12, 31
	s_delay_alu instid0(VALU_DEP_1) | instskip(NEXT) | instid1(VALU_DEP_1)
	v_readfirstlane_b32 s13, v1
	s_mul_i32 s14, s14, s13
	s_delay_alu instid0(SALU_CYCLE_1) | instskip(NEXT) | instid1(SALU_CYCLE_1)
	s_mul_hi_u32 s14, s13, s14
	s_add_i32 s13, s13, s14
	s_delay_alu instid0(SALU_CYCLE_1) | instskip(NEXT) | instid1(SALU_CYCLE_1)
	s_mul_hi_u32 s13, s15, s13
	s_mul_i32 s13, s13, s11
	s_delay_alu instid0(SALU_CYCLE_1) | instskip(NEXT) | instid1(SALU_CYCLE_1)
	s_sub_i32 s13, s15, s13
	s_sub_i32 s14, s13, s11
	s_cmp_ge_u32 s13, s11
	s_cselect_b32 s13, s14, s13
	s_delay_alu instid0(SALU_CYCLE_1) | instskip(SKIP_2) | instid1(SALU_CYCLE_1)
	s_sub_i32 s14, s13, s11
	s_cmp_ge_u32 s13, s11
	s_cselect_b32 s11, s14, s13
	s_xor_b32 s11, s11, s12
	s_delay_alu instid0(SALU_CYCLE_1) | instskip(NEXT) | instid1(SALU_CYCLE_1)
	s_sub_i32 s11, s11, s12
                                        ; implicit-def: $sgpr12
	s_bitcmp0_b32 s11, 0
	s_cbranch_scc1 .LBB131_3
; %bb.2:
	s_add_i32 s8, s11, 3
	s_delay_alu instid0(SALU_CYCLE_1)
	s_cmp_gt_i32 s8, s9
	s_cselect_b32 s12, s10, s8
	s_mov_b32 s8, 0
.LBB131_3:
	s_delay_alu instid0(SALU_CYCLE_1)
	s_and_not1_b32 vcc_lo, exec_lo, s8
	s_cbranch_vccnz .LBB131_5
; %bb.4:
	s_add_i32 s8, s11, -1
	s_cmp_gt_i32 s11, 1
	s_cselect_b32 s12, s8, 2
.LBB131_5:
	s_delay_alu instid0(SALU_CYCLE_1)
	v_dual_mov_b32 v1, 0 :: v_dual_mov_b32 v2, s12
	global_store_b32 v1, v2, s[6:7]
.LBB131_6:
	s_or_b32 exec_lo, exec_lo, s3
	v_add_nc_u32_e32 v4, 1, v0
	s_mov_b32 s3, exec_lo
	s_delay_alu instid0(VALU_DEP_1)
	v_cmpx_gt_i32_e64 s2, v4
	s_cbranch_execz .LBB131_17
; %bb.7:
	s_lshl_b32 s1, s1, 1
	s_mov_b32 s9, 0
	s_or_b32 s3, s1, 1
	v_lshlrev_b32_e32 v0, 2, v0
	v_cvt_f32_u32_e32 v1, s3
	s_sub_i32 s8, 0, s3
	s_delay_alu instid0(VALU_DEP_1) | instskip(SKIP_2) | instid1(VALU_DEP_1)
	v_rcp_iflag_f32_e32 v1, v1
	s_waitcnt_depctr 0xfff
	v_mul_f32_e32 v1, 0x4f7ffffe, v1
	v_cvt_u32_f32_e32 v1, v1
	s_delay_alu instid0(VALU_DEP_1) | instskip(SKIP_1) | instid1(VALU_DEP_1)
	v_mul_lo_u32 v2, s8, v1
	v_add_co_u32 v6, s8, v0, 4
	v_add_co_ci_u32_e64 v7, null, 0, 0, s8
	s_and_b32 s8, 0xffff, s0
	s_delay_alu instid0(SALU_CYCLE_1) | instskip(NEXT) | instid1(VALU_DEP_3)
	s_lshl_b32 s10, s8, 2
	v_mul_hi_u32 v2, v1, v2
	s_delay_alu instid0(VALU_DEP_1)
	v_add_nc_u32_e32 v5, v1, v2
	s_branch .LBB131_9
.LBB131_8:                              ;   in Loop: Header=BB131_9 Depth=1
	s_or_b32 exec_lo, exec_lo, s0
	v_add_nc_u32_e32 v4, s8, v4
	v_add_co_u32 v6, s0, v6, s10
	s_delay_alu instid0(VALU_DEP_1) | instskip(NEXT) | instid1(VALU_DEP_3)
	v_add_co_ci_u32_e64 v7, s0, 0, v7, s0
	v_cmp_le_i32_e32 vcc_lo, s2, v4
	global_store_b32 v[0:1], v2, off
	s_or_b32 s9, vcc_lo, s9
	s_delay_alu instid0(SALU_CYCLE_1)
	s_and_not1_b32 exec_lo, exec_lo, s9
	s_cbranch_execz .LBB131_17
.LBB131_9:                              ; =>This Inner Loop Header: Depth=1
	v_add_co_u32 v2, vcc_lo, s4, v6
	v_add_co_ci_u32_e32 v3, vcc_lo, s5, v7, vcc_lo
	s_mov_b32 s0, exec_lo
	global_load_b32 v0, v[2:3], off
	s_waitcnt vmcnt(0)
	v_add_nc_u32_e32 v0, -1, v0
	s_delay_alu instid0(VALU_DEP_1) | instskip(NEXT) | instid1(VALU_DEP_1)
	v_sub_nc_u32_e32 v1, 0, v0
	v_max_i32_e32 v1, v0, v1
	v_ashrrev_i32_e32 v0, 31, v0
	s_delay_alu instid0(VALU_DEP_2) | instskip(NEXT) | instid1(VALU_DEP_1)
	v_mul_hi_u32 v8, v1, v5
	v_mul_lo_u32 v8, v8, s3
	s_delay_alu instid0(VALU_DEP_1) | instskip(NEXT) | instid1(VALU_DEP_1)
	v_sub_nc_u32_e32 v1, v1, v8
	v_subrev_nc_u32_e32 v8, s3, v1
	v_cmp_le_u32_e32 vcc_lo, s3, v1
	s_delay_alu instid0(VALU_DEP_2) | instskip(NEXT) | instid1(VALU_DEP_1)
	v_cndmask_b32_e32 v1, v1, v8, vcc_lo
	v_subrev_nc_u32_e32 v8, s3, v1
	v_cmp_le_u32_e32 vcc_lo, s3, v1
	s_delay_alu instid0(VALU_DEP_2) | instskip(NEXT) | instid1(VALU_DEP_1)
	v_cndmask_b32_e32 v1, v1, v8, vcc_lo
                                        ; implicit-def: $vgpr8
	v_xor_b32_e32 v1, v1, v0
	s_delay_alu instid0(VALU_DEP_1) | instskip(NEXT) | instid1(VALU_DEP_1)
	v_sub_nc_u32_e32 v0, v1, v0
	v_and_b32_e32 v1, 1, v0
	s_delay_alu instid0(VALU_DEP_1)
	v_cmpx_eq_u32_e32 1, v1
	s_xor_b32 s0, exec_lo, s0
; %bb.10:                               ;   in Loop: Header=BB131_9 Depth=1
	v_add_nc_u32_e32 v0, 3, v0
	s_delay_alu instid0(VALU_DEP_1)
	v_cmp_lt_i32_e32 vcc_lo, s1, v0
	v_cndmask_b32_e64 v8, v0, s3, vcc_lo
                                        ; implicit-def: $vgpr0
; %bb.11:                               ;   in Loop: Header=BB131_9 Depth=1
	s_and_not1_saveexec_b32 s0, s0
; %bb.12:                               ;   in Loop: Header=BB131_9 Depth=1
	v_add_nc_u32_e32 v1, -1, v0
	v_cmp_lt_i32_e32 vcc_lo, 1, v0
	s_delay_alu instid0(VALU_DEP_2)
	v_cndmask_b32_e32 v8, 2, v1, vcc_lo
; %bb.13:                               ;   in Loop: Header=BB131_9 Depth=1
	s_or_b32 exec_lo, exec_lo, s0
	v_add_co_u32 v0, vcc_lo, s6, v6
	v_add_co_ci_u32_e32 v1, vcc_lo, s7, v7, vcc_lo
	global_store_b32 v[2:3], v8, off
	global_load_b32 v2, v[0:1], off
	s_waitcnt vmcnt(0)
	v_add_nc_u32_e32 v2, -1, v2
	s_delay_alu instid0(VALU_DEP_1) | instskip(NEXT) | instid1(VALU_DEP_1)
	v_sub_nc_u32_e32 v3, 0, v2
	v_max_i32_e32 v3, v2, v3
	s_delay_alu instid0(VALU_DEP_1) | instskip(NEXT) | instid1(VALU_DEP_1)
	v_mul_hi_u32 v8, v3, v5
	v_mul_lo_u32 v8, v8, s3
	s_delay_alu instid0(VALU_DEP_1) | instskip(NEXT) | instid1(VALU_DEP_1)
	v_sub_nc_u32_e32 v3, v3, v8
	v_subrev_nc_u32_e32 v8, s3, v3
	v_cmp_le_u32_e32 vcc_lo, s3, v3
	s_delay_alu instid0(VALU_DEP_2) | instskip(SKIP_1) | instid1(VALU_DEP_2)
	v_cndmask_b32_e32 v3, v3, v8, vcc_lo
	v_ashrrev_i32_e32 v2, 31, v2
	v_subrev_nc_u32_e32 v8, s3, v3
	v_cmp_le_u32_e32 vcc_lo, s3, v3
	s_delay_alu instid0(VALU_DEP_2) | instskip(NEXT) | instid1(VALU_DEP_1)
	v_cndmask_b32_e32 v3, v3, v8, vcc_lo
	v_xor_b32_e32 v3, v3, v2
	s_delay_alu instid0(VALU_DEP_1) | instskip(NEXT) | instid1(VALU_DEP_1)
	v_sub_nc_u32_e32 v3, v3, v2
	v_and_b32_e32 v2, 1, v3
	s_delay_alu instid0(VALU_DEP_1) | instskip(SKIP_1) | instid1(SALU_CYCLE_1)
	v_cmp_eq_u32_e32 vcc_lo, 1, v2
                                        ; implicit-def: $vgpr2
	s_and_saveexec_b32 s0, vcc_lo
	s_xor_b32 s0, exec_lo, s0
; %bb.14:                               ;   in Loop: Header=BB131_9 Depth=1
	v_add_nc_u32_e32 v2, 3, v3
                                        ; implicit-def: $vgpr3
	s_delay_alu instid0(VALU_DEP_1)
	v_cmp_lt_i32_e32 vcc_lo, s1, v2
	v_cndmask_b32_e64 v2, v2, s3, vcc_lo
; %bb.15:                               ;   in Loop: Header=BB131_9 Depth=1
	s_and_not1_saveexec_b32 s0, s0
	s_cbranch_execz .LBB131_8
; %bb.16:                               ;   in Loop: Header=BB131_9 Depth=1
	v_add_nc_u32_e32 v2, -1, v3
	v_cmp_lt_i32_e32 vcc_lo, 1, v3
	s_delay_alu instid0(VALU_DEP_2)
	v_cndmask_b32_e32 v2, 2, v2, vcc_lo
	s_branch .LBB131_8
.LBB131_17:
	s_nop 0
	s_sendmsg sendmsg(MSG_DEALLOC_VGPRS)
	s_endpgm
	.section	.rodata,"a",@progbits
	.p2align	6, 0x0
	.amdhsa_kernel _ZN9rocsolver6v33100L17syevj_cycle_pairsI19rocblas_complex_numIdEEEviPiS4_
		.amdhsa_group_segment_fixed_size 0
		.amdhsa_private_segment_fixed_size 0
		.amdhsa_kernarg_size 280
		.amdhsa_user_sgpr_count 15
		.amdhsa_user_sgpr_dispatch_ptr 0
		.amdhsa_user_sgpr_queue_ptr 0
		.amdhsa_user_sgpr_kernarg_segment_ptr 1
		.amdhsa_user_sgpr_dispatch_id 0
		.amdhsa_user_sgpr_private_segment_size 0
		.amdhsa_wavefront_size32 1
		.amdhsa_uses_dynamic_stack 0
		.amdhsa_enable_private_segment 0
		.amdhsa_system_sgpr_workgroup_id_x 1
		.amdhsa_system_sgpr_workgroup_id_y 0
		.amdhsa_system_sgpr_workgroup_id_z 0
		.amdhsa_system_sgpr_workgroup_info 0
		.amdhsa_system_vgpr_workitem_id 0
		.amdhsa_next_free_vgpr 9
		.amdhsa_next_free_sgpr 16
		.amdhsa_reserve_vcc 1
		.amdhsa_float_round_mode_32 0
		.amdhsa_float_round_mode_16_64 0
		.amdhsa_float_denorm_mode_32 3
		.amdhsa_float_denorm_mode_16_64 3
		.amdhsa_dx10_clamp 1
		.amdhsa_ieee_mode 1
		.amdhsa_fp16_overflow 0
		.amdhsa_workgroup_processor_mode 1
		.amdhsa_memory_ordered 1
		.amdhsa_forward_progress 0
		.amdhsa_shared_vgpr_count 0
		.amdhsa_exception_fp_ieee_invalid_op 0
		.amdhsa_exception_fp_denorm_src 0
		.amdhsa_exception_fp_ieee_div_zero 0
		.amdhsa_exception_fp_ieee_overflow 0
		.amdhsa_exception_fp_ieee_underflow 0
		.amdhsa_exception_fp_ieee_inexact 0
		.amdhsa_exception_int_div_zero 0
	.end_amdhsa_kernel
	.section	.text._ZN9rocsolver6v33100L17syevj_cycle_pairsI19rocblas_complex_numIdEEEviPiS4_,"axG",@progbits,_ZN9rocsolver6v33100L17syevj_cycle_pairsI19rocblas_complex_numIdEEEviPiS4_,comdat
.Lfunc_end131:
	.size	_ZN9rocsolver6v33100L17syevj_cycle_pairsI19rocblas_complex_numIdEEEviPiS4_, .Lfunc_end131-_ZN9rocsolver6v33100L17syevj_cycle_pairsI19rocblas_complex_numIdEEEviPiS4_
                                        ; -- End function
	.section	.AMDGPU.csdata,"",@progbits
; Kernel info:
; codeLenInByte = 872
; NumSgprs: 18
; NumVgprs: 9
; ScratchSize: 0
; MemoryBound: 0
; FloatMode: 240
; IeeeMode: 1
; LDSByteSize: 0 bytes/workgroup (compile time only)
; SGPRBlocks: 2
; VGPRBlocks: 1
; NumSGPRsForWavesPerEU: 18
; NumVGPRsForWavesPerEU: 9
; Occupancy: 16
; WaveLimiterHint : 0
; COMPUTE_PGM_RSRC2:SCRATCH_EN: 0
; COMPUTE_PGM_RSRC2:USER_SGPR: 15
; COMPUTE_PGM_RSRC2:TRAP_HANDLER: 0
; COMPUTE_PGM_RSRC2:TGID_X_EN: 1
; COMPUTE_PGM_RSRC2:TGID_Y_EN: 0
; COMPUTE_PGM_RSRC2:TGID_Z_EN: 0
; COMPUTE_PGM_RSRC2:TIDIG_COMP_CNT: 0
	.section	.text._ZN9rocsolver6v33100L15syevj_calc_normI19rocblas_complex_numIdEdEEviiPT0_PT_S5_Pi,"axG",@progbits,_ZN9rocsolver6v33100L15syevj_calc_normI19rocblas_complex_numIdEdEEviiPT0_PT_S5_Pi,comdat
	.globl	_ZN9rocsolver6v33100L15syevj_calc_normI19rocblas_complex_numIdEdEEviiPT0_PT_S5_Pi ; -- Begin function _ZN9rocsolver6v33100L15syevj_calc_normI19rocblas_complex_numIdEdEEviiPT0_PT_S5_Pi
	.p2align	8
	.type	_ZN9rocsolver6v33100L15syevj_calc_normI19rocblas_complex_numIdEdEEviiPT0_PT_S5_Pi,@function
_ZN9rocsolver6v33100L15syevj_calc_normI19rocblas_complex_numIdEdEEviiPT0_PT_S5_Pi: ; @_ZN9rocsolver6v33100L15syevj_calc_normI19rocblas_complex_numIdEdEEviiPT0_PT_S5_Pi
; %bb.0:
	s_load_b256 s[4:11], s[0:1], 0x8
	s_mov_b32 s14, s15
	s_ashr_i32 s15, s15, 31
	s_delay_alu instid0(SALU_CYCLE_1)
	s_lshl_b64 s[2:3], s[14:15], 2
	s_waitcnt lgkmcnt(0)
	s_add_u32 s2, s10, s2
	s_addc_u32 s3, s11, s3
	s_load_b32 s12, s[2:3], 0x4
	s_waitcnt lgkmcnt(0)
	s_cmp_lg_u32 s12, 0
	s_cbranch_scc0 .LBB132_2
.LBB132_1:
	s_nop 0
	s_sendmsg sendmsg(MSG_DEALLOC_VGPRS)
	s_endpgm
.LBB132_2:
	s_clause 0x1
	s_load_b64 s[12:13], s[0:1], 0x0
	s_load_b32 s0, s[0:1], 0x34
	v_mov_b32_e32 v1, 0
	v_mov_b32_e32 v2, 0
	s_mov_b32 s16, exec_lo
	s_waitcnt lgkmcnt(0)
	s_and_b32 s1, s0, 0xffff
	v_cmpx_gt_i32_e64 s12, v0
	s_cbranch_execz .LBB132_10
; %bb.3:
	s_mul_i32 s0, s14, s12
	v_lshlrev_b32_e32 v1, 4, v0
	s_mul_i32 s18, s0, s12
	s_mov_b32 s17, 0
	s_ashr_i32 s19, s18, 31
	v_mov_b32_e32 v7, v0
	s_lshl_b64 s[18:19], s[18:19], 4
	s_delay_alu instid0(SALU_CYCLE_1) | instskip(SKIP_2) | instid1(VALU_DEP_1)
	s_add_u32 s0, s6, s18
	s_addc_u32 s6, s7, s19
	v_add_co_u32 v1, s0, s0, v1
	v_add_co_ci_u32_e64 v2, null, s6, 0, s0
	s_ashr_i32 s7, s12, 31
	s_delay_alu instid0(VALU_DEP_2) | instskip(NEXT) | instid1(VALU_DEP_2)
	v_add_co_u32 v3, vcc_lo, v1, 8
	v_add_co_ci_u32_e32 v4, vcc_lo, 0, v2, vcc_lo
	v_mov_b32_e32 v1, 0
	v_mov_b32_e32 v2, 0
	s_mov_b32 s6, s12
	s_lshl_b32 s18, s1, 4
	s_lshl_b64 s[6:7], s[6:7], 4
	s_set_inst_prefetch_distance 0x1
	s_branch .LBB132_6
	.p2align	6
.LBB132_4:                              ;   in Loop: Header=BB132_6 Depth=1
	s_or_b32 exec_lo, exec_lo, s20
.LBB132_5:                              ;   in Loop: Header=BB132_6 Depth=1
	s_delay_alu instid0(SALU_CYCLE_1) | instskip(SKIP_2) | instid1(VALU_DEP_1)
	s_or_b32 exec_lo, exec_lo, s19
	v_add_nc_u32_e32 v7, s1, v7
	v_add_co_u32 v3, s0, v3, s18
	v_add_co_ci_u32_e64 v4, s0, 0, v4, s0
	s_delay_alu instid0(VALU_DEP_3) | instskip(SKIP_1) | instid1(SALU_CYCLE_1)
	v_cmp_le_i32_e32 vcc_lo, s12, v7
	s_or_b32 s17, vcc_lo, s17
	s_and_not1_b32 exec_lo, exec_lo, s17
	s_cbranch_execz .LBB132_9
.LBB132_6:                              ; =>This Loop Header: Depth=1
                                        ;     Child Loop BB132_8 Depth 2
	s_mov_b32 s19, exec_lo
	v_cmpx_ne_u32_e32 0, v7
	s_cbranch_execz .LBB132_5
; %bb.7:                                ;   in Loop: Header=BB132_6 Depth=1
	v_dual_mov_b32 v6, v4 :: v_dual_mov_b32 v5, v3
	s_mov_b32 s20, 0
	s_mov_b32 s21, 0
	.p2align	6
.LBB132_8:                              ;   Parent Loop BB132_6 Depth=1
                                        ; =>  This Inner Loop Header: Depth=2
	global_load_b128 v[8:11], v[5:6], off offset:-8
	s_add_i32 s21, s21, 1
	v_add_co_u32 v5, s0, v5, s6
	v_cmp_ge_u32_e32 vcc_lo, s21, v7
	v_add_co_ci_u32_e64 v6, s0, s7, v6, s0
	s_or_b32 s20, vcc_lo, s20
	s_waitcnt vmcnt(0)
	v_mul_f64 v[10:11], v[10:11], v[10:11]
	s_delay_alu instid0(VALU_DEP_1) | instskip(NEXT) | instid1(VALU_DEP_1)
	v_fma_f64 v[8:9], v[8:9], v[8:9], v[10:11]
	v_fma_f64 v[1:2], v[8:9], 2.0, v[1:2]
	s_and_not1_b32 exec_lo, exec_lo, s20
	s_cbranch_execnz .LBB132_8
	s_branch .LBB132_4
.LBB132_9:
	s_set_inst_prefetch_distance 0x2
	s_or_b32 exec_lo, exec_lo, s17
.LBB132_10:
	s_delay_alu instid0(SALU_CYCLE_1)
	s_or_b32 exec_lo, exec_lo, s16
	v_lshl_add_u32 v3, v0, 3, 0
	s_mov_b32 s0, exec_lo
	ds_store_b64 v3, v[1:2]
	s_waitcnt lgkmcnt(0)
	s_barrier
	buffer_gl0_inv
	v_cmpx_eq_u32_e32 0, v0
	s_cbranch_execz .LBB132_1
; %bb.11:
	s_min_i32 s0, s1, s12
	s_delay_alu instid0(SALU_CYCLE_1)
	s_cmp_lt_i32 s0, 2
	s_cbranch_scc1 .LBB132_20
; %bb.12:
	s_add_i32 s1, s0, -2
	s_add_i32 s0, s0, -1
	s_cmp_lt_u32 s1, 7
	s_cbranch_scc1 .LBB132_16
; %bb.13:
	s_mov_b32 s6, 0
	s_add_i32 s1, 0, 8
	s_and_b32 s7, s0, -8
	.p2align	6
.LBB132_14:                             ; =>This Inner Loop Header: Depth=1
	v_mov_b32_e32 v11, s1
	s_mov_b32 s12, s6
	s_add_i32 s6, s6, 8
	s_add_i32 s1, s1, 64
	s_cmp_lg_u32 s7, s6
	ds_load_2addr_b64 v[3:6], v11 offset1:1
	ds_load_2addr_b64 v[7:10], v11 offset0:2 offset1:3
	s_waitcnt lgkmcnt(1)
	v_add_f64 v[0:1], v[1:2], v[3:4]
	s_delay_alu instid0(VALU_DEP_1) | instskip(SKIP_1) | instid1(VALU_DEP_1)
	v_add_f64 v[0:1], v[0:1], v[5:6]
	s_waitcnt lgkmcnt(0)
	v_add_f64 v[0:1], v[0:1], v[7:8]
	s_delay_alu instid0(VALU_DEP_1) | instskip(SKIP_4) | instid1(VALU_DEP_1)
	v_add_f64 v[8:9], v[0:1], v[9:10]
	ds_load_2addr_b64 v[0:3], v11 offset0:4 offset1:5
	ds_load_2addr_b64 v[4:7], v11 offset0:6 offset1:7
	s_waitcnt lgkmcnt(1)
	v_add_f64 v[0:1], v[8:9], v[0:1]
	v_add_f64 v[0:1], v[0:1], v[2:3]
	s_waitcnt lgkmcnt(0)
	s_delay_alu instid0(VALU_DEP_1) | instskip(NEXT) | instid1(VALU_DEP_1)
	v_add_f64 v[0:1], v[0:1], v[4:5]
	v_add_f64 v[1:2], v[0:1], v[6:7]
	s_cbranch_scc1 .LBB132_14
; %bb.15:
	s_add_i32 s1, s12, 9
	s_branch .LBB132_17
.LBB132_16:
	s_mov_b32 s1, 1
.LBB132_17:
	s_and_b32 s0, s0, 7
	s_delay_alu instid0(SALU_CYCLE_1)
	s_cmp_eq_u32 s0, 0
	s_cbranch_scc1 .LBB132_20
; %bb.18:
	s_lshl_b32 s1, s1, 3
	s_delay_alu instid0(SALU_CYCLE_1)
	s_add_i32 s1, s1, 0
.LBB132_19:                             ; =>This Inner Loop Header: Depth=1
	s_delay_alu instid0(SALU_CYCLE_1)
	v_mov_b32_e32 v0, s1
	s_add_i32 s0, s0, -1
	s_add_i32 s1, s1, 8
	s_cmp_lg_u32 s0, 0
	ds_load_b64 v[3:4], v0
	s_waitcnt lgkmcnt(0)
	v_add_f64 v[1:2], v[1:2], v[3:4]
	s_cbranch_scc1 .LBB132_19
.LBB132_20:
	s_lshl_b64 s[0:1], s[14:15], 3
	v_mov_b32_e32 v0, 0
	s_add_u32 s4, s4, s0
	s_addc_u32 s5, s5, s1
	s_add_u32 s0, s8, s0
	s_addc_u32 s1, s9, s1
	global_store_b64 v0, v[1:2], s[4:5]
	global_load_b64 v[3:4], v0, s[0:1]
	s_waitcnt vmcnt(0)
	v_cmp_lt_f64_e32 vcc_lo, v[1:2], v[3:4]
	s_and_b32 exec_lo, exec_lo, vcc_lo
	s_cbranch_execz .LBB132_1
; %bb.21:
	s_mov_b32 s0, exec_lo
	s_add_i32 s1, s13, 1
	v_mbcnt_lo_u32_b32 v1, s0, 0
	v_mov_b32_e32 v2, s1
	s_delay_alu instid0(VALU_DEP_2) | instskip(SKIP_2) | instid1(SALU_CYCLE_1)
	v_cmp_eq_u32_e32 vcc_lo, 0, v1
	global_store_b32 v0, v2, s[2:3] offset:4
	s_and_b32 s1, exec_lo, vcc_lo
	s_mov_b32 exec_lo, s1
	s_cbranch_execz .LBB132_1
; %bb.22:
	s_bcnt1_i32_b32 s0, s0
	s_delay_alu instid0(SALU_CYCLE_1)
	v_dual_mov_b32 v0, 0 :: v_dual_mov_b32 v1, s0
	global_atomic_add_u32 v0, v1, s[10:11]
	s_nop 0
	s_sendmsg sendmsg(MSG_DEALLOC_VGPRS)
	s_endpgm
	.section	.rodata,"a",@progbits
	.p2align	6, 0x0
	.amdhsa_kernel _ZN9rocsolver6v33100L15syevj_calc_normI19rocblas_complex_numIdEdEEviiPT0_PT_S5_Pi
		.amdhsa_group_segment_fixed_size 0
		.amdhsa_private_segment_fixed_size 0
		.amdhsa_kernarg_size 296
		.amdhsa_user_sgpr_count 14
		.amdhsa_user_sgpr_dispatch_ptr 0
		.amdhsa_user_sgpr_queue_ptr 0
		.amdhsa_user_sgpr_kernarg_segment_ptr 1
		.amdhsa_user_sgpr_dispatch_id 0
		.amdhsa_user_sgpr_private_segment_size 0
		.amdhsa_wavefront_size32 1
		.amdhsa_uses_dynamic_stack 0
		.amdhsa_enable_private_segment 0
		.amdhsa_system_sgpr_workgroup_id_x 1
		.amdhsa_system_sgpr_workgroup_id_y 1
		.amdhsa_system_sgpr_workgroup_id_z 0
		.amdhsa_system_sgpr_workgroup_info 0
		.amdhsa_system_vgpr_workitem_id 0
		.amdhsa_next_free_vgpr 12
		.amdhsa_next_free_sgpr 22
		.amdhsa_reserve_vcc 1
		.amdhsa_float_round_mode_32 0
		.amdhsa_float_round_mode_16_64 0
		.amdhsa_float_denorm_mode_32 3
		.amdhsa_float_denorm_mode_16_64 3
		.amdhsa_dx10_clamp 1
		.amdhsa_ieee_mode 1
		.amdhsa_fp16_overflow 0
		.amdhsa_workgroup_processor_mode 1
		.amdhsa_memory_ordered 1
		.amdhsa_forward_progress 0
		.amdhsa_shared_vgpr_count 0
		.amdhsa_exception_fp_ieee_invalid_op 0
		.amdhsa_exception_fp_denorm_src 0
		.amdhsa_exception_fp_ieee_div_zero 0
		.amdhsa_exception_fp_ieee_overflow 0
		.amdhsa_exception_fp_ieee_underflow 0
		.amdhsa_exception_fp_ieee_inexact 0
		.amdhsa_exception_int_div_zero 0
	.end_amdhsa_kernel
	.section	.text._ZN9rocsolver6v33100L15syevj_calc_normI19rocblas_complex_numIdEdEEviiPT0_PT_S5_Pi,"axG",@progbits,_ZN9rocsolver6v33100L15syevj_calc_normI19rocblas_complex_numIdEdEEviiPT0_PT_S5_Pi,comdat
.Lfunc_end132:
	.size	_ZN9rocsolver6v33100L15syevj_calc_normI19rocblas_complex_numIdEdEEviiPT0_PT_S5_Pi, .Lfunc_end132-_ZN9rocsolver6v33100L15syevj_calc_normI19rocblas_complex_numIdEdEEviiPT0_PT_S5_Pi
                                        ; -- End function
	.section	.AMDGPU.csdata,"",@progbits
; Kernel info:
; codeLenInByte = 864
; NumSgprs: 24
; NumVgprs: 12
; ScratchSize: 0
; MemoryBound: 0
; FloatMode: 240
; IeeeMode: 1
; LDSByteSize: 0 bytes/workgroup (compile time only)
; SGPRBlocks: 2
; VGPRBlocks: 1
; NumSGPRsForWavesPerEU: 24
; NumVGPRsForWavesPerEU: 12
; Occupancy: 16
; WaveLimiterHint : 0
; COMPUTE_PGM_RSRC2:SCRATCH_EN: 0
; COMPUTE_PGM_RSRC2:USER_SGPR: 14
; COMPUTE_PGM_RSRC2:TRAP_HANDLER: 0
; COMPUTE_PGM_RSRC2:TGID_X_EN: 1
; COMPUTE_PGM_RSRC2:TGID_Y_EN: 1
; COMPUTE_PGM_RSRC2:TGID_Z_EN: 0
; COMPUTE_PGM_RSRC2:TIDIG_COMP_CNT: 0
	.section	.text._ZN9rocsolver6v33100L14syevj_finalizeI19rocblas_complex_numIdEdPS3_EEv14rocblas_esort_14rocblas_evect_iT1_iilPT0_iPiS9_lSA_PT_SA_,"axG",@progbits,_ZN9rocsolver6v33100L14syevj_finalizeI19rocblas_complex_numIdEdPS3_EEv14rocblas_esort_14rocblas_evect_iT1_iilPT0_iPiS9_lSA_PT_SA_,comdat
	.globl	_ZN9rocsolver6v33100L14syevj_finalizeI19rocblas_complex_numIdEdPS3_EEv14rocblas_esort_14rocblas_evect_iT1_iilPT0_iPiS9_lSA_PT_SA_ ; -- Begin function _ZN9rocsolver6v33100L14syevj_finalizeI19rocblas_complex_numIdEdPS3_EEv14rocblas_esort_14rocblas_evect_iT1_iilPT0_iPiS9_lSA_PT_SA_
	.p2align	8
	.type	_ZN9rocsolver6v33100L14syevj_finalizeI19rocblas_complex_numIdEdPS3_EEv14rocblas_esort_14rocblas_evect_iT1_iilPT0_iPiS9_lSA_PT_SA_,@function
_ZN9rocsolver6v33100L14syevj_finalizeI19rocblas_complex_numIdEdPS3_EEv14rocblas_esort_14rocblas_evect_iT1_iilPT0_iPiS9_lSA_PT_SA_: ; @_ZN9rocsolver6v33100L14syevj_finalizeI19rocblas_complex_numIdEdPS3_EEv14rocblas_esort_14rocblas_evect_iT1_iilPT0_iPiS9_lSA_PT_SA_
; %bb.0:
	s_mov_b32 s28, s15
	s_clause 0x2
	s_load_b128 s[20:23], s[2:3], 0x20
	s_load_b256 s[8:15], s[2:3], 0x38
	s_load_b128 s[24:27], s[2:3], 0x58
	v_and_b32_e32 v1, 0x3ff, v0
	s_ashr_i32 s29, s28, 31
	s_delay_alu instid0(VALU_DEP_1) | instskip(NEXT) | instid1(VALU_DEP_1)
	v_cmp_eq_u32_e64 s4, 0, v1
	s_and_saveexec_b32 s5, s4
	s_cbranch_execz .LBB133_2
; %bb.1:
	s_lshl_b64 s[6:7], s[28:29], 2
	s_waitcnt lgkmcnt(0)
	s_add_u32 s16, s26, s6
	s_addc_u32 s17, s27, s7
	s_lshl_b64 s[18:19], s[28:29], 3
	s_delay_alu instid0(SALU_CYCLE_1)
	s_add_u32 s18, s22, s18
	s_addc_u32 s19, s23, s19
	s_load_b64 s[22:23], s[18:19], 0x0
	s_load_b32 s16, s[16:17], 0x4
	s_load_b32 s17, s[2:3], 0x30
	s_waitcnt lgkmcnt(0)
	v_cmp_gt_f64_e64 s26, 0x10000000, s[22:23]
	s_delay_alu instid0(VALU_DEP_1) | instskip(NEXT) | instid1(VALU_DEP_1)
	v_cndmask_b32_e64 v2, 0, 1, s26
	v_lshlrev_b32_e32 v2, 8, v2
	s_delay_alu instid0(VALU_DEP_1) | instskip(SKIP_2) | instid1(VALU_DEP_1)
	v_ldexp_f64 v[2:3], s[22:23], v2
	s_and_b32 s22, s26, exec_lo
	s_cselect_b32 s22, 0xffffff80, 0
	v_rsq_f64_e32 v[4:5], v[2:3]
	v_cmp_class_f64_e64 vcc_lo, v[2:3], 0x260
	s_waitcnt_depctr 0xfff
	v_mul_f64 v[6:7], v[2:3], v[4:5]
	v_mul_f64 v[4:5], v[4:5], 0.5
	s_delay_alu instid0(VALU_DEP_1) | instskip(NEXT) | instid1(VALU_DEP_1)
	v_fma_f64 v[8:9], -v[4:5], v[6:7], 0.5
	v_fma_f64 v[6:7], v[6:7], v[8:9], v[6:7]
	v_fma_f64 v[4:5], v[4:5], v[8:9], v[4:5]
	s_delay_alu instid0(VALU_DEP_2) | instskip(NEXT) | instid1(VALU_DEP_1)
	v_fma_f64 v[8:9], -v[6:7], v[6:7], v[2:3]
	v_fma_f64 v[6:7], v[8:9], v[4:5], v[6:7]
	s_delay_alu instid0(VALU_DEP_1) | instskip(NEXT) | instid1(VALU_DEP_1)
	v_fma_f64 v[8:9], -v[6:7], v[6:7], v[2:3]
	v_fma_f64 v[4:5], v[8:9], v[4:5], v[6:7]
	v_mov_b32_e32 v6, 0
	s_delay_alu instid0(VALU_DEP_2) | instskip(SKIP_3) | instid1(SALU_CYCLE_1)
	v_ldexp_f64 v[4:5], v[4:5], s22
	s_add_i32 s22, s16, -1
	s_cmp_lt_i32 s16, 1
	s_cselect_b32 s16, -1, 0
	v_cndmask_b32_e64 v7, 0, 1, s16
	s_and_b32 s16, s16, exec_lo
	s_cselect_b32 s16, s17, s22
	s_add_u32 s8, s8, s6
	s_addc_u32 s9, s9, s7
	s_add_u32 s6, s14, s6
	s_addc_u32 s7, s15, s7
	s_delay_alu instid0(VALU_DEP_2)
	v_dual_cndmask_b32 v3, v5, v3 :: v_dual_cndmask_b32 v2, v4, v2
	v_mov_b32_e32 v4, s16
	s_clause 0x2
	global_store_b64 v6, v[2:3], s[18:19]
	global_store_b32 v6, v4, s[8:9]
	global_store_b32 v6, v7, s[6:7]
.LBB133_2:
	s_or_b32 exec_lo, exec_lo, s5
	s_load_b128 s[16:19], s[2:3], 0x0
	s_waitcnt lgkmcnt(0)
	s_mul_i32 s5, s28, s13
	s_mul_hi_u32 s6, s28, s12
	s_delay_alu instid0(SALU_CYCLE_1) | instskip(SKIP_1) | instid1(SALU_CYCLE_1)
	s_add_i32 s5, s6, s5
	s_mul_i32 s6, s29, s12
	s_add_i32 s7, s5, s6
	s_mul_i32 s6, s28, s12
	s_delay_alu instid0(SALU_CYCLE_1) | instskip(NEXT) | instid1(SALU_CYCLE_1)
	s_lshl_b64 s[8:9], s[6:7], 3
	s_add_u32 s19, s10, s8
	s_addc_u32 s22, s11, s9
	v_cmp_gt_i32_e64 s5, s18, v1
	s_delay_alu instid0(VALU_DEP_1)
	s_and_saveexec_b32 s7, s5
	s_cbranch_execz .LBB133_5
; %bb.3:
	s_load_b32 s6, s[2:3], 0x74
	s_mul_i32 s12, s28, s18
	v_mad_u64_u32 v[2:3], null, v1, s18, v[1:2]
	s_mul_i32 s12, s12, s18
	v_mov_b32_e32 v4, v1
	s_ashr_i32 s13, s12, 31
	s_mov_b32 s23, 0
	s_lshl_b64 s[12:13], s[12:13], 4
	s_delay_alu instid0(SALU_CYCLE_1) | instskip(SKIP_4) | instid1(SALU_CYCLE_1)
	s_add_u32 s12, s24, s12
	s_addc_u32 s13, s25, s13
	s_add_i32 s15, s18, 1
	s_waitcnt lgkmcnt(0)
	s_and_b32 s14, s6, 0xffff
	s_mul_i32 s15, s15, s14
	.p2align	6
.LBB133_4:                              ; =>This Inner Loop Header: Depth=1
	v_ashrrev_i32_e32 v3, 31, v2
	s_delay_alu instid0(VALU_DEP_1) | instskip(SKIP_1) | instid1(VALU_DEP_2)
	v_lshlrev_b64 v[5:6], 4, v[2:3]
	v_add_nc_u32_e32 v2, s15, v2
	v_add_co_u32 v5, vcc_lo, s12, v5
	s_delay_alu instid0(VALU_DEP_3) | instskip(SKIP_2) | instid1(VALU_DEP_1)
	v_add_co_ci_u32_e32 v6, vcc_lo, s13, v6, vcc_lo
	global_load_b64 v[6:7], v[5:6], off
	v_ashrrev_i32_e32 v5, 31, v4
	v_lshlrev_b64 v[8:9], 3, v[4:5]
	v_add_nc_u32_e32 v4, s14, v4
	s_delay_alu instid0(VALU_DEP_1) | instskip(NEXT) | instid1(VALU_DEP_3)
	v_cmp_le_i32_e32 vcc_lo, s18, v4
	v_add_co_u32 v8, s6, s19, v8
	s_delay_alu instid0(VALU_DEP_1)
	v_add_co_ci_u32_e64 v9, s6, s22, v9, s6
	s_or_b32 s23, vcc_lo, s23
	s_waitcnt vmcnt(0)
	global_store_b64 v[8:9], v[6:7], off
	s_and_not1_b32 exec_lo, exec_lo, s23
	s_cbranch_execnz .LBB133_4
.LBB133_5:
	s_or_b32 exec_lo, exec_lo, s7
	v_cmp_eq_u32_e32 vcc_lo, 0, v1
	s_cmpk_lg_i32 s17, 0xd5
	s_waitcnt_vscnt null, 0x0
	s_cselect_b32 s17, -1, 0
	s_barrier
	s_or_b32 s6, vcc_lo, s17
	s_cmpk_lg_i32 s16, 0xfb
	buffer_gl0_inv
	s_cselect_b32 s7, -1, 0
	s_delay_alu instid0(SALU_CYCLE_1) | instskip(SKIP_3) | instid1(SALU_CYCLE_1)
	s_and_b32 s6, s7, s6
	s_cmp_gt_i32 s18, 1
	s_mov_b32 s7, 0
	s_cselect_b32 s12, -1, 0
	s_and_b32 s6, s12, s6
	s_delay_alu instid0(SALU_CYCLE_1)
	s_and_saveexec_b32 s12, s6
	s_cbranch_execz .LBB133_18
; %bb.6:
	s_load_b64 s[24:25], s[0:1], 0x4
	s_load_b128 s[12:15], s[2:3], 0x10
	s_mul_i32 s0, s28, s21
	s_mul_hi_u32 s1, s28, s20
	s_mul_i32 s6, s29, s20
	s_add_i32 s1, s1, s0
	s_mul_i32 s0, s28, s20
	s_add_i32 s1, s1, s6
	v_bfe_u32 v2, v0, 10, 10
	s_lshl_b64 s[0:1], s[0:1], 4
	v_bfe_u32 v3, v0, 20, 10
	v_mov_b32_e32 v0, 0
	s_mov_b32 s23, 0
	s_waitcnt lgkmcnt(0)
	s_lshr_b32 s6, s24, 16
	s_ashr_i32 s21, s14, 31
	s_mul_i32 s6, s6, s25
	s_mov_b32 s20, s14
	v_mul_lo_u32 v4, s6, v1
	s_add_u32 s12, s12, s0
	s_addc_u32 s6, s13, s1
	s_lshl_b64 s[0:1], s[20:21], 4
	s_mov_b32 s21, 0
	s_add_u32 s14, s12, s0
	s_addc_u32 s16, s6, s1
	s_add_u32 s0, s2, 0x68
	v_mad_u32_u24 v2, v2, s25, v4
	s_addc_u32 s1, s3, 0
	s_add_i32 s20, s18, -2
	s_add_u32 s2, s8, s10
	s_addc_u32 s3, s9, s11
	v_add_lshl_u32 v4, v2, v3, 4
	s_add_u32 s2, s2, 8
	s_addc_u32 s3, s3, 0
	s_branch .LBB133_9
.LBB133_7:                              ;   in Loop: Header=BB133_9 Depth=1
	s_or_b32 exec_lo, exec_lo, s9
	s_waitcnt lgkmcnt(0)
	s_waitcnt_vscnt null, 0x0
	s_barrier
	buffer_gl0_inv
.LBB133_8:                              ;   in Loop: Header=BB133_9 Depth=1
	s_add_u32 s2, s2, 8
	s_addc_u32 s3, s3, 0
	s_add_i32 s21, s21, s15
	s_cmp_lg_u32 s6, s20
	s_cbranch_scc0 .LBB133_18
.LBB133_9:                              ; =>This Loop Header: Depth=1
                                        ;     Child Loop BB133_10 Depth 2
                                        ;     Child Loop BB133_17 Depth 2
	s_mov_b32 s6, s23
	s_mov_b64 s[12:13], s[2:3]
	s_lshl_b64 s[8:9], s[6:7], 3
	s_delay_alu instid0(SALU_CYCLE_1)
	s_add_u32 s10, s19, s8
	s_addc_u32 s11, s22, s9
	s_add_i32 s23, s23, 1
	global_load_b64 v[2:3], v0, s[10:11]
	s_mov_b32 s9, s23
	s_mov_b32 s8, s6
.LBB133_10:                             ;   Parent Loop BB133_9 Depth=1
                                        ; =>  This Inner Loop Header: Depth=2
	global_load_b64 v[5:6], v0, s[12:13]
	s_waitcnt vmcnt(0)
	v_cmp_lt_f64_e32 vcc_lo, v[5:6], v[2:3]
	s_and_b32 s24, vcc_lo, exec_lo
	v_dual_cndmask_b32 v3, v3, v6 :: v_dual_cndmask_b32 v2, v2, v5
	s_cselect_b32 s8, s9, s8
	s_add_i32 s9, s9, 1
	s_add_u32 s12, s12, 8
	s_addc_u32 s13, s13, 0
	s_cmp_lt_i32 s9, s18
	s_cbranch_scc1 .LBB133_10
; %bb.11:                               ;   in Loop: Header=BB133_9 Depth=1
	s_cmp_eq_u32 s8, s6
	s_waitcnt_vscnt null, 0x0
	s_barrier
	buffer_gl0_inv
	s_cbranch_scc1 .LBB133_8
; %bb.12:                               ;   in Loop: Header=BB133_9 Depth=1
	s_and_saveexec_b32 s12, s4
	s_cbranch_execz .LBB133_14
; %bb.13:                               ;   in Loop: Header=BB133_9 Depth=1
	global_load_b64 v[5:6], v0, s[10:11]
	s_ashr_i32 s9, s8, 31
	s_delay_alu instid0(SALU_CYCLE_1) | instskip(NEXT) | instid1(SALU_CYCLE_1)
	s_lshl_b64 s[24:25], s[8:9], 3
	s_add_u32 s24, s19, s24
	s_addc_u32 s25, s22, s25
	s_waitcnt vmcnt(0)
	s_clause 0x1
	global_store_b64 v0, v[5:6], s[24:25]
	global_store_b64 v0, v[2:3], s[10:11]
.LBB133_14:                             ;   in Loop: Header=BB133_9 Depth=1
	s_or_b32 exec_lo, exec_lo, s12
	s_delay_alu instid0(SALU_CYCLE_1)
	s_and_not1_b32 vcc_lo, exec_lo, s17
	s_cbranch_vccnz .LBB133_8
; %bb.15:                               ;   in Loop: Header=BB133_9 Depth=1
	s_and_saveexec_b32 s9, s5
	s_cbranch_execz .LBB133_7
; %bb.16:                               ;   in Loop: Header=BB133_9 Depth=1
	s_load_b32 s10, s[0:1], 0xc
	v_mov_b32_e32 v2, v1
	s_mul_i32 s8, s8, s15
	s_mov_b32 s11, 0
	s_waitcnt lgkmcnt(0)
	s_and_b32 s10, s10, 0xffff
	.p2align	6
.LBB133_17:                             ;   Parent Loop BB133_9 Depth=1
                                        ; =>  This Inner Loop Header: Depth=2
	v_add_nc_u32_e32 v5, s8, v2
	v_add_nc_u32_e32 v7, s21, v2
	;; [unrolled: 1-line block ×3, first 2 shown]
	s_delay_alu instid0(VALU_DEP_3) | instskip(NEXT) | instid1(VALU_DEP_3)
	v_ashrrev_i32_e32 v6, 31, v5
	v_ashrrev_i32_e32 v8, 31, v7
	s_delay_alu instid0(VALU_DEP_2) | instskip(NEXT) | instid1(VALU_DEP_2)
	v_lshlrev_b64 v[5:6], 4, v[5:6]
	v_lshlrev_b64 v[7:8], 4, v[7:8]
	s_delay_alu instid0(VALU_DEP_2) | instskip(NEXT) | instid1(VALU_DEP_3)
	v_add_co_u32 v13, vcc_lo, s14, v5
	v_add_co_ci_u32_e32 v14, vcc_lo, s16, v6, vcc_lo
	s_delay_alu instid0(VALU_DEP_3) | instskip(NEXT) | instid1(VALU_DEP_4)
	v_add_co_u32 v15, vcc_lo, s14, v7
	v_add_co_ci_u32_e32 v16, vcc_lo, s16, v8, vcc_lo
	v_cmp_le_i32_e32 vcc_lo, s18, v2
	s_clause 0x1
	global_load_b128 v[5:8], v[13:14], off
	global_load_b128 v[9:12], v[15:16], off
	s_or_b32 s11, vcc_lo, s11
	s_waitcnt vmcnt(1)
	ds_store_2addr_b64 v4, v[5:6], v[7:8] offset1:1
	s_waitcnt vmcnt(0)
	s_clause 0x1
	global_store_b128 v[13:14], v[9:12], off
	global_store_b128 v[15:16], v[5:8], off
	s_and_not1_b32 exec_lo, exec_lo, s11
	s_cbranch_execnz .LBB133_17
	s_branch .LBB133_7
.LBB133_18:
	s_nop 0
	s_sendmsg sendmsg(MSG_DEALLOC_VGPRS)
	s_endpgm
	.section	.rodata,"a",@progbits
	.p2align	6, 0x0
	.amdhsa_kernel _ZN9rocsolver6v33100L14syevj_finalizeI19rocblas_complex_numIdEdPS3_EEv14rocblas_esort_14rocblas_evect_iT1_iilPT0_iPiS9_lSA_PT_SA_
		.amdhsa_group_segment_fixed_size 16384
		.amdhsa_private_segment_fixed_size 0
		.amdhsa_kernarg_size 360
		.amdhsa_user_sgpr_count 14
		.amdhsa_user_sgpr_dispatch_ptr 1
		.amdhsa_user_sgpr_queue_ptr 0
		.amdhsa_user_sgpr_kernarg_segment_ptr 1
		.amdhsa_user_sgpr_dispatch_id 0
		.amdhsa_user_sgpr_private_segment_size 0
		.amdhsa_wavefront_size32 1
		.amdhsa_uses_dynamic_stack 0
		.amdhsa_enable_private_segment 0
		.amdhsa_system_sgpr_workgroup_id_x 1
		.amdhsa_system_sgpr_workgroup_id_y 1
		.amdhsa_system_sgpr_workgroup_id_z 0
		.amdhsa_system_sgpr_workgroup_info 0
		.amdhsa_system_vgpr_workitem_id 2
		.amdhsa_next_free_vgpr 17
		.amdhsa_next_free_sgpr 30
		.amdhsa_reserve_vcc 1
		.amdhsa_float_round_mode_32 0
		.amdhsa_float_round_mode_16_64 0
		.amdhsa_float_denorm_mode_32 3
		.amdhsa_float_denorm_mode_16_64 3
		.amdhsa_dx10_clamp 1
		.amdhsa_ieee_mode 1
		.amdhsa_fp16_overflow 0
		.amdhsa_workgroup_processor_mode 1
		.amdhsa_memory_ordered 1
		.amdhsa_forward_progress 0
		.amdhsa_shared_vgpr_count 0
		.amdhsa_exception_fp_ieee_invalid_op 0
		.amdhsa_exception_fp_denorm_src 0
		.amdhsa_exception_fp_ieee_div_zero 0
		.amdhsa_exception_fp_ieee_overflow 0
		.amdhsa_exception_fp_ieee_underflow 0
		.amdhsa_exception_fp_ieee_inexact 0
		.amdhsa_exception_int_div_zero 0
	.end_amdhsa_kernel
	.section	.text._ZN9rocsolver6v33100L14syevj_finalizeI19rocblas_complex_numIdEdPS3_EEv14rocblas_esort_14rocblas_evect_iT1_iilPT0_iPiS9_lSA_PT_SA_,"axG",@progbits,_ZN9rocsolver6v33100L14syevj_finalizeI19rocblas_complex_numIdEdPS3_EEv14rocblas_esort_14rocblas_evect_iT1_iilPT0_iPiS9_lSA_PT_SA_,comdat
.Lfunc_end133:
	.size	_ZN9rocsolver6v33100L14syevj_finalizeI19rocblas_complex_numIdEdPS3_EEv14rocblas_esort_14rocblas_evect_iT1_iilPT0_iPiS9_lSA_PT_SA_, .Lfunc_end133-_ZN9rocsolver6v33100L14syevj_finalizeI19rocblas_complex_numIdEdPS3_EEv14rocblas_esort_14rocblas_evect_iT1_iilPT0_iPiS9_lSA_PT_SA_
                                        ; -- End function
	.section	.AMDGPU.csdata,"",@progbits
; Kernel info:
; codeLenInByte = 1344
; NumSgprs: 32
; NumVgprs: 17
; ScratchSize: 0
; MemoryBound: 0
; FloatMode: 240
; IeeeMode: 1
; LDSByteSize: 16384 bytes/workgroup (compile time only)
; SGPRBlocks: 3
; VGPRBlocks: 2
; NumSGPRsForWavesPerEU: 32
; NumVGPRsForWavesPerEU: 17
; Occupancy: 16
; WaveLimiterHint : 0
; COMPUTE_PGM_RSRC2:SCRATCH_EN: 0
; COMPUTE_PGM_RSRC2:USER_SGPR: 14
; COMPUTE_PGM_RSRC2:TRAP_HANDLER: 0
; COMPUTE_PGM_RSRC2:TGID_X_EN: 1
; COMPUTE_PGM_RSRC2:TGID_Y_EN: 1
; COMPUTE_PGM_RSRC2:TGID_Z_EN: 0
; COMPUTE_PGM_RSRC2:TIDIG_COMP_CNT: 2
	.section	.text._ZN9rocsolver6v33100L18geqr2_kernel_smallILi256E19rocblas_complex_numIdEidPS3_EEvT1_S5_T3_lS5_lPT2_lPT0_l,"axG",@progbits,_ZN9rocsolver6v33100L18geqr2_kernel_smallILi256E19rocblas_complex_numIdEidPS3_EEvT1_S5_T3_lS5_lPT2_lPT0_l,comdat
	.globl	_ZN9rocsolver6v33100L18geqr2_kernel_smallILi256E19rocblas_complex_numIdEidPS3_EEvT1_S5_T3_lS5_lPT2_lPT0_l ; -- Begin function _ZN9rocsolver6v33100L18geqr2_kernel_smallILi256E19rocblas_complex_numIdEidPS3_EEvT1_S5_T3_lS5_lPT2_lPT0_l
	.p2align	8
	.type	_ZN9rocsolver6v33100L18geqr2_kernel_smallILi256E19rocblas_complex_numIdEidPS3_EEvT1_S5_T3_lS5_lPT2_lPT0_l,@function
_ZN9rocsolver6v33100L18geqr2_kernel_smallILi256E19rocblas_complex_numIdEidPS3_EEvT1_S5_T3_lS5_lPT2_lPT0_l: ; @_ZN9rocsolver6v33100L18geqr2_kernel_smallILi256E19rocblas_complex_numIdEidPS3_EEvT1_S5_T3_lS5_lPT2_lPT0_l
; %bb.0:
	s_clause 0x4
	s_load_b256 s[4:11], s[0:1], 0x20
	s_load_b64 s[12:13], s[0:1], 0x0
	s_load_b128 s[20:23], s[0:1], 0x8
	s_load_b32 s18, s[0:1], 0x18
	s_load_b64 s[2:3], s[0:1], 0x40
	s_ashr_i32 s14, s15, 31
	v_and_b32_e32 v5, 0x7f, v0
	v_lshrrev_b32_e32 v15, 7, v0
	s_delay_alu instid0(VALU_DEP_2)
	v_lshlrev_b32_e32 v16, 4, v5
	s_waitcnt lgkmcnt(0)
	s_mul_i32 s0, s15, s5
	s_mul_hi_u32 s1, s15, s4
	s_mul_i32 s5, s14, s4
	s_add_i32 s1, s1, s0
	s_mul_i32 s0, s15, s4
	s_add_i32 s1, s1, s5
	s_delay_alu instid0(SALU_CYCLE_1) | instskip(SKIP_4) | instid1(SALU_CYCLE_1)
	s_lshl_b64 s[4:5], s[0:1], 4
	v_cmp_gt_i32_e64 s0, s12, v5
	s_add_u32 s1, s20, s4
	s_addc_u32 s17, s21, s5
	s_lshl_b64 s[4:5], s[22:23], 4
	s_add_u32 s16, s1, s4
	s_addc_u32 s17, s17, s5
	s_and_saveexec_b32 s4, s0
	s_cbranch_execz .LBB134_6
; %bb.1:
	v_lshrrev_b32_e32 v4, 7, v0
	v_mov_b32_e32 v7, v5
	s_mov_b32 s5, 0
	s_lshl_b32 s19, s12, 5
	s_lshl_b32 s20, s18, 1
	v_mul_lo_u32 v1, s12, v4
	v_cmp_gt_i32_e32 vcc_lo, s13, v4
	s_delay_alu instid0(VALU_DEP_2) | instskip(SKIP_1) | instid1(VALU_DEP_2)
	v_lshlrev_b32_e32 v3, 4, v1
	v_mad_u64_u32 v[1:2], null, s18, v4, v[5:6]
	v_add3_u32 v6, v3, v16, 0
	s_set_inst_prefetch_distance 0x1
	s_branch .LBB134_3
	.p2align	6
.LBB134_2:                              ;   in Loop: Header=BB134_3 Depth=1
	s_or_b32 exec_lo, exec_lo, s21
	v_add_nc_u32_e32 v7, 0x80, v7
	v_add_nc_u32_e32 v6, 0x800, v6
	;; [unrolled: 1-line block ×3, first 2 shown]
	s_delay_alu instid0(VALU_DEP_3) | instskip(NEXT) | instid1(VALU_DEP_1)
	v_cmp_le_i32_e64 s1, s12, v7
	s_or_b32 s5, s1, s5
	s_delay_alu instid0(SALU_CYCLE_1)
	s_and_not1_b32 exec_lo, exec_lo, s5
	s_cbranch_execz .LBB134_6
.LBB134_3:                              ; =>This Loop Header: Depth=1
                                        ;     Child Loop BB134_5 Depth 2
	s_and_saveexec_b32 s21, vcc_lo
	s_cbranch_execz .LBB134_2
; %bb.4:                                ;   in Loop: Header=BB134_3 Depth=1
	s_delay_alu instid0(VALU_DEP_2)
	v_dual_mov_b32 v2, v1 :: v_dual_mov_b32 v9, v4
	v_mov_b32_e32 v8, v6
	s_mov_b32 s22, 0
	.p2align	6
.LBB134_5:                              ;   Parent Loop BB134_3 Depth=1
                                        ; =>  This Inner Loop Header: Depth=2
	s_delay_alu instid0(VALU_DEP_2) | instskip(NEXT) | instid1(VALU_DEP_3)
	v_ashrrev_i32_e32 v3, 31, v2
	v_add_nc_u32_e32 v9, 2, v9
	s_delay_alu instid0(VALU_DEP_2) | instskip(SKIP_1) | instid1(VALU_DEP_2)
	v_lshlrev_b64 v[10:11], 4, v[2:3]
	v_add_nc_u32_e32 v2, s20, v2
	v_add_co_u32 v10, s1, s16, v10
	s_delay_alu instid0(VALU_DEP_1)
	v_add_co_ci_u32_e64 v11, s1, s17, v11, s1
	v_cmp_le_i32_e64 s1, s13, v9
	global_load_b128 v[10:13], v[10:11], off
	s_or_b32 s22, s1, s22
	s_waitcnt vmcnt(0)
	ds_store_2addr_b64 v8, v[10:11], v[12:13] offset1:1
	v_add_nc_u32_e32 v8, s19, v8
	s_and_not1_b32 exec_lo, exec_lo, s22
	s_cbranch_execnz .LBB134_5
	s_branch .LBB134_2
.LBB134_6:
	s_set_inst_prefetch_distance 0x2
	s_or_b32 exec_lo, exec_lo, s4
	s_min_i32 s19, s13, s12
	s_waitcnt lgkmcnt(0)
	s_cmp_lt_i32 s19, 1
	s_barrier
	buffer_gl0_inv
	s_cbranch_scc1 .LBB134_43
; %bb.7:
	v_mbcnt_lo_u32_b32 v1, -1, 0
	s_mul_i32 s1, s15, s9
	s_mul_hi_u32 s4, s15, s8
	s_mul_i32 s5, s14, s8
	s_add_i32 s1, s4, s1
	v_cmp_ne_u32_e32 vcc_lo, 31, v1
	s_mul_i32 s4, s15, s8
	s_add_i32 s5, s1, s5
	s_mul_i32 s1, s15, s3
	s_lshl_b64 s[4:5], s[4:5], 3
	v_add_co_ci_u32_e32 v2, vcc_lo, 0, v1, vcc_lo
	v_cmp_gt_u32_e32 vcc_lo, 30, v1
	s_mul_hi_u32 s3, s15, s2
	s_add_u32 s20, s6, s4
	s_addc_u32 s21, s7, s5
	s_add_i32 s1, s3, s1
	v_cndmask_b32_e64 v3, 0, 1, vcc_lo
	v_cmp_gt_u32_e32 vcc_lo, 28, v1
	s_mul_i32 s3, s14, s2
	s_mul_i32 s2, s15, s2
	s_add_i32 s3, s1, s3
	s_mul_i32 s1, s13, s12
	v_cndmask_b32_e64 v4, 0, 1, vcc_lo
	v_cmp_gt_u32_e32 vcc_lo, 24, v1
	s_lshl_b64 s[2:3], s[2:3], 4
	v_lshlrev_b32_e32 v17, 2, v2
	v_lshlrev_b32_e32 v2, 1, v3
	;; [unrolled: 1-line block ×3, first 2 shown]
	v_cndmask_b32_e64 v6, 0, 1, vcc_lo
	v_cmp_gt_u32_e32 vcc_lo, 16, v1
	s_add_u32 s22, s10, s2
	s_addc_u32 s23, s11, s3
	s_lshl_b32 s1, s1, 4
	v_lshlrev_b32_e32 v4, 3, v6
	v_cndmask_b32_e64 v7, 0, 1, vcc_lo
	s_add_i32 s24, s1, 0
	s_lshl_b32 s1, s13, 4
	v_add_lshl_u32 v18, v2, v1, 2
	v_add_lshl_u32 v19, v3, v1, 2
	v_lshlrev_b32_e32 v6, 4, v7
	v_add_lshl_u32 v20, v4, v1, 2
	s_add_i32 s25, s24, s1
	s_cmp_eq_u64 s[6:7], 0
	v_and_b32_e32 v7, 31, v0
	v_add_lshl_u32 v21, v6, v1, 2
	v_mov_b32_e32 v6, 0
	v_mad_u64_u32 v[1:2], null, s12, v0, s[12:13]
	v_lshrrev_b32_e32 v3, 1, v0
	v_lshlrev_b32_e32 v2, 4, v0
	s_cselect_b32 s26, -1, 0
	s_cmp_lg_u64 s[6:7], 0
	v_cmp_eq_u32_e64 s1, 0, v7
	s_cselect_b32 s27, -1, 0
	s_lshl_b32 s28, s12, 4
	v_cmp_eq_u32_e64 s2, 0, v0
	v_add3_u32 v22, v2, 0, 16
	v_lshl_add_u32 v23, v1, 4, 0
	v_add3_u32 v24, 0, s28, v2
	v_add_nc_u32_e32 v25, s25, v3
	s_mov_b32 s9, 0
	s_add_i32 s29, s28, 16
	s_lshl_b32 s30, s12, 12
	s_mov_b32 s31, 0
	s_mov_b32 s8, s9
	s_branch .LBB134_9
.LBB134_8:                              ;   in Loop: Header=BB134_9 Depth=1
	s_set_inst_prefetch_distance 0x2
	s_or_b32 exec_lo, exec_lo, s4
	v_add_nc_u32_e32 v22, s29, v22
	v_add_nc_u32_e32 v23, s29, v23
	;; [unrolled: 1-line block ×3, first 2 shown]
	s_add_i32 s8, s8, 1
	s_add_i32 s31, s31, s29
	s_cmp_eq_u32 s8, s19
	s_waitcnt lgkmcnt(0)
	s_barrier
	buffer_gl0_inv
	s_cbranch_scc1 .LBB134_43
.LBB134_9:                              ; =>This Loop Header: Depth=1
                                        ;     Child Loop BB134_11 Depth 2
                                        ;     Child Loop BB134_30 Depth 2
	;; [unrolled: 1-line block ×3, first 2 shown]
                                        ;       Child Loop BB134_36 Depth 3
                                        ;     Child Loop BB134_40 Depth 2
                                        ;       Child Loop BB134_42 Depth 3
	v_mov_b32_e32 v1, 0
	v_mov_b32_e32 v2, 0
	s_sub_i32 s33, s12, s8
	s_delay_alu instid0(SALU_CYCLE_1) | instskip(NEXT) | instid1(SALU_CYCLE_1)
	s_add_i32 s35, s33, -1
	v_cmp_gt_i32_e64 s3, s35, v0
	s_delay_alu instid0(VALU_DEP_2) | instskip(NEXT) | instid1(VALU_DEP_2)
	v_dual_mov_b32 v4, v2 :: v_dual_mov_b32 v3, v1
	s_and_saveexec_b32 s4, s3
	s_cbranch_execz .LBB134_13
; %bb.10:                               ;   in Loop: Header=BB134_9 Depth=1
	v_dual_mov_b32 v1, 0 :: v_dual_mov_b32 v8, v0
	v_dual_mov_b32 v2, 0 :: v_dual_mov_b32 v7, v22
	s_mov_b32 s5, 0
	s_delay_alu instid0(VALU_DEP_1)
	v_dual_mov_b32 v4, v2 :: v_dual_mov_b32 v3, v1
	.p2align	6
.LBB134_11:                             ;   Parent Loop BB134_9 Depth=1
                                        ; =>  This Inner Loop Header: Depth=2
	ds_load_2addr_b64 v[9:12], v7 offset1:1
	v_add_nc_u32_e32 v8, 0x100, v8
	v_add_nc_u32_e32 v7, 0x1000, v7
	s_delay_alu instid0(VALU_DEP_2) | instskip(SKIP_4) | instid1(VALU_DEP_2)
	v_cmp_le_i32_e32 vcc_lo, s35, v8
	s_or_b32 s5, vcc_lo, s5
	s_waitcnt lgkmcnt(0)
	v_mul_f64 v[13:14], v[11:12], v[11:12]
	v_mul_f64 v[26:27], v[9:10], v[11:12]
	v_fma_f64 v[13:14], v[9:10], v[9:10], v[13:14]
	s_delay_alu instid0(VALU_DEP_2) | instskip(NEXT) | instid1(VALU_DEP_2)
	v_fma_f64 v[9:10], v[9:10], v[11:12], -v[26:27]
	v_add_f64 v[3:4], v[3:4], v[13:14]
	s_delay_alu instid0(VALU_DEP_2)
	v_add_f64 v[1:2], v[1:2], v[9:10]
	s_and_not1_b32 exec_lo, exec_lo, s5
	s_cbranch_execnz .LBB134_11
; %bb.12:                               ;   in Loop: Header=BB134_9 Depth=1
	s_or_b32 exec_lo, exec_lo, s5
.LBB134_13:                             ;   in Loop: Header=BB134_9 Depth=1
	s_delay_alu instid0(SALU_CYCLE_1)
	s_or_b32 exec_lo, exec_lo, s4
	ds_bpermute_b32 v7, v17, v3
	ds_bpermute_b32 v8, v17, v4
	s_waitcnt lgkmcnt(0)
	v_add_f64 v[3:4], v[3:4], v[7:8]
	ds_bpermute_b32 v7, v17, v1
	ds_bpermute_b32 v8, v17, v2
	s_waitcnt lgkmcnt(0)
	v_add_f64 v[1:2], v[1:2], v[7:8]
	;; [unrolled: 4-line block ×9, first 2 shown]
	ds_bpermute_b32 v7, v21, v3
	ds_bpermute_b32 v8, v21, v4
	s_and_saveexec_b32 s4, s1
	s_cbranch_execz .LBB134_15
; %bb.14:                               ;   in Loop: Header=BB134_9 Depth=1
	s_waitcnt lgkmcnt(0)
	v_add_f64 v[3:4], v[3:4], v[7:8]
	ds_store_2addr_b64 v25, v[1:2], v[3:4] offset0:2 offset1:3
.LBB134_15:                             ;   in Loop: Header=BB134_9 Depth=1
	s_or_b32 exec_lo, exec_lo, s4
	s_lshl_b32 s4, s8, 4
	s_mul_i32 s5, s8, s12
	s_add_i32 s34, s4, 0
	s_lshl_b32 s4, s5, 4
	s_waitcnt lgkmcnt(0)
	s_add_i32 s34, s34, s4
	s_barrier
	buffer_gl0_inv
	s_and_saveexec_b32 s36, s2
	s_cbranch_execz .LBB134_28
; %bb.16:                               ;   in Loop: Header=BB134_9 Depth=1
	v_mov_b32_e32 v11, s25
	s_mov_b32 s39, 0
	s_mov_b32 s37, 0
	s_mov_b32 s38, exec_lo
                                        ; implicit-def: $sgpr10_sgpr11
                                        ; implicit-def: $sgpr14_sgpr15
                                        ; implicit-def: $sgpr4_sgpr5
                                        ; implicit-def: $sgpr6_sgpr7
	ds_load_2addr_b64 v[7:10], v11 offset0:4 offset1:6
	s_waitcnt lgkmcnt(0)
	v_add_f64 v[1:2], v[1:2], v[7:8]
	s_delay_alu instid0(VALU_DEP_1) | instskip(SKIP_3) | instid1(VALU_DEP_1)
	v_add_f64 v[7:8], v[1:2], v[9:10]
	ds_load_2addr_b64 v[1:4], v11 offset0:8 offset1:10
	s_waitcnt lgkmcnt(0)
	v_add_f64 v[1:2], v[7:8], v[1:2]
	v_add_f64 v[7:8], v[1:2], v[3:4]
	ds_load_2addr_b64 v[1:4], v11 offset0:12 offset1:14
	s_waitcnt lgkmcnt(0)
	v_add_f64 v[1:2], v[7:8], v[1:2]
	v_mov_b32_e32 v7, s34
	s_delay_alu instid0(VALU_DEP_2)
	v_add_f64 v[1:2], v[1:2], v[3:4]
	ds_load_b64 v[3:4], v11 offset:128
	ds_load_b64 v[7:8], v7 offset:8
	s_waitcnt lgkmcnt(0)
	v_mul_f64 v[11:12], v[7:8], v[7:8]
	v_add_f64 v[13:14], v[1:2], v[3:4]
	s_delay_alu instid0(VALU_DEP_1) | instskip(NEXT) | instid1(VALU_DEP_1)
	v_max_f64 v[1:2], v[13:14], v[11:12]
	v_cmpx_nlt_f64_e32 0, v[1:2]
	s_xor_b32 s38, exec_lo, s38
                                        ; implicit-def: $vgpr1_vgpr2_vgpr3_vgpr4
	s_cbranch_execz .LBB134_21
; %bb.17:                               ;   in Loop: Header=BB134_9 Depth=1
	s_mov_b32 s4, s9
	s_mov_b32 s6, s9
	s_mov_b32 s5, s9
	s_mov_b32 s7, s9
	v_mov_b32_e32 v1, s4
	v_dual_mov_b32 v3, s6 :: v_dual_mov_b32 v4, s7
	v_dual_mov_b32 v7, s25 :: v_dual_mov_b32 v2, s5
	s_and_b32 vcc_lo, exec_lo, s27
	ds_store_2addr_b64 v7, v[1:2], v[3:4] offset1:1
	s_cbranch_vccz .LBB134_19
; %bb.18:                               ;   in Loop: Header=BB134_9 Depth=1
	v_mov_b32_e32 v1, s34
	s_mov_b32 s37, -1
	s_mov_b64 s[6:7], 1.0
	s_mov_b64 s[4:5], 0
	ds_load_b64 v[1:2], v1
	s_branch .LBB134_20
.LBB134_19:                             ;   in Loop: Header=BB134_9 Depth=1
                                        ; implicit-def: $sgpr4_sgpr5
                                        ; implicit-def: $sgpr6_sgpr7
                                        ; implicit-def: $vgpr1_vgpr2_vgpr3_vgpr4
.LBB134_20:                             ;   in Loop: Header=BB134_9 Depth=1
	s_mov_b64 s[14:15], 0
	s_mov_b64 s[10:11], 1.0
	s_and_b32 s37, s37, exec_lo
                                        ; implicit-def: $vgpr11_vgpr12
                                        ; implicit-def: $vgpr13_vgpr14
                                        ; implicit-def: $vgpr7_vgpr8
.LBB134_21:                             ;   in Loop: Header=BB134_9 Depth=1
	s_or_saveexec_b32 s38, s38
	v_dual_mov_b32 v10, s5 :: v_dual_mov_b32 v9, s4
	v_dual_mov_b32 v3, s6 :: v_dual_mov_b32 v4, s7
	s_xor_b32 exec_lo, exec_lo, s38
	s_cbranch_execz .LBB134_23
; %bb.22:                               ;   in Loop: Header=BB134_9 Depth=1
	s_waitcnt lgkmcnt(0)
	v_mov_b32_e32 v1, s34
	s_and_b32 s39, s26, exec_lo
	ds_load_b64 v[3:4], v1
	s_waitcnt lgkmcnt(0)
	v_fma_f64 v[1:2], v[3:4], v[3:4], v[11:12]
	s_delay_alu instid0(VALU_DEP_1) | instskip(NEXT) | instid1(VALU_DEP_1)
	v_add_f64 v[1:2], v[13:14], v[1:2]
	v_cmp_gt_f64_e32 vcc_lo, 0x10000000, v[1:2]
	v_cndmask_b32_e64 v9, 0, 1, vcc_lo
	s_delay_alu instid0(VALU_DEP_1) | instskip(NEXT) | instid1(VALU_DEP_1)
	v_lshlrev_b32_e32 v9, 8, v9
	v_ldexp_f64 v[1:2], v[1:2], v9
	s_delay_alu instid0(VALU_DEP_1) | instskip(SKIP_3) | instid1(VALU_DEP_1)
	v_rsq_f64_e32 v[9:10], v[1:2]
	s_waitcnt_depctr 0xfff
	v_mul_f64 v[13:14], v[1:2], v[9:10]
	v_mul_f64 v[9:10], v[9:10], 0.5
	v_fma_f64 v[26:27], -v[9:10], v[13:14], 0.5
	s_delay_alu instid0(VALU_DEP_1) | instskip(SKIP_1) | instid1(VALU_DEP_2)
	v_fma_f64 v[13:14], v[13:14], v[26:27], v[13:14]
	v_fma_f64 v[9:10], v[9:10], v[26:27], v[9:10]
	v_fma_f64 v[26:27], -v[13:14], v[13:14], v[1:2]
	s_delay_alu instid0(VALU_DEP_1) | instskip(NEXT) | instid1(VALU_DEP_1)
	v_fma_f64 v[13:14], v[26:27], v[9:10], v[13:14]
	v_fma_f64 v[26:27], -v[13:14], v[13:14], v[1:2]
	s_delay_alu instid0(VALU_DEP_1) | instskip(SKIP_2) | instid1(VALU_DEP_2)
	v_fma_f64 v[9:10], v[26:27], v[9:10], v[13:14]
	v_cndmask_b32_e64 v13, 0, 0xffffff80, vcc_lo
	v_cmp_class_f64_e64 vcc_lo, v[1:2], 0x260
	v_ldexp_f64 v[9:10], v[9:10], v13
	s_delay_alu instid0(VALU_DEP_1) | instskip(SKIP_1) | instid1(VALU_DEP_2)
	v_dual_cndmask_b32 v2, v10, v2 :: v_dual_cndmask_b32 v1, v9, v1
	v_cmp_le_f64_e32 vcc_lo, 0, v[3:4]
	v_xor_b32_e32 v9, 0x80000000, v2
	s_delay_alu instid0(VALU_DEP_1) | instskip(NEXT) | instid1(VALU_DEP_1)
	v_cndmask_b32_e32 v2, v2, v9, vcc_lo
	v_add_f64 v[9:10], v[3:4], -v[1:2]
	v_add_f64 v[13:14], v[1:2], -v[3:4]
	v_div_scale_f64 v[30:31], null, v[1:2], v[1:2], -v[7:8]
	s_delay_alu instid0(VALU_DEP_3) | instskip(NEXT) | instid1(VALU_DEP_3)
	v_fma_f64 v[11:12], v[9:10], v[9:10], v[11:12]
	v_div_scale_f64 v[28:29], null, v[1:2], v[1:2], v[13:14]
	s_delay_alu instid0(VALU_DEP_3) | instskip(NEXT) | instid1(VALU_DEP_2)
	v_rcp_f64_e32 v[38:39], v[30:31]
	v_div_scale_f64 v[3:4], null, v[11:12], v[11:12], v[9:10]
	v_div_scale_f64 v[26:27], null, v[11:12], v[11:12], -v[7:8]
	s_delay_alu instid0(VALU_DEP_3)
	v_rcp_f64_e32 v[36:37], v[28:29]
	s_waitcnt_depctr 0xfff
	v_fma_f64 v[46:47], -v[30:31], v[38:39], 1.0
	v_div_scale_f64 v[48:49], vcc_lo, v[9:10], v[11:12], v[9:10]
	v_rcp_f64_e32 v[32:33], v[3:4]
	v_rcp_f64_e32 v[34:35], v[26:27]
	s_delay_alu instid0(VALU_DEP_2)
	v_fma_f64 v[38:39], v[38:39], v[46:47], v[38:39]
	v_fma_f64 v[44:45], -v[28:29], v[36:37], 1.0
	s_waitcnt_depctr 0xfff
	v_fma_f64 v[40:41], -v[3:4], v[32:33], 1.0
	v_fma_f64 v[42:43], -v[26:27], v[34:35], 1.0
	;; [unrolled: 1-line block ×3, first 2 shown]
	v_fma_f64 v[36:37], v[36:37], v[44:45], v[36:37]
	s_delay_alu instid0(VALU_DEP_4) | instskip(NEXT) | instid1(VALU_DEP_4)
	v_fma_f64 v[32:33], v[32:33], v[40:41], v[32:33]
	v_fma_f64 v[34:35], v[34:35], v[42:43], v[34:35]
	s_delay_alu instid0(VALU_DEP_4) | instskip(NEXT) | instid1(VALU_DEP_4)
	v_fma_f64 v[38:39], v[38:39], v[46:47], v[38:39]
	v_fma_f64 v[44:45], -v[28:29], v[36:37], 1.0
	s_delay_alu instid0(VALU_DEP_4) | instskip(NEXT) | instid1(VALU_DEP_4)
	v_fma_f64 v[40:41], -v[3:4], v[32:33], 1.0
	v_fma_f64 v[42:43], -v[26:27], v[34:35], 1.0
	s_delay_alu instid0(VALU_DEP_3) | instskip(SKIP_1) | instid1(VALU_DEP_4)
	v_fma_f64 v[36:37], v[36:37], v[44:45], v[36:37]
	v_div_scale_f64 v[44:45], s6, -v[7:8], v[1:2], -v[7:8]
	v_fma_f64 v[32:33], v[32:33], v[40:41], v[32:33]
	v_div_scale_f64 v[40:41], s4, -v[7:8], v[11:12], -v[7:8]
	v_fma_f64 v[34:35], v[34:35], v[42:43], v[34:35]
	v_div_scale_f64 v[42:43], s5, v[13:14], v[1:2], v[13:14]
	v_mul_f64 v[54:55], v[44:45], v[38:39]
	v_mul_f64 v[46:47], v[48:49], v[32:33]
	s_delay_alu instid0(VALU_DEP_4) | instskip(NEXT) | instid1(VALU_DEP_4)
	v_mul_f64 v[50:51], v[40:41], v[34:35]
	v_mul_f64 v[52:53], v[42:43], v[36:37]
	s_delay_alu instid0(VALU_DEP_4) | instskip(NEXT) | instid1(VALU_DEP_4)
	v_fma_f64 v[30:31], -v[30:31], v[54:55], v[44:45]
	v_fma_f64 v[3:4], -v[3:4], v[46:47], v[48:49]
	s_delay_alu instid0(VALU_DEP_4) | instskip(NEXT) | instid1(VALU_DEP_4)
	v_fma_f64 v[26:27], -v[26:27], v[50:51], v[40:41]
	v_fma_f64 v[28:29], -v[28:29], v[52:53], v[42:43]
	s_delay_alu instid0(VALU_DEP_3) | instskip(SKIP_2) | instid1(VALU_DEP_3)
	v_div_fmas_f64 v[3:4], v[3:4], v[32:33], v[46:47]
	s_mov_b32 vcc_lo, s4
	s_and_not1_b32 s4, s37, exec_lo
	v_div_fmas_f64 v[26:27], v[26:27], v[34:35], v[50:51]
	s_mov_b32 vcc_lo, s5
	s_and_b32 s5, s27, exec_lo
	s_delay_alu instid0(VALU_DEP_3) | instskip(SKIP_3) | instid1(VALU_DEP_4)
	v_div_fmas_f64 v[28:29], v[28:29], v[36:37], v[52:53]
	s_mov_b32 vcc_lo, s6
	s_or_b32 s37, s4, s5
	v_div_fmas_f64 v[30:31], v[30:31], v[38:39], v[54:55]
	v_div_fixup_f64 v[3:4], v[3:4], v[11:12], v[9:10]
	s_delay_alu instid0(VALU_DEP_4) | instskip(NEXT) | instid1(VALU_DEP_4)
	v_div_fixup_f64 v[9:10], v[26:27], v[11:12], -v[7:8]
	v_div_fixup_f64 v[13:14], v[28:29], v[1:2], v[13:14]
	s_delay_alu instid0(VALU_DEP_4)
	v_div_fixup_f64 v[28:29], v[30:31], v[1:2], -v[7:8]
	v_mov_b32_e32 v7, s25
	ds_store_2addr_b64 v7, v[13:14], v[28:29] offset1:1
.LBB134_23:                             ;   in Loop: Header=BB134_9 Depth=1
	s_or_b32 exec_lo, exec_lo, s38
	s_and_saveexec_b32 s4, s37
	s_cbranch_execz .LBB134_25
; %bb.24:                               ;   in Loop: Header=BB134_9 Depth=1
	s_lshl_b64 s[6:7], s[8:9], 3
	s_delay_alu instid0(SALU_CYCLE_1)
	s_add_u32 s6, s20, s6
	s_addc_u32 s7, s21, s7
	s_or_b32 s39, s39, exec_lo
	s_waitcnt lgkmcnt(0)
	global_store_b64 v6, v[1:2], s[6:7]
	v_mov_b32_e32 v1, 0
	v_mov_b32_e32 v2, 0x3ff00000
.LBB134_25:                             ;   in Loop: Header=BB134_9 Depth=1
	s_or_b32 exec_lo, exec_lo, s4
	v_dual_mov_b32 v7, s14 :: v_dual_mov_b32 v8, s15
	v_dual_mov_b32 v12, s11 :: v_dual_mov_b32 v11, s10
	v_dual_mov_b32 v13, s14 :: v_dual_mov_b32 v14, s15
	s_and_saveexec_b32 s4, s39
	s_cbranch_execz .LBB134_27
; %bb.26:                               ;   in Loop: Header=BB134_9 Depth=1
	v_dual_mov_b32 v7, v6 :: v_dual_mov_b32 v8, s34
	v_dual_mov_b32 v11, s25 :: v_dual_mov_b32 v14, v10
	v_mov_b32_e32 v13, v9
	s_waitcnt lgkmcnt(0)
	ds_store_2addr_b64 v8, v[1:2], v[6:7] offset1:1
	ds_load_b64 v[7:8], v11 offset:8
	v_dual_mov_b32 v12, v4 :: v_dual_mov_b32 v11, v3
.LBB134_27:                             ;   in Loop: Header=BB134_9 Depth=1
	s_or_b32 exec_lo, exec_lo, s4
	v_mov_b32_e32 v9, s25
	s_lshl_b64 s[4:5], s[8:9], 4
	s_waitcnt lgkmcnt(0)
	v_xor_b32_e32 v8, 0x80000000, v8
	s_add_u32 s4, s22, s4
	s_addc_u32 s5, s23, s5
	ds_load_2addr_b64 v[1:4], v9 offset1:1
	s_waitcnt lgkmcnt(0)
	global_store_b128 v6, v[1:4], s[4:5]
	ds_store_b64 v9, v[13:14] offset:24
	ds_store_2addr_b64 v9, v[7:8], v[11:12] offset0:1 offset1:2
.LBB134_28:                             ;   in Loop: Header=BB134_9 Depth=1
	s_or_b32 exec_lo, exec_lo, s36
	s_waitcnt lgkmcnt(0)
	s_waitcnt_vscnt null, 0x0
	s_barrier
	buffer_gl0_inv
	s_and_saveexec_b32 s4, s3
	s_cbranch_execz .LBB134_31
; %bb.29:                               ;   in Loop: Header=BB134_9 Depth=1
	v_mov_b32_e32 v1, v0
	s_mov_b32 s3, 0
	s_mov_b32 s5, 0
	.p2align	6
.LBB134_30:                             ;   Parent Loop BB134_9 Depth=1
                                        ; =>  This Inner Loop Header: Depth=2
	s_delay_alu instid0(VALU_DEP_1)
	v_dual_mov_b32 v2, s25 :: v_dual_add_nc_u32 v1, 0x100, v1
	v_add_nc_u32_e32 v4, s5, v22
	s_addk_i32 s5, 0x1000
	ds_load_2addr_b64 v[7:10], v2 offset0:2 offset1:3
	ds_load_2addr_b64 v[11:14], v4 offset1:1
	v_cmp_le_i32_e32 vcc_lo, s35, v1
	s_or_b32 s3, vcc_lo, s3
	s_waitcnt lgkmcnt(0)
	v_mul_f64 v[2:3], v[9:10], v[13:14]
	v_mul_f64 v[13:14], v[7:8], v[13:14]
	s_delay_alu instid0(VALU_DEP_2) | instskip(NEXT) | instid1(VALU_DEP_2)
	v_fma_f64 v[2:3], v[7:8], v[11:12], -v[2:3]
	v_fma_f64 v[7:8], v[9:10], v[11:12], v[13:14]
	ds_store_2addr_b64 v4, v[2:3], v[7:8] offset1:1
	s_and_not1_b32 exec_lo, exec_lo, s3
	s_cbranch_execnz .LBB134_30
.LBB134_31:                             ;   in Loop: Header=BB134_9 Depth=1
	s_or_b32 exec_lo, exec_lo, s4
	s_not_b32 s3, s8
	s_mov_b32 s4, exec_lo
	s_add_i32 s3, s3, s13
	s_waitcnt lgkmcnt(0)
	s_barrier
	buffer_gl0_inv
	v_cmpx_gt_i32_e64 s3, v0
	s_cbranch_execz .LBB134_37
; %bb.32:                               ;   in Loop: Header=BB134_9 Depth=1
	v_dual_mov_b32 v7, v23 :: v_dual_mov_b32 v8, v0
	s_cmp_gt_i32 s33, 0
	s_mov_b32 s5, 0
	s_cselect_b32 s6, -1, 0
	s_branch .LBB134_34
.LBB134_33:                             ;   in Loop: Header=BB134_34 Depth=2
	v_mov_b32_e32 v9, s25
	v_add_nc_u32_e32 v7, s30, v7
	ds_load_2addr_b64 v[9:12], v9 offset1:1
	s_waitcnt lgkmcnt(0)
	v_mul_f64 v[13:14], v[1:2], v[11:12]
	v_mul_f64 v[11:12], v[3:4], v[11:12]
	s_delay_alu instid0(VALU_DEP_2) | instskip(NEXT) | instid1(VALU_DEP_2)
	v_fma_f64 v[3:4], v[3:4], v[9:10], -v[13:14]
	v_fma_f64 v[1:2], v[1:2], v[9:10], v[11:12]
	v_lshl_add_u32 v9, v8, 4, s24
	v_add_nc_u32_e32 v8, 0x100, v8
	s_delay_alu instid0(VALU_DEP_1)
	v_cmp_le_i32_e32 vcc_lo, s3, v8
	s_or_b32 s5, vcc_lo, s5
	ds_store_2addr_b64 v9, v[3:4], v[1:2] offset1:1
	s_and_not1_b32 exec_lo, exec_lo, s5
	s_cbranch_execz .LBB134_37
.LBB134_34:                             ;   Parent Loop BB134_9 Depth=1
                                        ; =>  This Loop Header: Depth=2
                                        ;       Child Loop BB134_36 Depth 3
	v_mov_b32_e32 v1, 0
	v_mov_b32_e32 v2, 0
	s_and_not1_b32 vcc_lo, exec_lo, s6
	s_delay_alu instid0(VALU_DEP_1)
	v_dual_mov_b32 v4, v2 :: v_dual_mov_b32 v3, v1
	s_cbranch_vccnz .LBB134_33
; %bb.35:                               ;   in Loop: Header=BB134_34 Depth=2
	v_mov_b32_e32 v1, 0
	v_dual_mov_b32 v2, 0 :: v_dual_mov_b32 v9, v7
	s_mov_b32 s7, 0
	s_mov_b32 s10, s31
	s_delay_alu instid0(VALU_DEP_1)
	v_dual_mov_b32 v4, v2 :: v_dual_mov_b32 v3, v1
	.p2align	6
.LBB134_36:                             ;   Parent Loop BB134_9 Depth=1
                                        ;     Parent Loop BB134_34 Depth=2
                                        ; =>    This Inner Loop Header: Depth=3
	v_mov_b32_e32 v14, s10
	s_add_i32 s7, s7, 1
	s_add_i32 s10, s10, 16
	s_cmp_ge_i32 s7, s33
	ds_load_2addr_b64 v[10:13], v9 offset1:1
	ds_load_2addr_b64 v[26:29], v14 offset1:1
	v_add_nc_u32_e32 v9, 16, v9
	s_waitcnt lgkmcnt(0)
	v_mul_f64 v[30:31], v[28:29], v[12:13]
	v_mul_f64 v[28:29], v[28:29], v[10:11]
	s_delay_alu instid0(VALU_DEP_2) | instskip(NEXT) | instid1(VALU_DEP_2)
	v_fma_f64 v[10:11], v[26:27], v[10:11], v[30:31]
	v_fma_f64 v[12:13], v[26:27], v[12:13], -v[28:29]
	s_delay_alu instid0(VALU_DEP_2) | instskip(NEXT) | instid1(VALU_DEP_2)
	v_add_f64 v[3:4], v[3:4], v[10:11]
	v_add_f64 v[1:2], v[1:2], v[12:13]
	s_cbranch_scc0 .LBB134_36
	s_branch .LBB134_33
.LBB134_37:                             ;   in Loop: Header=BB134_9 Depth=1
	s_or_b32 exec_lo, exec_lo, s4
	s_delay_alu instid0(SALU_CYCLE_1)
	s_mov_b32 s4, exec_lo
	s_waitcnt lgkmcnt(0)
	s_barrier
	buffer_gl0_inv
	v_cmpx_gt_i32_e64 s33, v0
	s_cbranch_execz .LBB134_8
; %bb.38:                               ;   in Loop: Header=BB134_9 Depth=1
	v_mov_b32_e32 v1, v24
	v_mov_b32_e32 v2, v0
	s_cmp_gt_i32 s3, 0
	s_mov_b32 s5, 0
	s_cselect_b32 s6, -1, 0
	s_set_inst_prefetch_distance 0x1
	s_branch .LBB134_40
	.p2align	6
.LBB134_39:                             ;   in Loop: Header=BB134_40 Depth=2
	v_add_nc_u32_e32 v2, 0x100, v2
	v_add_nc_u32_e32 v1, 0x1000, v1
	s_delay_alu instid0(VALU_DEP_2) | instskip(SKIP_1) | instid1(SALU_CYCLE_1)
	v_cmp_le_i32_e32 vcc_lo, s33, v2
	s_or_b32 s5, vcc_lo, s5
	s_and_not1_b32 exec_lo, exec_lo, s5
	s_cbranch_execz .LBB134_8
.LBB134_40:                             ;   Parent Loop BB134_9 Depth=1
                                        ; =>  This Loop Header: Depth=2
                                        ;       Child Loop BB134_42 Depth 3
	s_and_not1_b32 vcc_lo, exec_lo, s6
	s_cbranch_vccnz .LBB134_39
; %bb.41:                               ;   in Loop: Header=BB134_40 Depth=2
	v_lshl_add_u32 v3, v2, 4, s34
	v_mov_b32_e32 v4, v1
	s_mov_b32 s7, 0
	s_mov_b32 s10, s24
	.p2align	6
.LBB134_42:                             ;   Parent Loop BB134_9 Depth=1
                                        ;     Parent Loop BB134_40 Depth=2
                                        ; =>    This Inner Loop Header: Depth=3
	s_delay_alu instid0(SALU_CYCLE_1)
	v_mov_b32_e32 v11, s10
	s_add_i32 s7, s7, 1
	s_add_i32 s10, s10, 16
	s_cmp_ge_i32 s7, s3
	ds_load_2addr_b64 v[7:10], v3 offset1:1
	ds_load_2addr_b64 v[11:14], v11 offset1:1
	s_waitcnt lgkmcnt(0)
	v_mul_f64 v[26:27], v[13:14], v[9:10]
	v_mul_f64 v[9:10], v[11:12], v[9:10]
	s_delay_alu instid0(VALU_DEP_2) | instskip(NEXT) | instid1(VALU_DEP_2)
	v_fma_f64 v[11:12], v[11:12], v[7:8], -v[26:27]
	v_fma_f64 v[13:14], v[13:14], v[7:8], v[9:10]
	ds_load_2addr_b64 v[7:10], v4 offset1:1
	s_waitcnt lgkmcnt(0)
	v_add_f64 v[7:8], v[7:8], -v[11:12]
	v_add_f64 v[9:10], v[9:10], -v[13:14]
	ds_store_2addr_b64 v4, v[7:8], v[9:10] offset1:1
	v_add_nc_u32_e32 v4, s28, v4
	s_cbranch_scc0 .LBB134_42
	s_branch .LBB134_39
.LBB134_43:
	s_and_saveexec_b32 s1, s0
	s_cbranch_execz .LBB134_49
; %bb.44:
	v_mul_lo_u32 v0, s12, v15
	v_cmp_gt_i32_e32 vcc_lo, s13, v15
	s_lshl_b32 s2, s18, 1
	s_mov_b32 s3, 0
	s_lshl_b32 s4, s12, 5
	s_delay_alu instid0(VALU_DEP_2) | instskip(SKIP_1) | instid1(VALU_DEP_2)
	v_lshlrev_b32_e32 v2, 4, v0
	v_mad_u64_u32 v[0:1], null, s18, v15, v[5:6]
	v_add3_u32 v3, v2, v16, 0
	s_set_inst_prefetch_distance 0x1
	s_branch .LBB134_46
	.p2align	6
.LBB134_45:                             ;   in Loop: Header=BB134_46 Depth=1
	s_or_b32 exec_lo, exec_lo, s5
	v_add_nc_u32_e32 v5, 0x80, v5
	v_add_nc_u32_e32 v0, 0x80, v0
	;; [unrolled: 1-line block ×3, first 2 shown]
	s_delay_alu instid0(VALU_DEP_3) | instskip(NEXT) | instid1(VALU_DEP_1)
	v_cmp_le_i32_e64 s0, s12, v5
	s_or_b32 s3, s0, s3
	s_delay_alu instid0(SALU_CYCLE_1)
	s_and_not1_b32 exec_lo, exec_lo, s3
	s_cbranch_execz .LBB134_49
.LBB134_46:                             ; =>This Loop Header: Depth=1
                                        ;     Child Loop BB134_48 Depth 2
	s_and_saveexec_b32 s5, vcc_lo
	s_cbranch_execz .LBB134_45
; %bb.47:                               ;   in Loop: Header=BB134_46 Depth=1
	s_delay_alu instid0(VALU_DEP_2)
	v_dual_mov_b32 v4, v3 :: v_dual_mov_b32 v1, v0
	v_mov_b32_e32 v6, v15
	s_mov_b32 s6, 0
	.p2align	6
.LBB134_48:                             ;   Parent Loop BB134_46 Depth=1
                                        ; =>  This Inner Loop Header: Depth=2
	ds_load_2addr_b64 v[7:10], v4 offset1:1
	v_ashrrev_i32_e32 v2, 31, v1
	v_add_nc_u32_e32 v6, 2, v6
	v_add_nc_u32_e32 v4, s4, v4
	s_delay_alu instid0(VALU_DEP_3) | instskip(NEXT) | instid1(VALU_DEP_3)
	v_lshlrev_b64 v[11:12], 4, v[1:2]
	v_cmp_le_i32_e64 s0, s13, v6
	v_add_nc_u32_e32 v1, s2, v1
	s_delay_alu instid0(VALU_DEP_2) | instskip(NEXT) | instid1(VALU_DEP_3)
	s_or_b32 s6, s0, s6
	v_add_co_u32 v11, s1, s16, v11
	s_delay_alu instid0(VALU_DEP_1)
	v_add_co_ci_u32_e64 v12, s1, s17, v12, s1
	s_waitcnt lgkmcnt(0)
	global_store_b128 v[11:12], v[7:10], off
	s_and_not1_b32 exec_lo, exec_lo, s6
	s_cbranch_execnz .LBB134_48
	s_branch .LBB134_45
.LBB134_49:
	s_set_inst_prefetch_distance 0x2
	s_nop 0
	s_sendmsg sendmsg(MSG_DEALLOC_VGPRS)
	s_endpgm
	.section	.rodata,"a",@progbits
	.p2align	6, 0x0
	.amdhsa_kernel _ZN9rocsolver6v33100L18geqr2_kernel_smallILi256E19rocblas_complex_numIdEidPS3_EEvT1_S5_T3_lS5_lPT2_lPT0_l
		.amdhsa_group_segment_fixed_size 0
		.amdhsa_private_segment_fixed_size 0
		.amdhsa_kernarg_size 72
		.amdhsa_user_sgpr_count 14
		.amdhsa_user_sgpr_dispatch_ptr 0
		.amdhsa_user_sgpr_queue_ptr 0
		.amdhsa_user_sgpr_kernarg_segment_ptr 1
		.amdhsa_user_sgpr_dispatch_id 0
		.amdhsa_user_sgpr_private_segment_size 0
		.amdhsa_wavefront_size32 1
		.amdhsa_uses_dynamic_stack 0
		.amdhsa_enable_private_segment 0
		.amdhsa_system_sgpr_workgroup_id_x 1
		.amdhsa_system_sgpr_workgroup_id_y 0
		.amdhsa_system_sgpr_workgroup_id_z 1
		.amdhsa_system_sgpr_workgroup_info 0
		.amdhsa_system_vgpr_workitem_id 0
		.amdhsa_next_free_vgpr 56
		.amdhsa_next_free_sgpr 40
		.amdhsa_reserve_vcc 1
		.amdhsa_float_round_mode_32 0
		.amdhsa_float_round_mode_16_64 0
		.amdhsa_float_denorm_mode_32 3
		.amdhsa_float_denorm_mode_16_64 3
		.amdhsa_dx10_clamp 1
		.amdhsa_ieee_mode 1
		.amdhsa_fp16_overflow 0
		.amdhsa_workgroup_processor_mode 1
		.amdhsa_memory_ordered 1
		.amdhsa_forward_progress 0
		.amdhsa_shared_vgpr_count 0
		.amdhsa_exception_fp_ieee_invalid_op 0
		.amdhsa_exception_fp_denorm_src 0
		.amdhsa_exception_fp_ieee_div_zero 0
		.amdhsa_exception_fp_ieee_overflow 0
		.amdhsa_exception_fp_ieee_underflow 0
		.amdhsa_exception_fp_ieee_inexact 0
		.amdhsa_exception_int_div_zero 0
	.end_amdhsa_kernel
	.section	.text._ZN9rocsolver6v33100L18geqr2_kernel_smallILi256E19rocblas_complex_numIdEidPS3_EEvT1_S5_T3_lS5_lPT2_lPT0_l,"axG",@progbits,_ZN9rocsolver6v33100L18geqr2_kernel_smallILi256E19rocblas_complex_numIdEidPS3_EEvT1_S5_T3_lS5_lPT2_lPT0_l,comdat
.Lfunc_end134:
	.size	_ZN9rocsolver6v33100L18geqr2_kernel_smallILi256E19rocblas_complex_numIdEidPS3_EEvT1_S5_T3_lS5_lPT2_lPT0_l, .Lfunc_end134-_ZN9rocsolver6v33100L18geqr2_kernel_smallILi256E19rocblas_complex_numIdEidPS3_EEvT1_S5_T3_lS5_lPT2_lPT0_l
                                        ; -- End function
	.section	.AMDGPU.csdata,"",@progbits
; Kernel info:
; codeLenInByte = 3528
; NumSgprs: 42
; NumVgprs: 56
; ScratchSize: 0
; MemoryBound: 0
; FloatMode: 240
; IeeeMode: 1
; LDSByteSize: 0 bytes/workgroup (compile time only)
; SGPRBlocks: 5
; VGPRBlocks: 6
; NumSGPRsForWavesPerEU: 42
; NumVGPRsForWavesPerEU: 56
; Occupancy: 16
; WaveLimiterHint : 0
; COMPUTE_PGM_RSRC2:SCRATCH_EN: 0
; COMPUTE_PGM_RSRC2:USER_SGPR: 14
; COMPUTE_PGM_RSRC2:TRAP_HANDLER: 0
; COMPUTE_PGM_RSRC2:TGID_X_EN: 1
; COMPUTE_PGM_RSRC2:TGID_Y_EN: 0
; COMPUTE_PGM_RSRC2:TGID_Z_EN: 1
; COMPUTE_PGM_RSRC2:TIDIG_COMP_CNT: 0
	.section	.text._ZN9rocsolver6v33100L16reset_batch_infoI19rocblas_complex_numIdEiiPS3_EEvT2_lT0_T1_,"axG",@progbits,_ZN9rocsolver6v33100L16reset_batch_infoI19rocblas_complex_numIdEiiPS3_EEvT2_lT0_T1_,comdat
	.globl	_ZN9rocsolver6v33100L16reset_batch_infoI19rocblas_complex_numIdEiiPS3_EEvT2_lT0_T1_ ; -- Begin function _ZN9rocsolver6v33100L16reset_batch_infoI19rocblas_complex_numIdEiiPS3_EEvT2_lT0_T1_
	.p2align	8
	.type	_ZN9rocsolver6v33100L16reset_batch_infoI19rocblas_complex_numIdEiiPS3_EEvT2_lT0_T1_,@function
_ZN9rocsolver6v33100L16reset_batch_infoI19rocblas_complex_numIdEiiPS3_EEvT2_lT0_T1_: ; @_ZN9rocsolver6v33100L16reset_batch_infoI19rocblas_complex_numIdEiiPS3_EEvT2_lT0_T1_
; %bb.0:
	s_clause 0x1
	s_load_b32 s4, s[0:1], 0x24
	s_load_b64 s[2:3], s[0:1], 0x10
	s_waitcnt lgkmcnt(0)
	s_and_b32 s4, s4, 0xffff
	s_delay_alu instid0(SALU_CYCLE_1) | instskip(NEXT) | instid1(VALU_DEP_1)
	v_mad_u64_u32 v[1:2], null, s14, s4, v[0:1]
	v_cmp_gt_i32_e32 vcc_lo, s2, v1
	s_and_saveexec_b32 s2, vcc_lo
	s_cbranch_execz .LBB135_2
; %bb.1:
	v_cvt_f64_i32_e32 v[3:4], s3
	s_load_b128 s[4:7], s[0:1], 0x0
	v_ashrrev_i32_e32 v2, 31, v1
	s_ashr_i32 s0, s15, 31
	v_mov_b32_e32 v5, 0
	s_delay_alu instid0(VALU_DEP_2) | instskip(NEXT) | instid1(VALU_DEP_2)
	v_lshlrev_b64 v[0:1], 4, v[1:2]
	v_mov_b32_e32 v6, v5
	s_waitcnt lgkmcnt(0)
	s_mul_i32 s1, s15, s7
	s_mul_hi_u32 s2, s15, s6
	s_mul_i32 s3, s0, s6
	s_add_i32 s1, s2, s1
	s_mul_i32 s0, s15, s6
	s_add_i32 s1, s1, s3
	s_delay_alu instid0(SALU_CYCLE_1) | instskip(NEXT) | instid1(SALU_CYCLE_1)
	s_lshl_b64 s[0:1], s[0:1], 4
	s_add_u32 s0, s4, s0
	s_addc_u32 s1, s5, s1
	v_add_co_u32 v0, vcc_lo, s0, v0
	v_add_co_ci_u32_e32 v1, vcc_lo, s1, v1, vcc_lo
	global_store_b128 v[0:1], v[3:6], off
.LBB135_2:
	s_nop 0
	s_sendmsg sendmsg(MSG_DEALLOC_VGPRS)
	s_endpgm
	.section	.rodata,"a",@progbits
	.p2align	6, 0x0
	.amdhsa_kernel _ZN9rocsolver6v33100L16reset_batch_infoI19rocblas_complex_numIdEiiPS3_EEvT2_lT0_T1_
		.amdhsa_group_segment_fixed_size 0
		.amdhsa_private_segment_fixed_size 0
		.amdhsa_kernarg_size 280
		.amdhsa_user_sgpr_count 14
		.amdhsa_user_sgpr_dispatch_ptr 0
		.amdhsa_user_sgpr_queue_ptr 0
		.amdhsa_user_sgpr_kernarg_segment_ptr 1
		.amdhsa_user_sgpr_dispatch_id 0
		.amdhsa_user_sgpr_private_segment_size 0
		.amdhsa_wavefront_size32 1
		.amdhsa_uses_dynamic_stack 0
		.amdhsa_enable_private_segment 0
		.amdhsa_system_sgpr_workgroup_id_x 1
		.amdhsa_system_sgpr_workgroup_id_y 1
		.amdhsa_system_sgpr_workgroup_id_z 0
		.amdhsa_system_sgpr_workgroup_info 0
		.amdhsa_system_vgpr_workitem_id 0
		.amdhsa_next_free_vgpr 7
		.amdhsa_next_free_sgpr 16
		.amdhsa_reserve_vcc 1
		.amdhsa_float_round_mode_32 0
		.amdhsa_float_round_mode_16_64 0
		.amdhsa_float_denorm_mode_32 3
		.amdhsa_float_denorm_mode_16_64 3
		.amdhsa_dx10_clamp 1
		.amdhsa_ieee_mode 1
		.amdhsa_fp16_overflow 0
		.amdhsa_workgroup_processor_mode 1
		.amdhsa_memory_ordered 1
		.amdhsa_forward_progress 0
		.amdhsa_shared_vgpr_count 0
		.amdhsa_exception_fp_ieee_invalid_op 0
		.amdhsa_exception_fp_denorm_src 0
		.amdhsa_exception_fp_ieee_div_zero 0
		.amdhsa_exception_fp_ieee_overflow 0
		.amdhsa_exception_fp_ieee_underflow 0
		.amdhsa_exception_fp_ieee_inexact 0
		.amdhsa_exception_int_div_zero 0
	.end_amdhsa_kernel
	.section	.text._ZN9rocsolver6v33100L16reset_batch_infoI19rocblas_complex_numIdEiiPS3_EEvT2_lT0_T1_,"axG",@progbits,_ZN9rocsolver6v33100L16reset_batch_infoI19rocblas_complex_numIdEiiPS3_EEvT2_lT0_T1_,comdat
.Lfunc_end135:
	.size	_ZN9rocsolver6v33100L16reset_batch_infoI19rocblas_complex_numIdEiiPS3_EEvT2_lT0_T1_, .Lfunc_end135-_ZN9rocsolver6v33100L16reset_batch_infoI19rocblas_complex_numIdEiiPS3_EEvT2_lT0_T1_
                                        ; -- End function
	.section	.AMDGPU.csdata,"",@progbits
; Kernel info:
; codeLenInByte = 172
; NumSgprs: 18
; NumVgprs: 7
; ScratchSize: 0
; MemoryBound: 0
; FloatMode: 240
; IeeeMode: 1
; LDSByteSize: 0 bytes/workgroup (compile time only)
; SGPRBlocks: 2
; VGPRBlocks: 0
; NumSGPRsForWavesPerEU: 18
; NumVGPRsForWavesPerEU: 7
; Occupancy: 16
; WaveLimiterHint : 0
; COMPUTE_PGM_RSRC2:SCRATCH_EN: 0
; COMPUTE_PGM_RSRC2:USER_SGPR: 14
; COMPUTE_PGM_RSRC2:TRAP_HANDLER: 0
; COMPUTE_PGM_RSRC2:TGID_X_EN: 1
; COMPUTE_PGM_RSRC2:TGID_Y_EN: 1
; COMPUTE_PGM_RSRC2:TGID_Z_EN: 0
; COMPUTE_PGM_RSRC2:TIDIG_COMP_CNT: 0
	.section	.text._ZN9rocsolver6v33100L8set_diagI19rocblas_complex_numIdEidPS3_TnNSt9enable_ifIXaa18rocblas_is_complexIT_Ent18rocblas_is_complexIT1_EEiE4typeELi0EEEvPS7_llT2_lT0_lSC_b,"axG",@progbits,_ZN9rocsolver6v33100L8set_diagI19rocblas_complex_numIdEidPS3_TnNSt9enable_ifIXaa18rocblas_is_complexIT_Ent18rocblas_is_complexIT1_EEiE4typeELi0EEEvPS7_llT2_lT0_lSC_b,comdat
	.globl	_ZN9rocsolver6v33100L8set_diagI19rocblas_complex_numIdEidPS3_TnNSt9enable_ifIXaa18rocblas_is_complexIT_Ent18rocblas_is_complexIT1_EEiE4typeELi0EEEvPS7_llT2_lT0_lSC_b ; -- Begin function _ZN9rocsolver6v33100L8set_diagI19rocblas_complex_numIdEidPS3_TnNSt9enable_ifIXaa18rocblas_is_complexIT_Ent18rocblas_is_complexIT1_EEiE4typeELi0EEEvPS7_llT2_lT0_lSC_b
	.p2align	8
	.type	_ZN9rocsolver6v33100L8set_diagI19rocblas_complex_numIdEidPS3_TnNSt9enable_ifIXaa18rocblas_is_complexIT_Ent18rocblas_is_complexIT1_EEiE4typeELi0EEEvPS7_llT2_lT0_lSC_b,@function
_ZN9rocsolver6v33100L8set_diagI19rocblas_complex_numIdEidPS3_TnNSt9enable_ifIXaa18rocblas_is_complexIT_Ent18rocblas_is_complexIT1_EEiE4typeELi0EEEvPS7_llT2_lT0_lSC_b: ; @_ZN9rocsolver6v33100L8set_diagI19rocblas_complex_numIdEidPS3_TnNSt9enable_ifIXaa18rocblas_is_complexIT_Ent18rocblas_is_complexIT1_EEiE4typeELi0EEEvPS7_llT2_lT0_lSC_b
; %bb.0:
	s_clause 0x1
	s_load_b32 s4, s[0:1], 0x4c
	s_load_b64 s[2:3], s[0:1], 0x38
	v_bfe_u32 v0, v0, 10, 10
	s_waitcnt lgkmcnt(0)
	s_lshr_b32 s4, s4, 16
	s_delay_alu instid0(VALU_DEP_1) | instid1(SALU_CYCLE_1)
	v_mad_u64_u32 v[2:3], null, s15, s4, v[0:1]
	s_delay_alu instid0(VALU_DEP_1)
	v_cmp_gt_i32_e32 vcc_lo, s2, v2
	s_and_saveexec_b32 s2, vcc_lo
	s_cbranch_execz .LBB136_5
; %bb.1:
	s_clause 0x3
	s_load_b32 s2, s[0:1], 0x28
	s_load_b64 s[12:13], s[0:1], 0x30
	s_load_b256 s[4:11], s[0:1], 0x0
	s_load_b64 s[0:1], s[0:1], 0x20
	s_bitcmp1_b32 s3, 0
	s_cselect_b32 s15, -1, 0
	s_ashr_i32 s16, s14, 31
	s_waitcnt lgkmcnt(0)
	v_mad_u64_u32 v[0:1], null, v2, s2, v[2:3]
	s_mul_i32 s2, s14, s13
	s_mul_hi_u32 s3, s14, s12
	s_mul_i32 s13, s16, s12
	s_add_i32 s3, s3, s2
	s_mul_i32 s2, s14, s12
	s_add_i32 s3, s3, s13
	s_delay_alu instid0(VALU_DEP_1)
	v_ashrrev_i32_e32 v1, 31, v0
	s_lshl_b64 s[2:3], s[2:3], 4
	s_mul_i32 s16, s16, s8
	s_add_u32 s2, s10, s2
	s_addc_u32 s3, s11, s3
	v_lshlrev_b64 v[0:1], 4, v[0:1]
	s_lshl_b64 s[0:1], s[0:1], 4
	v_ashrrev_i32_e32 v3, 31, v2
	s_add_u32 s0, s2, s0
	s_addc_u32 s1, s3, s1
	s_delay_alu instid0(VALU_DEP_2)
	v_add_co_u32 v4, vcc_lo, s0, v0
	v_add_co_ci_u32_e32 v5, vcc_lo, s1, v1, vcc_lo
	s_mul_i32 s0, s14, s9
	s_mul_hi_u32 s1, s14, s8
	v_lshlrev_b64 v[2:3], 3, v[2:3]
	global_load_b64 v[0:1], v[4:5], off
	s_add_i32 s1, s1, s0
	s_mul_i32 s0, s14, s8
	s_add_i32 s1, s1, s16
	s_delay_alu instid0(SALU_CYCLE_1) | instskip(NEXT) | instid1(SALU_CYCLE_1)
	s_lshl_b64 s[0:1], s[0:1], 3
	s_add_u32 s2, s4, s0
	s_addc_u32 s3, s5, s1
	s_lshl_b64 s[0:1], s[6:7], 3
	s_delay_alu instid0(SALU_CYCLE_1)
	s_add_u32 s0, s2, s0
	s_addc_u32 s1, s3, s1
	v_add_co_u32 v2, vcc_lo, s0, v2
	v_add_co_ci_u32_e32 v3, vcc_lo, s1, v3, vcc_lo
	s_and_b32 vcc_lo, exec_lo, s15
	s_waitcnt vmcnt(0)
	global_store_b64 v[2:3], v[0:1], off
	s_cbranch_vccnz .LBB136_3
; %bb.2:
	global_load_b64 v[2:3], v[4:5], off offset:8
	s_branch .LBB136_4
.LBB136_3:
	v_mov_b32_e32 v2, 0
	v_dual_mov_b32 v3, 0 :: v_dual_mov_b32 v0, 0
	v_mov_b32_e32 v1, 0x3ff00000
.LBB136_4:
	s_waitcnt vmcnt(0)
	global_store_b128 v[4:5], v[0:3], off
.LBB136_5:
	s_nop 0
	s_sendmsg sendmsg(MSG_DEALLOC_VGPRS)
	s_endpgm
	.section	.rodata,"a",@progbits
	.p2align	6, 0x0
	.amdhsa_kernel _ZN9rocsolver6v33100L8set_diagI19rocblas_complex_numIdEidPS3_TnNSt9enable_ifIXaa18rocblas_is_complexIT_Ent18rocblas_is_complexIT1_EEiE4typeELi0EEEvPS7_llT2_lT0_lSC_b
		.amdhsa_group_segment_fixed_size 0
		.amdhsa_private_segment_fixed_size 0
		.amdhsa_kernarg_size 320
		.amdhsa_user_sgpr_count 14
		.amdhsa_user_sgpr_dispatch_ptr 0
		.amdhsa_user_sgpr_queue_ptr 0
		.amdhsa_user_sgpr_kernarg_segment_ptr 1
		.amdhsa_user_sgpr_dispatch_id 0
		.amdhsa_user_sgpr_private_segment_size 0
		.amdhsa_wavefront_size32 1
		.amdhsa_uses_dynamic_stack 0
		.amdhsa_enable_private_segment 0
		.amdhsa_system_sgpr_workgroup_id_x 1
		.amdhsa_system_sgpr_workgroup_id_y 1
		.amdhsa_system_sgpr_workgroup_id_z 0
		.amdhsa_system_sgpr_workgroup_info 0
		.amdhsa_system_vgpr_workitem_id 1
		.amdhsa_next_free_vgpr 6
		.amdhsa_next_free_sgpr 17
		.amdhsa_reserve_vcc 1
		.amdhsa_float_round_mode_32 0
		.amdhsa_float_round_mode_16_64 0
		.amdhsa_float_denorm_mode_32 3
		.amdhsa_float_denorm_mode_16_64 3
		.amdhsa_dx10_clamp 1
		.amdhsa_ieee_mode 1
		.amdhsa_fp16_overflow 0
		.amdhsa_workgroup_processor_mode 1
		.amdhsa_memory_ordered 1
		.amdhsa_forward_progress 0
		.amdhsa_shared_vgpr_count 0
		.amdhsa_exception_fp_ieee_invalid_op 0
		.amdhsa_exception_fp_denorm_src 0
		.amdhsa_exception_fp_ieee_div_zero 0
		.amdhsa_exception_fp_ieee_overflow 0
		.amdhsa_exception_fp_ieee_underflow 0
		.amdhsa_exception_fp_ieee_inexact 0
		.amdhsa_exception_int_div_zero 0
	.end_amdhsa_kernel
	.section	.text._ZN9rocsolver6v33100L8set_diagI19rocblas_complex_numIdEidPS3_TnNSt9enable_ifIXaa18rocblas_is_complexIT_Ent18rocblas_is_complexIT1_EEiE4typeELi0EEEvPS7_llT2_lT0_lSC_b,"axG",@progbits,_ZN9rocsolver6v33100L8set_diagI19rocblas_complex_numIdEidPS3_TnNSt9enable_ifIXaa18rocblas_is_complexIT_Ent18rocblas_is_complexIT1_EEiE4typeELi0EEEvPS7_llT2_lT0_lSC_b,comdat
.Lfunc_end136:
	.size	_ZN9rocsolver6v33100L8set_diagI19rocblas_complex_numIdEidPS3_TnNSt9enable_ifIXaa18rocblas_is_complexIT_Ent18rocblas_is_complexIT1_EEiE4typeELi0EEEvPS7_llT2_lT0_lSC_b, .Lfunc_end136-_ZN9rocsolver6v33100L8set_diagI19rocblas_complex_numIdEidPS3_TnNSt9enable_ifIXaa18rocblas_is_complexIT_Ent18rocblas_is_complexIT1_EEiE4typeELi0EEEvPS7_llT2_lT0_lSC_b
                                        ; -- End function
	.section	.AMDGPU.csdata,"",@progbits
; Kernel info:
; codeLenInByte = 368
; NumSgprs: 19
; NumVgprs: 6
; ScratchSize: 0
; MemoryBound: 0
; FloatMode: 240
; IeeeMode: 1
; LDSByteSize: 0 bytes/workgroup (compile time only)
; SGPRBlocks: 2
; VGPRBlocks: 0
; NumSGPRsForWavesPerEU: 19
; NumVGPRsForWavesPerEU: 6
; Occupancy: 16
; WaveLimiterHint : 0
; COMPUTE_PGM_RSRC2:SCRATCH_EN: 0
; COMPUTE_PGM_RSRC2:USER_SGPR: 14
; COMPUTE_PGM_RSRC2:TRAP_HANDLER: 0
; COMPUTE_PGM_RSRC2:TGID_X_EN: 1
; COMPUTE_PGM_RSRC2:TGID_Y_EN: 1
; COMPUTE_PGM_RSRC2:TGID_Z_EN: 0
; COMPUTE_PGM_RSRC2:TIDIG_COMP_CNT: 1
	.section	.text._ZN9rocsolver6v33100L11set_taubetaI19rocblas_complex_numIdEidPS3_EEvPT_lS6_T2_llPT1_ll,"axG",@progbits,_ZN9rocsolver6v33100L11set_taubetaI19rocblas_complex_numIdEidPS3_EEvPT_lS6_T2_llPT1_ll,comdat
	.globl	_ZN9rocsolver6v33100L11set_taubetaI19rocblas_complex_numIdEidPS3_EEvPT_lS6_T2_llPT1_ll ; -- Begin function _ZN9rocsolver6v33100L11set_taubetaI19rocblas_complex_numIdEidPS3_EEvPT_lS6_T2_llPT1_ll
	.p2align	8
	.type	_ZN9rocsolver6v33100L11set_taubetaI19rocblas_complex_numIdEidPS3_EEvPT_lS6_T2_llPT1_ll,@function
_ZN9rocsolver6v33100L11set_taubetaI19rocblas_complex_numIdEidPS3_EEvPT_lS6_T2_llPT1_ll: ; @_ZN9rocsolver6v33100L11set_taubetaI19rocblas_complex_numIdEidPS3_EEvPT_lS6_T2_llPT1_ll
; %bb.0:
	s_mov_b32 s2, s15
	s_load_b512 s[4:19], s[0:1], 0x0
	s_ashr_i32 s3, s2, 31
	s_mov_b64 s[20:21], 0
	s_waitcnt lgkmcnt(0)
	s_cmp_eq_u64 s[16:17], 0
	s_cbranch_scc1 .LBB137_2
; %bb.1:
	s_load_b64 s[0:1], s[0:1], 0x40
	s_waitcnt lgkmcnt(0)
	s_mul_i32 s1, s2, s1
	s_mul_hi_u32 s20, s2, s0
	s_mul_i32 s21, s3, s0
	s_add_i32 s1, s20, s1
	s_mul_i32 s0, s2, s0
	s_add_i32 s1, s1, s21
	s_delay_alu instid0(SALU_CYCLE_1) | instskip(NEXT) | instid1(SALU_CYCLE_1)
	s_lshl_b64 s[0:1], s[0:1], 3
	s_add_u32 s16, s16, s0
	s_addc_u32 s17, s17, s1
	s_lshl_b64 s[0:1], s[18:19], 3
	s_delay_alu instid0(SALU_CYCLE_1)
	s_add_u32 s20, s16, s0
	s_addc_u32 s21, s17, s1
.LBB137_2:
	s_mul_i32 s0, s2, s15
	s_mul_hi_u32 s1, s2, s14
	s_mul_i32 s15, s3, s14
	s_add_i32 s1, s1, s0
	s_mul_i32 s0, s2, s14
	s_add_i32 s1, s1, s15
	s_mul_i32 s7, s2, s7
	s_lshl_b64 s[0:1], s[0:1], 4
	s_delay_alu instid0(SALU_CYCLE_1) | instskip(SKIP_2) | instid1(SALU_CYCLE_1)
	s_add_u32 s10, s10, s0
	s_addc_u32 s11, s11, s1
	s_lshl_b64 s[0:1], s[12:13], 4
	s_add_u32 s10, s10, s0
	s_mul_hi_u32 s0, s2, s6
	s_addc_u32 s11, s11, s1
	s_add_i32 s0, s0, s7
	s_mul_i32 s1, s3, s6
	s_delay_alu instid0(SALU_CYCLE_1) | instskip(SKIP_1) | instid1(SALU_CYCLE_1)
	s_add_i32 s1, s0, s1
	s_mul_i32 s0, s2, s6
	s_lshl_b64 s[0:1], s[0:1], 4
	s_delay_alu instid0(SALU_CYCLE_1)
	s_add_u32 s4, s4, s0
	s_addc_u32 s5, s5, s1
	s_lshl_b64 s[0:1], s[2:3], 4
	s_mov_b32 s2, 0
	s_add_u32 s6, s8, s0
	s_addc_u32 s7, s9, s1
	s_load_b64 s[8:9], s[10:11], 0x8
	s_load_b64 s[0:1], s[6:7], 0x0
	s_cmp_eq_u64 s[20:21], 0
	s_cselect_b32 s3, -1, 0
	s_cmp_lg_u64 s[20:21], 0
	s_cselect_b32 s12, -1, 0
	s_waitcnt lgkmcnt(0)
	v_mul_f64 v[4:5], s[8:9], s[8:9]
	v_max_f64 v[0:1], s[0:1], s[0:1]
	s_delay_alu instid0(VALU_DEP_1) | instskip(NEXT) | instid1(VALU_DEP_1)
	v_max_f64 v[0:1], v[0:1], v[4:5]
	v_cmp_nlt_f64_e32 vcc_lo, 0, v[0:1]
	s_cbranch_vccz .LBB137_5
; %bb.3:
	v_dual_mov_b32 v0, 0 :: v_dual_mov_b32 v1, 0x3ff00000
	s_mov_b32 s14, 0
	s_and_b32 vcc_lo, exec_lo, s12
	s_delay_alu instid0(VALU_DEP_1)
	v_mov_b32_e32 v2, v0
	v_mov_b32_e32 v3, v0
	global_store_b128 v0, v[0:3], s[6:7]
	v_mov_b32_e32 v1, v0
	global_store_b128 v0, v[0:3], s[4:5]
	s_cbranch_vccz .LBB137_6
; %bb.4:
	global_load_b64 v[0:1], v0, s[10:11]
	s_mov_b32 s13, -1
	s_and_b32 vcc_lo, exec_lo, s14
	s_cbranch_vccnz .LBB137_7
	s_branch .LBB137_8
.LBB137_5:
	s_mov_b32 s14, -1
.LBB137_6:
	s_mov_b32 s13, 0
                                        ; implicit-def: $vgpr0_vgpr1
	s_and_b32 vcc_lo, exec_lo, s14
	s_cbranch_vccz .LBB137_8
.LBB137_7:
	s_load_b64 s[14:15], s[10:11], 0x0
	s_mov_b32 s13, s12
	s_waitcnt vmcnt(0) lgkmcnt(0)
	v_fma_f64 v[0:1], s[14:15], s[14:15], v[4:5]
	s_delay_alu instid0(VALU_DEP_1) | instskip(NEXT) | instid1(VALU_DEP_1)
	v_add_f64 v[0:1], s[0:1], v[0:1]
	v_cmp_gt_f64_e32 vcc_lo, 0x10000000, v[0:1]
	v_cndmask_b32_e64 v2, 0, 1, vcc_lo
	s_and_b32 s0, vcc_lo, exec_lo
	s_cselect_b32 s0, 0xffffff80, 0
	s_delay_alu instid0(VALU_DEP_1) | instskip(NEXT) | instid1(VALU_DEP_1)
	v_lshlrev_b32_e32 v2, 8, v2
	v_ldexp_f64 v[0:1], v[0:1], v2
	s_delay_alu instid0(VALU_DEP_1) | instskip(SKIP_4) | instid1(VALU_DEP_1)
	v_rsq_f64_e32 v[2:3], v[0:1]
	v_cmp_class_f64_e64 vcc_lo, v[0:1], 0x260
	s_waitcnt_depctr 0xfff
	v_mul_f64 v[6:7], v[0:1], v[2:3]
	v_mul_f64 v[2:3], v[2:3], 0.5
	v_fma_f64 v[8:9], -v[2:3], v[6:7], 0.5
	s_delay_alu instid0(VALU_DEP_1) | instskip(SKIP_1) | instid1(VALU_DEP_2)
	v_fma_f64 v[6:7], v[6:7], v[8:9], v[6:7]
	v_fma_f64 v[2:3], v[2:3], v[8:9], v[2:3]
	v_fma_f64 v[8:9], -v[6:7], v[6:7], v[0:1]
	s_delay_alu instid0(VALU_DEP_1) | instskip(NEXT) | instid1(VALU_DEP_1)
	v_fma_f64 v[6:7], v[8:9], v[2:3], v[6:7]
	v_fma_f64 v[8:9], -v[6:7], v[6:7], v[0:1]
	s_delay_alu instid0(VALU_DEP_1) | instskip(NEXT) | instid1(VALU_DEP_1)
	v_fma_f64 v[2:3], v[8:9], v[2:3], v[6:7]
	v_ldexp_f64 v[2:3], v[2:3], s0
	s_delay_alu instid0(VALU_DEP_1) | instskip(SKIP_1) | instid1(VALU_DEP_2)
	v_dual_cndmask_b32 v1, v3, v1 :: v_dual_cndmask_b32 v0, v2, v0
	v_cmp_ge_f64_e64 vcc_lo, s[14:15], 0
	v_xor_b32_e32 v2, 0x80000000, v1
	s_delay_alu instid0(VALU_DEP_1) | instskip(NEXT) | instid1(VALU_DEP_1)
	v_cndmask_b32_e32 v1, v1, v2, vcc_lo
	v_add_f64 v[2:3], s[14:15], -v[0:1]
	v_add_f64 v[6:7], v[0:1], -s[14:15]
	v_div_scale_f64 v[14:15], null, v[0:1], v[0:1], -s[8:9]
	s_delay_alu instid0(VALU_DEP_3) | instskip(NEXT) | instid1(VALU_DEP_3)
	v_fma_f64 v[4:5], v[2:3], v[2:3], v[4:5]
	v_div_scale_f64 v[12:13], null, v[0:1], v[0:1], v[6:7]
	s_delay_alu instid0(VALU_DEP_3) | instskip(NEXT) | instid1(VALU_DEP_2)
	v_rcp_f64_e32 v[22:23], v[14:15]
	v_div_scale_f64 v[8:9], null, v[4:5], v[4:5], v[2:3]
	v_div_scale_f64 v[10:11], null, v[4:5], v[4:5], -s[8:9]
	s_delay_alu instid0(VALU_DEP_3)
	v_rcp_f64_e32 v[20:21], v[12:13]
	s_waitcnt_depctr 0xfff
	v_fma_f64 v[30:31], -v[14:15], v[22:23], 1.0
	v_div_scale_f64 v[32:33], vcc_lo, v[2:3], v[4:5], v[2:3]
	v_rcp_f64_e32 v[16:17], v[8:9]
	v_rcp_f64_e32 v[18:19], v[10:11]
	s_delay_alu instid0(VALU_DEP_2)
	v_fma_f64 v[22:23], v[22:23], v[30:31], v[22:23]
	v_fma_f64 v[28:29], -v[12:13], v[20:21], 1.0
	s_waitcnt_depctr 0xfff
	v_fma_f64 v[24:25], -v[8:9], v[16:17], 1.0
	v_fma_f64 v[26:27], -v[10:11], v[18:19], 1.0
	;; [unrolled: 1-line block ×3, first 2 shown]
	v_fma_f64 v[20:21], v[20:21], v[28:29], v[20:21]
	s_delay_alu instid0(VALU_DEP_4) | instskip(NEXT) | instid1(VALU_DEP_4)
	v_fma_f64 v[16:17], v[16:17], v[24:25], v[16:17]
	v_fma_f64 v[18:19], v[18:19], v[26:27], v[18:19]
	s_delay_alu instid0(VALU_DEP_4) | instskip(NEXT) | instid1(VALU_DEP_4)
	v_fma_f64 v[22:23], v[22:23], v[30:31], v[22:23]
	v_fma_f64 v[28:29], -v[12:13], v[20:21], 1.0
	s_delay_alu instid0(VALU_DEP_4) | instskip(NEXT) | instid1(VALU_DEP_4)
	v_fma_f64 v[24:25], -v[8:9], v[16:17], 1.0
	v_fma_f64 v[26:27], -v[10:11], v[18:19], 1.0
	s_delay_alu instid0(VALU_DEP_3) | instskip(SKIP_1) | instid1(VALU_DEP_4)
	v_fma_f64 v[20:21], v[20:21], v[28:29], v[20:21]
	v_div_scale_f64 v[28:29], s2, -s[8:9], v[0:1], -s[8:9]
	v_fma_f64 v[16:17], v[16:17], v[24:25], v[16:17]
	v_div_scale_f64 v[24:25], s0, -s[8:9], v[4:5], -s[8:9]
	v_fma_f64 v[18:19], v[18:19], v[26:27], v[18:19]
	v_div_scale_f64 v[26:27], s1, v[6:7], v[0:1], v[6:7]
	v_mul_f64 v[38:39], v[28:29], v[22:23]
	v_mul_f64 v[30:31], v[32:33], v[16:17]
	s_delay_alu instid0(VALU_DEP_4) | instskip(NEXT) | instid1(VALU_DEP_4)
	v_mul_f64 v[34:35], v[24:25], v[18:19]
	v_mul_f64 v[36:37], v[26:27], v[20:21]
	s_delay_alu instid0(VALU_DEP_4) | instskip(NEXT) | instid1(VALU_DEP_4)
	v_fma_f64 v[14:15], -v[14:15], v[38:39], v[28:29]
	v_fma_f64 v[8:9], -v[8:9], v[30:31], v[32:33]
	s_delay_alu instid0(VALU_DEP_4) | instskip(NEXT) | instid1(VALU_DEP_4)
	v_fma_f64 v[10:11], -v[10:11], v[34:35], v[24:25]
	v_fma_f64 v[12:13], -v[12:13], v[36:37], v[26:27]
	s_delay_alu instid0(VALU_DEP_3) | instskip(SKIP_1) | instid1(VALU_DEP_3)
	v_div_fmas_f64 v[8:9], v[8:9], v[16:17], v[30:31]
	s_mov_b32 vcc_lo, s0
	v_div_fmas_f64 v[10:11], v[10:11], v[18:19], v[34:35]
	s_mov_b32 vcc_lo, s1
	s_delay_alu instid0(VALU_DEP_3) | instskip(SKIP_3) | instid1(VALU_DEP_4)
	v_div_fmas_f64 v[12:13], v[12:13], v[20:21], v[36:37]
	s_mov_b32 vcc_lo, s2
	s_mov_b32 s2, s3
	v_div_fmas_f64 v[14:15], v[14:15], v[22:23], v[38:39]
	v_div_fixup_f64 v[2:3], v[8:9], v[4:5], v[2:3]
	s_delay_alu instid0(VALU_DEP_4)
	v_div_fixup_f64 v[4:5], v[10:11], v[4:5], -s[8:9]
	v_mov_b32_e32 v10, 0
	v_div_fixup_f64 v[6:7], v[12:13], v[0:1], v[6:7]
	v_div_fixup_f64 v[8:9], v[14:15], v[0:1], -s[8:9]
	s_clause 0x1
	global_store_b128 v10, v[2:5], s[6:7]
	global_store_b128 v10, v[6:9], s[4:5]
.LBB137_8:
	s_and_not1_b32 vcc_lo, exec_lo, s13
	s_cbranch_vccz .LBB137_11
; %bb.9:
	s_and_not1_b32 vcc_lo, exec_lo, s2
	s_cbranch_vccz .LBB137_12
; %bb.10:
	s_endpgm
.LBB137_11:
	v_dual_mov_b32 v2, s20 :: v_dual_mov_b32 v3, s21
	s_waitcnt vmcnt(0)
	flat_store_b64 v[2:3], v[0:1]
	v_mov_b32_e32 v0, 0
	v_mov_b32_e32 v1, 0x3ff00000
.LBB137_12:
	v_mov_b32_e32 v2, 0
	s_delay_alu instid0(VALU_DEP_1)
	v_mov_b32_e32 v3, v2
	s_waitcnt vmcnt(0) lgkmcnt(0)
	global_store_b128 v2, v[0:3], s[10:11]
	s_endpgm
	.section	.rodata,"a",@progbits
	.p2align	6, 0x0
	.amdhsa_kernel _ZN9rocsolver6v33100L11set_taubetaI19rocblas_complex_numIdEidPS3_EEvPT_lS6_T2_llPT1_ll
		.amdhsa_group_segment_fixed_size 0
		.amdhsa_private_segment_fixed_size 0
		.amdhsa_kernarg_size 72
		.amdhsa_user_sgpr_count 15
		.amdhsa_user_sgpr_dispatch_ptr 0
		.amdhsa_user_sgpr_queue_ptr 0
		.amdhsa_user_sgpr_kernarg_segment_ptr 1
		.amdhsa_user_sgpr_dispatch_id 0
		.amdhsa_user_sgpr_private_segment_size 0
		.amdhsa_wavefront_size32 1
		.amdhsa_uses_dynamic_stack 0
		.amdhsa_enable_private_segment 0
		.amdhsa_system_sgpr_workgroup_id_x 1
		.amdhsa_system_sgpr_workgroup_id_y 0
		.amdhsa_system_sgpr_workgroup_id_z 0
		.amdhsa_system_sgpr_workgroup_info 0
		.amdhsa_system_vgpr_workitem_id 0
		.amdhsa_next_free_vgpr 40
		.amdhsa_next_free_sgpr 22
		.amdhsa_reserve_vcc 1
		.amdhsa_float_round_mode_32 0
		.amdhsa_float_round_mode_16_64 0
		.amdhsa_float_denorm_mode_32 3
		.amdhsa_float_denorm_mode_16_64 3
		.amdhsa_dx10_clamp 1
		.amdhsa_ieee_mode 1
		.amdhsa_fp16_overflow 0
		.amdhsa_workgroup_processor_mode 1
		.amdhsa_memory_ordered 1
		.amdhsa_forward_progress 0
		.amdhsa_shared_vgpr_count 0
		.amdhsa_exception_fp_ieee_invalid_op 0
		.amdhsa_exception_fp_denorm_src 0
		.amdhsa_exception_fp_ieee_div_zero 0
		.amdhsa_exception_fp_ieee_overflow 0
		.amdhsa_exception_fp_ieee_underflow 0
		.amdhsa_exception_fp_ieee_inexact 0
		.amdhsa_exception_int_div_zero 0
	.end_amdhsa_kernel
	.section	.text._ZN9rocsolver6v33100L11set_taubetaI19rocblas_complex_numIdEidPS3_EEvPT_lS6_T2_llPT1_ll,"axG",@progbits,_ZN9rocsolver6v33100L11set_taubetaI19rocblas_complex_numIdEidPS3_EEvPT_lS6_T2_llPT1_ll,comdat
.Lfunc_end137:
	.size	_ZN9rocsolver6v33100L11set_taubetaI19rocblas_complex_numIdEidPS3_EEvPT_lS6_T2_llPT1_ll, .Lfunc_end137-_ZN9rocsolver6v33100L11set_taubetaI19rocblas_complex_numIdEidPS3_EEvPT_lS6_T2_llPT1_ll
                                        ; -- End function
	.section	.AMDGPU.csdata,"",@progbits
; Kernel info:
; codeLenInByte = 1156
; NumSgprs: 24
; NumVgprs: 40
; ScratchSize: 0
; MemoryBound: 0
; FloatMode: 240
; IeeeMode: 1
; LDSByteSize: 0 bytes/workgroup (compile time only)
; SGPRBlocks: 2
; VGPRBlocks: 4
; NumSGPRsForWavesPerEU: 24
; NumVGPRsForWavesPerEU: 40
; Occupancy: 16
; WaveLimiterHint : 0
; COMPUTE_PGM_RSRC2:SCRATCH_EN: 0
; COMPUTE_PGM_RSRC2:USER_SGPR: 15
; COMPUTE_PGM_RSRC2:TRAP_HANDLER: 0
; COMPUTE_PGM_RSRC2:TGID_X_EN: 1
; COMPUTE_PGM_RSRC2:TGID_Y_EN: 0
; COMPUTE_PGM_RSRC2:TGID_Z_EN: 0
; COMPUTE_PGM_RSRC2:TIDIG_COMP_CNT: 0
	.section	.text._ZN9rocsolver6v33100L13conj_in_placeI19rocblas_complex_numIdEiPS3_TnNSt9enable_ifIX18rocblas_is_complexIT_EEiE4typeELi0EEEvT0_S9_T1_lS9_l,"axG",@progbits,_ZN9rocsolver6v33100L13conj_in_placeI19rocblas_complex_numIdEiPS3_TnNSt9enable_ifIX18rocblas_is_complexIT_EEiE4typeELi0EEEvT0_S9_T1_lS9_l,comdat
	.globl	_ZN9rocsolver6v33100L13conj_in_placeI19rocblas_complex_numIdEiPS3_TnNSt9enable_ifIX18rocblas_is_complexIT_EEiE4typeELi0EEEvT0_S9_T1_lS9_l ; -- Begin function _ZN9rocsolver6v33100L13conj_in_placeI19rocblas_complex_numIdEiPS3_TnNSt9enable_ifIX18rocblas_is_complexIT_EEiE4typeELi0EEEvT0_S9_T1_lS9_l
	.p2align	8
	.type	_ZN9rocsolver6v33100L13conj_in_placeI19rocblas_complex_numIdEiPS3_TnNSt9enable_ifIX18rocblas_is_complexIT_EEiE4typeELi0EEEvT0_S9_T1_lS9_l,@function
_ZN9rocsolver6v33100L13conj_in_placeI19rocblas_complex_numIdEiPS3_TnNSt9enable_ifIX18rocblas_is_complexIT_EEiE4typeELi0EEEvT0_S9_T1_lS9_l: ; @_ZN9rocsolver6v33100L13conj_in_placeI19rocblas_complex_numIdEiPS3_TnNSt9enable_ifIX18rocblas_is_complexIT_EEiE4typeELi0EEEvT0_S9_T1_lS9_l
; %bb.0:
	s_clause 0x1
	s_load_b32 s4, s[0:1], 0x34
	s_load_b64 s[2:3], s[0:1], 0x0
	v_and_b32_e32 v2, 0x3ff, v0
	v_bfe_u32 v3, v0, 10, 10
	s_waitcnt lgkmcnt(0)
	s_lshr_b32 s5, s4, 16
	s_and_b32 s4, s4, 0xffff
	s_delay_alu instid0(VALU_DEP_1) | instid1(SALU_CYCLE_1)
	v_mad_u64_u32 v[0:1], null, s13, s4, v[2:3]
	v_mad_u64_u32 v[1:2], null, s14, s5, v[3:4]
	s_delay_alu instid0(VALU_DEP_2) | instskip(NEXT) | instid1(VALU_DEP_2)
	v_cmp_gt_i32_e32 vcc_lo, s2, v0
	v_cmp_gt_i32_e64 s2, s3, v1
	s_delay_alu instid0(VALU_DEP_1) | instskip(NEXT) | instid1(SALU_CYCLE_1)
	s_and_b32 s2, vcc_lo, s2
	s_and_saveexec_b32 s3, s2
	s_cbranch_execz .LBB138_2
; %bb.1:
	s_clause 0x2
	s_load_b64 s[4:5], s[0:1], 0x20
	s_load_b32 s6, s[0:1], 0x18
	s_load_b128 s[0:3], s[0:1], 0x8
	s_ashr_i32 s7, s15, 31
	s_waitcnt lgkmcnt(0)
	s_mul_i32 s5, s15, s5
	v_mad_i64_i32 v[5:6], null, v1, s6, 0
	s_mul_hi_u32 s8, s15, s4
	s_mul_i32 s7, s7, s4
	s_add_i32 s5, s8, s5
	s_mul_i32 s4, s15, s4
	s_add_i32 s5, s5, s7
	v_ashrrev_i32_e32 v1, 31, v0
	s_lshl_b64 s[4:5], s[4:5], 4
	v_lshlrev_b64 v[2:3], 4, v[5:6]
	s_add_u32 s4, s0, s4
	s_addc_u32 s5, s1, s5
	s_lshl_b64 s[0:1], s[2:3], 4
	v_lshlrev_b64 v[6:7], 4, v[0:1]
	s_add_u32 s0, s4, s0
	s_addc_u32 s1, s5, s1
	v_add_co_u32 v1, vcc_lo, s0, v2
	v_add_co_ci_u32_e32 v2, vcc_lo, s1, v3, vcc_lo
	v_add_nc_u32_e32 v5, v5, v0
	s_delay_alu instid0(VALU_DEP_3) | instskip(NEXT) | instid1(VALU_DEP_3)
	v_add_co_u32 v1, vcc_lo, v1, v6
	v_add_co_ci_u32_e32 v2, vcc_lo, v2, v7, vcc_lo
	s_delay_alu instid0(VALU_DEP_3) | instskip(SKIP_2) | instid1(VALU_DEP_1)
	v_ashrrev_i32_e32 v6, 31, v5
	global_load_b128 v[1:4], v[1:2], off
	v_lshlrev_b64 v[5:6], 4, v[5:6]
	v_add_co_u32 v5, vcc_lo, s0, v5
	s_delay_alu instid0(VALU_DEP_2)
	v_add_co_ci_u32_e32 v6, vcc_lo, s1, v6, vcc_lo
	s_waitcnt vmcnt(0)
	v_xor_b32_e32 v4, 0x80000000, v4
	global_store_b128 v[5:6], v[1:4], off
.LBB138_2:
	s_nop 0
	s_sendmsg sendmsg(MSG_DEALLOC_VGPRS)
	s_endpgm
	.section	.rodata,"a",@progbits
	.p2align	6, 0x0
	.amdhsa_kernel _ZN9rocsolver6v33100L13conj_in_placeI19rocblas_complex_numIdEiPS3_TnNSt9enable_ifIX18rocblas_is_complexIT_EEiE4typeELi0EEEvT0_S9_T1_lS9_l
		.amdhsa_group_segment_fixed_size 0
		.amdhsa_private_segment_fixed_size 0
		.amdhsa_kernarg_size 296
		.amdhsa_user_sgpr_count 13
		.amdhsa_user_sgpr_dispatch_ptr 0
		.amdhsa_user_sgpr_queue_ptr 0
		.amdhsa_user_sgpr_kernarg_segment_ptr 1
		.amdhsa_user_sgpr_dispatch_id 0
		.amdhsa_user_sgpr_private_segment_size 0
		.amdhsa_wavefront_size32 1
		.amdhsa_uses_dynamic_stack 0
		.amdhsa_enable_private_segment 0
		.amdhsa_system_sgpr_workgroup_id_x 1
		.amdhsa_system_sgpr_workgroup_id_y 1
		.amdhsa_system_sgpr_workgroup_id_z 1
		.amdhsa_system_sgpr_workgroup_info 0
		.amdhsa_system_vgpr_workitem_id 1
		.amdhsa_next_free_vgpr 8
		.amdhsa_next_free_sgpr 16
		.amdhsa_reserve_vcc 1
		.amdhsa_float_round_mode_32 0
		.amdhsa_float_round_mode_16_64 0
		.amdhsa_float_denorm_mode_32 3
		.amdhsa_float_denorm_mode_16_64 3
		.amdhsa_dx10_clamp 1
		.amdhsa_ieee_mode 1
		.amdhsa_fp16_overflow 0
		.amdhsa_workgroup_processor_mode 1
		.amdhsa_memory_ordered 1
		.amdhsa_forward_progress 0
		.amdhsa_shared_vgpr_count 0
		.amdhsa_exception_fp_ieee_invalid_op 0
		.amdhsa_exception_fp_denorm_src 0
		.amdhsa_exception_fp_ieee_div_zero 0
		.amdhsa_exception_fp_ieee_overflow 0
		.amdhsa_exception_fp_ieee_underflow 0
		.amdhsa_exception_fp_ieee_inexact 0
		.amdhsa_exception_int_div_zero 0
	.end_amdhsa_kernel
	.section	.text._ZN9rocsolver6v33100L13conj_in_placeI19rocblas_complex_numIdEiPS3_TnNSt9enable_ifIX18rocblas_is_complexIT_EEiE4typeELi0EEEvT0_S9_T1_lS9_l,"axG",@progbits,_ZN9rocsolver6v33100L13conj_in_placeI19rocblas_complex_numIdEiPS3_TnNSt9enable_ifIX18rocblas_is_complexIT_EEiE4typeELi0EEEvT0_S9_T1_lS9_l,comdat
.Lfunc_end138:
	.size	_ZN9rocsolver6v33100L13conj_in_placeI19rocblas_complex_numIdEiPS3_TnNSt9enable_ifIX18rocblas_is_complexIT_EEiE4typeELi0EEEvT0_S9_T1_lS9_l, .Lfunc_end138-_ZN9rocsolver6v33100L13conj_in_placeI19rocblas_complex_numIdEiPS3_TnNSt9enable_ifIX18rocblas_is_complexIT_EEiE4typeELi0EEEvT0_S9_T1_lS9_l
                                        ; -- End function
	.section	.AMDGPU.csdata,"",@progbits
; Kernel info:
; codeLenInByte = 320
; NumSgprs: 18
; NumVgprs: 8
; ScratchSize: 0
; MemoryBound: 0
; FloatMode: 240
; IeeeMode: 1
; LDSByteSize: 0 bytes/workgroup (compile time only)
; SGPRBlocks: 2
; VGPRBlocks: 0
; NumSGPRsForWavesPerEU: 18
; NumVGPRsForWavesPerEU: 8
; Occupancy: 16
; WaveLimiterHint : 0
; COMPUTE_PGM_RSRC2:SCRATCH_EN: 0
; COMPUTE_PGM_RSRC2:USER_SGPR: 13
; COMPUTE_PGM_RSRC2:TRAP_HANDLER: 0
; COMPUTE_PGM_RSRC2:TGID_X_EN: 1
; COMPUTE_PGM_RSRC2:TGID_Y_EN: 1
; COMPUTE_PGM_RSRC2:TGID_Z_EN: 1
; COMPUTE_PGM_RSRC2:TIDIG_COMP_CNT: 1
	.section	.text._ZN9rocsolver6v33100L16larf_left_kernelILi1024E19rocblas_complex_numIdEiPS3_EEvT1_S5_T2_lS5_lPKT0_lS6_lS5_l,"axG",@progbits,_ZN9rocsolver6v33100L16larf_left_kernelILi1024E19rocblas_complex_numIdEiPS3_EEvT1_S5_T2_lS5_lPKT0_lS6_lS5_l,comdat
	.globl	_ZN9rocsolver6v33100L16larf_left_kernelILi1024E19rocblas_complex_numIdEiPS3_EEvT1_S5_T2_lS5_lPKT0_lS6_lS5_l ; -- Begin function _ZN9rocsolver6v33100L16larf_left_kernelILi1024E19rocblas_complex_numIdEiPS3_EEvT1_S5_T2_lS5_lPKT0_lS6_lS5_l
	.p2align	8
	.type	_ZN9rocsolver6v33100L16larf_left_kernelILi1024E19rocblas_complex_numIdEiPS3_EEvT1_S5_T2_lS5_lPKT0_lS6_lS5_l,@function
_ZN9rocsolver6v33100L16larf_left_kernelILi1024E19rocblas_complex_numIdEiPS3_EEvT1_S5_T2_lS5_lPKT0_lS6_lS5_l: ; @_ZN9rocsolver6v33100L16larf_left_kernelILi1024E19rocblas_complex_numIdEiPS3_EEvT1_S5_T2_lS5_lPKT0_lS6_lS5_l
; %bb.0:
	s_clause 0x4
	s_load_b32 s20, s[0:1], 0x0
	s_load_b64 s[2:3], s[0:1], 0x50
	s_load_b32 s16, s[0:1], 0x48
	s_load_b64 s[12:13], s[0:1], 0x40
	s_load_b256 s[4:11], s[0:1], 0x20
	v_mov_b32_e32 v1, 0
	v_dual_mov_b32 v2, 0 :: v_dual_lshlrev_b32 v7, 4, v0
	s_ashr_i32 s24, s15, 31
	s_delay_alu instid0(VALU_DEP_1)
	v_dual_mov_b32 v4, v2 :: v_dual_mov_b32 v3, v1
	s_waitcnt lgkmcnt(0)
	v_cmp_gt_i32_e32 vcc_lo, s20, v0
	s_mul_i32 s21, s2, s24
	s_mul_hi_u32 s22, s2, s15
	s_mul_i32 s23, s3, s15
	s_mul_i32 s18, s2, s15
	s_mul_hi_i32 s17, s14, s16
	s_mul_i32 s16, s14, s16
	s_and_saveexec_b32 s14, vcc_lo
	s_cbranch_execz .LBB139_6
; %bb.1:
	s_clause 0x1
	s_load_b32 s26, s[0:1], 0x18
	s_load_b128 s[0:3], s[0:1], 0x8
	s_sub_i32 s19, 1, s20
	s_mul_i32 s25, s4, s24
	s_mul_hi_u32 s29, s4, s15
	s_mul_i32 s5, s5, s15
	s_mul_i32 s4, s4, s15
	v_add3_u32 v8, v7, 0, 0x200
	v_mov_b32_e32 v4, v0
	s_delay_alu instid0(VALU_DEP_2)
	v_mov_b32_e32 v3, v8
	s_waitcnt lgkmcnt(0)
	s_ashr_i32 s27, s26, 31
	v_mad_i64_i32 v[1:2], null, s26, v0, 0
	v_cmp_lt_i64_e64 s28, s[26:27], 1
	s_mul_i32 s19, s19, s26
	s_delay_alu instid0(VALU_DEP_1)
	s_and_b32 s28, s28, exec_lo
	s_cselect_b32 s28, s19, 0
	s_add_i32 s19, s29, s25
	s_ashr_i32 s29, s28, 31
	s_add_i32 s5, s19, s5
	s_lshl_b64 s[28:29], s[28:29], 4
	s_lshl_b64 s[2:3], s[2:3], 4
	;; [unrolled: 1-line block ×3, first 2 shown]
	v_lshlrev_b64 v[1:2], 4, v[1:2]
	s_add_u32 s0, s0, s28
	s_addc_u32 s1, s1, s29
	s_add_u32 s0, s0, s2
	s_addc_u32 s1, s1, s3
	;; [unrolled: 2-line block ×3, first 2 shown]
	v_add_co_u32 v1, s0, s0, v1
	s_delay_alu instid0(VALU_DEP_1)
	v_add_co_ci_u32_e64 v2, s0, s1, v2, s0
	s_mov_b32 s4, 0
	s_lshl_b64 s[2:3], s[26:27], 14
	.p2align	6
.LBB139_2:                              ; =>This Inner Loop Header: Depth=1
	global_load_b128 v[9:12], v[1:2], off
	v_add_nc_u32_e32 v4, 0x400, v4
	v_add_co_u32 v1, s0, v1, s2
	s_delay_alu instid0(VALU_DEP_1) | instskip(NEXT) | instid1(VALU_DEP_3)
	v_add_co_ci_u32_e64 v2, s0, s3, v2, s0
	v_cmp_le_i32_e64 s1, s20, v4
	s_delay_alu instid0(VALU_DEP_1)
	s_or_b32 s4, s1, s4
	s_waitcnt vmcnt(0)
	ds_store_2addr_b64 v3, v[9:10], v[11:12] offset1:1
	v_add_nc_u32_e32 v3, 0x4000, v3
	s_and_not1_b32 exec_lo, exec_lo, s4
	s_cbranch_execnz .LBB139_2
; %bb.3:
	s_or_b32 exec_lo, exec_lo, s4
	s_add_i32 s0, s22, s21
	v_lshlrev_b32_e32 v1, 4, v0
	s_add_i32 s19, s0, s23
	s_lshl_b64 s[0:1], s[16:17], 4
	s_lshl_b64 s[2:3], s[18:19], 4
	v_mov_b32_e32 v9, v0
	s_add_u32 s2, s2, s0
	s_addc_u32 s3, s3, s1
	s_lshl_b64 s[0:1], s[12:13], 4
	s_delay_alu instid0(SALU_CYCLE_1)
	s_add_u32 s0, s2, s0
	s_addc_u32 s1, s3, s1
	s_add_u32 s0, s10, s0
	s_addc_u32 s1, s11, s1
	v_add_co_u32 v3, s0, s0, v1
	v_mov_b32_e32 v1, 0
	v_add_co_ci_u32_e64 v4, null, s1, 0, s0
	v_mov_b32_e32 v2, 0
	s_delay_alu instid0(VALU_DEP_4) | instskip(NEXT) | instid1(VALU_DEP_1)
	v_add_co_u32 v5, s0, v3, 8
	v_add_co_ci_u32_e64 v6, s0, 0, v4, s0
	s_delay_alu instid0(VALU_DEP_3)
	v_dual_mov_b32 v4, v2 :: v_dual_mov_b32 v3, v1
	s_mov_b32 s2, 0
	.p2align	6
.LBB139_4:                              ; =>This Inner Loop Header: Depth=1
	global_load_b128 v[10:13], v[5:6], off offset:-8
	ds_load_2addr_b64 v[14:17], v8 offset1:1
	v_add_nc_u32_e32 v9, 0x400, v9
	v_add_co_u32 v5, s1, 0x4000, v5
	v_add_nc_u32_e32 v8, 0x4000, v8
	v_add_co_ci_u32_e64 v6, s1, 0, v6, s1
	s_delay_alu instid0(VALU_DEP_4) | instskip(NEXT) | instid1(VALU_DEP_1)
	v_cmp_le_i32_e64 s0, s20, v9
	s_or_b32 s2, s0, s2
	s_waitcnt vmcnt(0) lgkmcnt(0)
	v_mul_f64 v[18:19], v[12:13], v[16:17]
	v_mul_f64 v[12:13], v[12:13], v[14:15]
	s_delay_alu instid0(VALU_DEP_2) | instskip(NEXT) | instid1(VALU_DEP_2)
	v_fma_f64 v[14:15], v[10:11], v[14:15], v[18:19]
	v_fma_f64 v[10:11], v[10:11], v[16:17], -v[12:13]
	s_delay_alu instid0(VALU_DEP_2) | instskip(NEXT) | instid1(VALU_DEP_2)
	v_add_f64 v[3:4], v[3:4], v[14:15]
	v_add_f64 v[1:2], v[1:2], v[10:11]
	s_and_not1_b32 exec_lo, exec_lo, s2
	s_cbranch_execnz .LBB139_4
; %bb.5:
	s_or_b32 exec_lo, exec_lo, s2
.LBB139_6:
	s_delay_alu instid0(SALU_CYCLE_1) | instskip(SKIP_2) | instid1(VALU_DEP_1)
	s_or_b32 exec_lo, exec_lo, s14
	v_mbcnt_lo_u32_b32 v10, -1, 0
	s_mov_b32 s1, exec_lo
	v_cmp_ne_u32_e64 s0, 31, v10
	s_delay_alu instid0(VALU_DEP_1) | instskip(SKIP_1) | instid1(VALU_DEP_2)
	v_add_co_ci_u32_e64 v5, s0, 0, v10, s0
	v_cmp_gt_u32_e64 s0, 30, v10
	v_lshlrev_b32_e32 v9, 2, v5
	ds_bpermute_b32 v5, v9, v3
	ds_bpermute_b32 v6, v9, v4
	ds_bpermute_b32 v8, v9, v1
	ds_bpermute_b32 v9, v9, v2
	s_waitcnt lgkmcnt(2)
	v_add_f64 v[3:4], v[3:4], v[5:6]
	v_cndmask_b32_e64 v5, 0, 1, s0
	s_waitcnt lgkmcnt(0)
	v_add_f64 v[1:2], v[1:2], v[8:9]
	v_cmp_gt_u32_e64 s0, 28, v10
	s_delay_alu instid0(VALU_DEP_3) | instskip(NEXT) | instid1(VALU_DEP_1)
	v_lshlrev_b32_e32 v5, 1, v5
	v_add_lshl_u32 v9, v5, v10, 2
	ds_bpermute_b32 v5, v9, v3
	ds_bpermute_b32 v6, v9, v4
	ds_bpermute_b32 v8, v9, v1
	ds_bpermute_b32 v9, v9, v2
	s_waitcnt lgkmcnt(2)
	v_add_f64 v[3:4], v[3:4], v[5:6]
	v_cndmask_b32_e64 v5, 0, 1, s0
	s_waitcnt lgkmcnt(0)
	v_add_f64 v[1:2], v[1:2], v[8:9]
	v_cmp_gt_u32_e64 s0, 24, v10
	s_delay_alu instid0(VALU_DEP_3) | instskip(NEXT) | instid1(VALU_DEP_1)
	v_lshlrev_b32_e32 v5, 2, v5
	v_add_lshl_u32 v9, v5, v10, 2
	;; [unrolled: 13-line block ×3, first 2 shown]
	ds_bpermute_b32 v5, v9, v3
	ds_bpermute_b32 v6, v9, v4
	ds_bpermute_b32 v8, v9, v1
	ds_bpermute_b32 v9, v9, v2
	s_waitcnt lgkmcnt(2)
	v_add_f64 v[3:4], v[3:4], v[5:6]
	s_waitcnt lgkmcnt(0)
	v_add_f64 v[5:6], v[1:2], v[8:9]
	v_cndmask_b32_e64 v1, 0, 1, s0
	s_delay_alu instid0(VALU_DEP_1) | instskip(NEXT) | instid1(VALU_DEP_1)
	v_lshlrev_b32_e32 v1, 4, v1
	v_add_lshl_u32 v9, v1, v10, 2
	ds_bpermute_b32 v1, v9, v3
	ds_bpermute_b32 v2, v9, v4
	;; [unrolled: 1-line block ×4, first 2 shown]
	s_waitcnt lgkmcnt(2)
	v_add_f64 v[1:2], v[3:4], v[1:2]
	s_waitcnt lgkmcnt(0)
	v_add_f64 v[3:4], v[5:6], v[8:9]
	v_and_b32_e32 v5, 31, v0
	s_delay_alu instid0(VALU_DEP_1)
	v_cmpx_eq_u32_e32 0, v5
	s_cbranch_execz .LBB139_8
; %bb.7:
	v_lshrrev_b32_e32 v5, 1, v0
	s_delay_alu instid0(VALU_DEP_1)
	v_add_nc_u32_e32 v5, 0, v5
	ds_store_2addr_b64 v5, v[1:2], v[3:4] offset1:1
.LBB139_8:
	s_or_b32 exec_lo, exec_lo, s1
	s_delay_alu instid0(SALU_CYCLE_1)
	s_mov_b32 s1, exec_lo
	s_waitcnt lgkmcnt(0)
	s_barrier
	buffer_gl0_inv
	v_cmpx_eq_u32_e32 0, v0
	s_cbranch_execz .LBB139_10
; %bb.9:
	v_mov_b32_e32 v16, 0
	ds_load_2addr_b64 v[8:11], v16 offset0:2 offset1:3
	ds_load_2addr_b64 v[12:15], v16 offset0:4 offset1:5
	s_waitcnt lgkmcnt(1)
	v_add_f64 v[1:2], v[1:2], v[8:9]
	v_add_f64 v[3:4], v[3:4], v[10:11]
	s_waitcnt lgkmcnt(0)
	s_delay_alu instid0(VALU_DEP_2) | instskip(NEXT) | instid1(VALU_DEP_2)
	v_add_f64 v[5:6], v[1:2], v[12:13]
	v_add_f64 v[12:13], v[3:4], v[14:15]
	ds_load_2addr_b64 v[1:4], v16 offset0:6 offset1:7
	ds_load_2addr_b64 v[8:11], v16 offset0:8 offset1:9
	s_waitcnt lgkmcnt(1)
	v_add_f64 v[1:2], v[5:6], v[1:2]
	v_add_f64 v[3:4], v[12:13], v[3:4]
	s_waitcnt lgkmcnt(0)
	s_delay_alu instid0(VALU_DEP_2) | instskip(NEXT) | instid1(VALU_DEP_2)
	v_add_f64 v[5:6], v[1:2], v[8:9]
	v_add_f64 v[12:13], v[3:4], v[10:11]
	;; [unrolled: 9-line block ×15, first 2 shown]
	ds_load_2addr_b64 v[1:4], v16 offset0:62 offset1:63
	s_waitcnt lgkmcnt(0)
	v_add_f64 v[1:2], v[5:6], v[1:2]
	v_add_f64 v[3:4], v[8:9], v[3:4]
	ds_store_2addr_b64 v16, v[1:2], v[3:4] offset1:1
.LBB139_10:
	s_or_b32 exec_lo, exec_lo, s1
	s_waitcnt lgkmcnt(0)
	s_barrier
	buffer_gl0_inv
	s_and_saveexec_b32 s0, vcc_lo
	s_cbranch_execz .LBB139_13
; %bb.11:
	s_mul_i32 s0, s15, s9
	s_mul_hi_u32 s1, s15, s8
	s_mul_i32 s2, s24, s8
	s_add_i32 s0, s1, s0
	v_mov_b32_e32 v1, 0
	s_add_i32 s1, s0, s2
	s_mul_i32 s0, s15, s8
	s_delay_alu instid0(SALU_CYCLE_1)
	s_lshl_b64 s[0:1], s[0:1], 4
	ds_load_2addr_b64 v[1:4], v1 offset1:1
	s_add_u32 s0, s6, s0
	s_addc_u32 s1, s7, s1
	s_load_b128 s[0:3], s[0:1], 0x0
	s_waitcnt lgkmcnt(0)
	v_mul_f64 v[5:6], s[2:3], v[3:4]
	v_mul_f64 v[8:9], s[2:3], v[1:2]
	s_lshl_b64 s[2:3], s[16:17], 4
	s_delay_alu instid0(VALU_DEP_2) | instskip(NEXT) | instid1(VALU_DEP_2)
	v_fma_f64 v[1:2], v[1:2], -s[0:1], -v[5:6]
	v_fma_f64 v[3:4], s[0:1], v[3:4], -v[8:9]
	s_add_i32 s0, s22, s21
	s_delay_alu instid0(SALU_CYCLE_1) | instskip(NEXT) | instid1(SALU_CYCLE_1)
	s_add_i32 s19, s0, s23
	s_lshl_b64 s[0:1], s[18:19], 4
	s_delay_alu instid0(SALU_CYCLE_1) | instskip(SKIP_2) | instid1(SALU_CYCLE_1)
	s_add_u32 s2, s0, s2
	s_addc_u32 s3, s1, s3
	s_lshl_b64 s[0:1], s[12:13], 4
	s_add_u32 s0, s2, s0
	s_addc_u32 s1, s3, s1
	s_add_u32 s0, s10, s0
	s_addc_u32 s1, s11, s1
	v_add_co_u32 v5, s0, s0, v7
	s_delay_alu instid0(VALU_DEP_1) | instskip(SKIP_1) | instid1(VALU_DEP_3)
	v_add_co_ci_u32_e64 v6, null, s1, 0, s0
	v_add3_u32 v7, v7, 0, 0x200
	v_add_co_u32 v5, vcc_lo, v5, 8
	s_delay_alu instid0(VALU_DEP_3)
	v_add_co_ci_u32_e32 v6, vcc_lo, 0, v6, vcc_lo
	s_mov_b32 s1, 0
	.p2align	6
.LBB139_12:                             ; =>This Inner Loop Header: Depth=1
	global_load_b128 v[8:11], v[5:6], off offset:-8
	ds_load_2addr_b64 v[12:15], v7 offset1:1
	v_add_nc_u32_e32 v0, 0x400, v0
	v_add_nc_u32_e32 v7, 0x4000, v7
	s_delay_alu instid0(VALU_DEP_2) | instskip(SKIP_4) | instid1(VALU_DEP_2)
	v_cmp_le_i32_e32 vcc_lo, s20, v0
	s_or_b32 s1, vcc_lo, s1
	s_waitcnt lgkmcnt(0)
	v_mul_f64 v[16:17], v[3:4], v[14:15]
	v_mul_f64 v[14:15], v[1:2], v[14:15]
	v_fma_f64 v[16:17], v[1:2], v[12:13], -v[16:17]
	s_delay_alu instid0(VALU_DEP_2) | instskip(SKIP_1) | instid1(VALU_DEP_2)
	v_fma_f64 v[12:13], v[3:4], v[12:13], v[14:15]
	s_waitcnt vmcnt(0)
	v_add_f64 v[8:9], v[8:9], v[16:17]
	s_delay_alu instid0(VALU_DEP_2) | instskip(SKIP_2) | instid1(VALU_DEP_1)
	v_add_f64 v[10:11], v[10:11], v[12:13]
	global_store_b128 v[5:6], v[8:11], off offset:-8
	v_add_co_u32 v5, s0, 0x4000, v5
	v_add_co_ci_u32_e64 v6, s0, 0, v6, s0
	s_and_not1_b32 exec_lo, exec_lo, s1
	s_cbranch_execnz .LBB139_12
.LBB139_13:
	s_nop 0
	s_sendmsg sendmsg(MSG_DEALLOC_VGPRS)
	s_endpgm
	.section	.rodata,"a",@progbits
	.p2align	6, 0x0
	.amdhsa_kernel _ZN9rocsolver6v33100L16larf_left_kernelILi1024E19rocblas_complex_numIdEiPS3_EEvT1_S5_T2_lS5_lPKT0_lS6_lS5_l
		.amdhsa_group_segment_fixed_size 0
		.amdhsa_private_segment_fixed_size 0
		.amdhsa_kernarg_size 88
		.amdhsa_user_sgpr_count 13
		.amdhsa_user_sgpr_dispatch_ptr 0
		.amdhsa_user_sgpr_queue_ptr 0
		.amdhsa_user_sgpr_kernarg_segment_ptr 1
		.amdhsa_user_sgpr_dispatch_id 0
		.amdhsa_user_sgpr_private_segment_size 0
		.amdhsa_wavefront_size32 1
		.amdhsa_uses_dynamic_stack 0
		.amdhsa_enable_private_segment 0
		.amdhsa_system_sgpr_workgroup_id_x 1
		.amdhsa_system_sgpr_workgroup_id_y 1
		.amdhsa_system_sgpr_workgroup_id_z 1
		.amdhsa_system_sgpr_workgroup_info 0
		.amdhsa_system_vgpr_workitem_id 0
		.amdhsa_next_free_vgpr 20
		.amdhsa_next_free_sgpr 30
		.amdhsa_reserve_vcc 1
		.amdhsa_float_round_mode_32 0
		.amdhsa_float_round_mode_16_64 0
		.amdhsa_float_denorm_mode_32 3
		.amdhsa_float_denorm_mode_16_64 3
		.amdhsa_dx10_clamp 1
		.amdhsa_ieee_mode 1
		.amdhsa_fp16_overflow 0
		.amdhsa_workgroup_processor_mode 1
		.amdhsa_memory_ordered 1
		.amdhsa_forward_progress 0
		.amdhsa_shared_vgpr_count 0
		.amdhsa_exception_fp_ieee_invalid_op 0
		.amdhsa_exception_fp_denorm_src 0
		.amdhsa_exception_fp_ieee_div_zero 0
		.amdhsa_exception_fp_ieee_overflow 0
		.amdhsa_exception_fp_ieee_underflow 0
		.amdhsa_exception_fp_ieee_inexact 0
		.amdhsa_exception_int_div_zero 0
	.end_amdhsa_kernel
	.section	.text._ZN9rocsolver6v33100L16larf_left_kernelILi1024E19rocblas_complex_numIdEiPS3_EEvT1_S5_T2_lS5_lPKT0_lS6_lS5_l,"axG",@progbits,_ZN9rocsolver6v33100L16larf_left_kernelILi1024E19rocblas_complex_numIdEiPS3_EEvT1_S5_T2_lS5_lPKT0_lS6_lS5_l,comdat
.Lfunc_end139:
	.size	_ZN9rocsolver6v33100L16larf_left_kernelILi1024E19rocblas_complex_numIdEiPS3_EEvT1_S5_T2_lS5_lPKT0_lS6_lS5_l, .Lfunc_end139-_ZN9rocsolver6v33100L16larf_left_kernelILi1024E19rocblas_complex_numIdEiPS3_EEvT1_S5_T2_lS5_lPKT0_lS6_lS5_l
                                        ; -- End function
	.section	.AMDGPU.csdata,"",@progbits
; Kernel info:
; codeLenInByte = 2492
; NumSgprs: 32
; NumVgprs: 20
; ScratchSize: 0
; MemoryBound: 0
; FloatMode: 240
; IeeeMode: 1
; LDSByteSize: 0 bytes/workgroup (compile time only)
; SGPRBlocks: 3
; VGPRBlocks: 2
; NumSGPRsForWavesPerEU: 32
; NumVGPRsForWavesPerEU: 20
; Occupancy: 16
; WaveLimiterHint : 0
; COMPUTE_PGM_RSRC2:SCRATCH_EN: 0
; COMPUTE_PGM_RSRC2:USER_SGPR: 13
; COMPUTE_PGM_RSRC2:TRAP_HANDLER: 0
; COMPUTE_PGM_RSRC2:TGID_X_EN: 1
; COMPUTE_PGM_RSRC2:TGID_Y_EN: 1
; COMPUTE_PGM_RSRC2:TGID_Z_EN: 1
; COMPUTE_PGM_RSRC2:TIDIG_COMP_CNT: 0
	.section	.text._ZN9rocsolver6v33100L17larf_right_kernelILi1024E19rocblas_complex_numIdEiPS3_EEvT1_S5_T2_lS5_lPKT0_lS6_lS5_l,"axG",@progbits,_ZN9rocsolver6v33100L17larf_right_kernelILi1024E19rocblas_complex_numIdEiPS3_EEvT1_S5_T2_lS5_lPKT0_lS6_lS5_l,comdat
	.globl	_ZN9rocsolver6v33100L17larf_right_kernelILi1024E19rocblas_complex_numIdEiPS3_EEvT1_S5_T2_lS5_lPKT0_lS6_lS5_l ; -- Begin function _ZN9rocsolver6v33100L17larf_right_kernelILi1024E19rocblas_complex_numIdEiPS3_EEvT1_S5_T2_lS5_lPKT0_lS6_lS5_l
	.p2align	8
	.type	_ZN9rocsolver6v33100L17larf_right_kernelILi1024E19rocblas_complex_numIdEiPS3_EEvT1_S5_T2_lS5_lPKT0_lS6_lS5_l,@function
_ZN9rocsolver6v33100L17larf_right_kernelILi1024E19rocblas_complex_numIdEiPS3_EEvT1_S5_T2_lS5_lPKT0_lS6_lS5_l: ; @_ZN9rocsolver6v33100L17larf_right_kernelILi1024E19rocblas_complex_numIdEiPS3_EEvT1_S5_T2_lS5_lPKT0_lS6_lS5_l
; %bb.0:
	s_clause 0x4
	s_load_b32 s24, s[0:1], 0x4
	s_load_b64 s[16:17], s[0:1], 0x50
	s_load_b64 s[20:21], s[0:1], 0x40
	s_load_b32 s12, s[0:1], 0x48
	s_load_b256 s[4:11], s[0:1], 0x20
	v_mov_b32_e32 v1, 0
	v_dual_mov_b32 v2, 0 :: v_dual_lshlrev_b32 v7, 4, v0
	s_mov_b32 s2, s15
	s_ashr_i32 s27, s15, 31
	s_ashr_i32 s15, s14, 31
	s_delay_alu instid0(VALU_DEP_1)
	v_dual_mov_b32 v4, v2 :: v_dual_mov_b32 v3, v1
	s_waitcnt lgkmcnt(0)
	v_cmp_gt_i32_e32 vcc_lo, s24, v0
	s_mul_i32 s3, s16, s27
	s_mul_hi_u32 s25, s16, s2
	s_mul_i32 s26, s17, s2
	s_mul_i32 s22, s16, s2
	s_and_saveexec_b32 s28, vcc_lo
	s_cbranch_execz .LBB140_6
; %bb.1:
	s_clause 0x1
	s_load_b32 s30, s[0:1], 0x18
	s_load_b128 s[16:19], s[0:1], 0x8
	s_sub_i32 s1, 1, s24
	s_mul_i32 s13, s4, s27
	s_mul_hi_u32 s29, s4, s2
	s_mul_i32 s0, s4, s2
	s_mul_i32 s33, s5, s2
	v_add3_u32 v8, v7, 0, 0x200
	v_mov_b32_e32 v4, v0
	s_delay_alu instid0(VALU_DEP_2)
	v_mov_b32_e32 v3, v8
	s_waitcnt lgkmcnt(0)
	s_ashr_i32 s31, s30, 31
	v_mad_i64_i32 v[1:2], null, s30, v0, 0
	v_cmp_lt_i64_e64 s23, s[30:31], 1
	s_mul_i32 s1, s1, s30
	s_delay_alu instid0(VALU_DEP_1)
	s_and_b32 s4, s23, exec_lo
	s_cselect_b32 s4, s1, 0
	s_add_i32 s1, s29, s13
	s_ashr_i32 s5, s4, 31
	s_add_i32 s1, s1, s33
	s_lshl_b64 s[4:5], s[4:5], 4
	s_lshl_b64 s[18:19], s[18:19], 4
	s_lshl_b64 s[0:1], s[0:1], 4
	v_lshlrev_b64 v[1:2], 4, v[1:2]
	s_add_u32 s4, s16, s4
	s_addc_u32 s5, s17, s5
	s_add_u32 s4, s4, s18
	s_addc_u32 s5, s5, s19
	;; [unrolled: 2-line block ×3, first 2 shown]
	v_add_co_u32 v1, s0, s0, v1
	s_delay_alu instid0(VALU_DEP_1)
	v_add_co_ci_u32_e64 v2, s0, s1, v2, s0
	s_mov_b32 s13, 0
	s_lshl_b64 s[4:5], s[30:31], 14
	.p2align	6
.LBB140_2:                              ; =>This Inner Loop Header: Depth=1
	global_load_b128 v[9:12], v[1:2], off
	v_add_nc_u32_e32 v4, 0x400, v4
	v_add_co_u32 v1, s0, v1, s4
	s_delay_alu instid0(VALU_DEP_1) | instskip(NEXT) | instid1(VALU_DEP_3)
	v_add_co_ci_u32_e64 v2, s0, s5, v2, s0
	v_cmp_le_i32_e64 s1, s24, v4
	s_delay_alu instid0(VALU_DEP_1)
	s_or_b32 s13, s1, s13
	s_waitcnt vmcnt(0)
	ds_store_2addr_b64 v3, v[9:10], v[11:12] offset1:1
	v_add_nc_u32_e32 v3, 0x4000, v3
	s_and_not1_b32 exec_lo, exec_lo, s13
	s_cbranch_execnz .LBB140_2
; %bb.3:
	s_or_b32 exec_lo, exec_lo, s13
	v_mad_i64_i32 v[1:2], null, s12, v0, 0
	s_add_i32 s4, s25, s3
	s_ashr_i32 s13, s12, 31
	s_add_i32 s23, s4, s26
	s_lshl_b64 s[4:5], s[14:15], 4
	s_lshl_b64 s[0:1], s[20:21], 4
	s_lshl_b64 s[16:17], s[22:23], 4
	s_delay_alu instid0(VALU_DEP_1)
	v_lshlrev_b64 v[1:2], 4, v[1:2]
	s_add_u32 s4, s10, s4
	s_addc_u32 s5, s11, s5
	s_add_u32 s0, s4, s0
	s_addc_u32 s1, s5, s1
	;; [unrolled: 2-line block ×3, first 2 shown]
	v_add_co_u32 v3, s0, s0, v1
	s_delay_alu instid0(VALU_DEP_1) | instskip(SKIP_2) | instid1(VALU_DEP_4)
	v_add_co_ci_u32_e64 v4, s0, s1, v2, s0
	v_mov_b32_e32 v1, 0
	v_dual_mov_b32 v2, 0 :: v_dual_mov_b32 v9, v0
	v_add_co_u32 v5, s0, v3, 8
	s_delay_alu instid0(VALU_DEP_1) | instskip(NEXT) | instid1(VALU_DEP_3)
	v_add_co_ci_u32_e64 v6, s0, 0, v4, s0
	v_dual_mov_b32 v4, v2 :: v_dual_mov_b32 v3, v1
	s_lshl_b64 s[4:5], s[12:13], 14
	s_mov_b32 s13, 0
	.p2align	6
.LBB140_4:                              ; =>This Inner Loop Header: Depth=1
	global_load_b128 v[10:13], v[5:6], off offset:-8
	ds_load_2addr_b64 v[14:17], v8 offset1:1
	v_add_nc_u32_e32 v9, 0x400, v9
	v_add_co_u32 v5, s1, v5, s4
	v_add_nc_u32_e32 v8, 0x4000, v8
	v_add_co_ci_u32_e64 v6, s1, s5, v6, s1
	s_delay_alu instid0(VALU_DEP_4) | instskip(NEXT) | instid1(VALU_DEP_1)
	v_cmp_le_i32_e64 s0, s24, v9
	s_or_b32 s13, s0, s13
	s_waitcnt vmcnt(0) lgkmcnt(0)
	v_mul_f64 v[18:19], v[16:17], v[12:13]
	v_mul_f64 v[12:13], v[14:15], v[12:13]
	s_delay_alu instid0(VALU_DEP_2) | instskip(NEXT) | instid1(VALU_DEP_2)
	v_fma_f64 v[14:15], v[14:15], v[10:11], -v[18:19]
	v_fma_f64 v[10:11], v[16:17], v[10:11], v[12:13]
	s_delay_alu instid0(VALU_DEP_2) | instskip(NEXT) | instid1(VALU_DEP_2)
	v_add_f64 v[3:4], v[3:4], v[14:15]
	v_add_f64 v[1:2], v[1:2], v[10:11]
	s_and_not1_b32 exec_lo, exec_lo, s13
	s_cbranch_execnz .LBB140_4
; %bb.5:
	s_or_b32 exec_lo, exec_lo, s13
.LBB140_6:
	s_delay_alu instid0(SALU_CYCLE_1) | instskip(SKIP_2) | instid1(VALU_DEP_1)
	s_or_b32 exec_lo, exec_lo, s28
	v_mbcnt_lo_u32_b32 v10, -1, 0
	s_mov_b32 s1, exec_lo
	v_cmp_ne_u32_e64 s0, 31, v10
	s_delay_alu instid0(VALU_DEP_1) | instskip(SKIP_1) | instid1(VALU_DEP_2)
	v_add_co_ci_u32_e64 v5, s0, 0, v10, s0
	v_cmp_gt_u32_e64 s0, 30, v10
	v_lshlrev_b32_e32 v9, 2, v5
	ds_bpermute_b32 v5, v9, v3
	ds_bpermute_b32 v6, v9, v4
	ds_bpermute_b32 v8, v9, v1
	ds_bpermute_b32 v9, v9, v2
	s_waitcnt lgkmcnt(2)
	v_add_f64 v[3:4], v[3:4], v[5:6]
	v_cndmask_b32_e64 v5, 0, 1, s0
	s_waitcnt lgkmcnt(0)
	v_add_f64 v[1:2], v[1:2], v[8:9]
	v_cmp_gt_u32_e64 s0, 28, v10
	s_delay_alu instid0(VALU_DEP_3) | instskip(NEXT) | instid1(VALU_DEP_1)
	v_lshlrev_b32_e32 v5, 1, v5
	v_add_lshl_u32 v9, v5, v10, 2
	ds_bpermute_b32 v5, v9, v3
	ds_bpermute_b32 v6, v9, v4
	ds_bpermute_b32 v8, v9, v1
	ds_bpermute_b32 v9, v9, v2
	s_waitcnt lgkmcnt(2)
	v_add_f64 v[3:4], v[3:4], v[5:6]
	v_cndmask_b32_e64 v5, 0, 1, s0
	s_waitcnt lgkmcnt(0)
	v_add_f64 v[1:2], v[1:2], v[8:9]
	v_cmp_gt_u32_e64 s0, 24, v10
	s_delay_alu instid0(VALU_DEP_3) | instskip(NEXT) | instid1(VALU_DEP_1)
	v_lshlrev_b32_e32 v5, 2, v5
	v_add_lshl_u32 v9, v5, v10, 2
	;; [unrolled: 13-line block ×3, first 2 shown]
	ds_bpermute_b32 v5, v9, v3
	ds_bpermute_b32 v6, v9, v4
	;; [unrolled: 1-line block ×4, first 2 shown]
	s_waitcnt lgkmcnt(2)
	v_add_f64 v[3:4], v[3:4], v[5:6]
	s_waitcnt lgkmcnt(0)
	v_add_f64 v[5:6], v[1:2], v[8:9]
	v_cndmask_b32_e64 v1, 0, 1, s0
	s_delay_alu instid0(VALU_DEP_1) | instskip(NEXT) | instid1(VALU_DEP_1)
	v_lshlrev_b32_e32 v1, 4, v1
	v_add_lshl_u32 v9, v1, v10, 2
	ds_bpermute_b32 v1, v9, v3
	ds_bpermute_b32 v2, v9, v4
	;; [unrolled: 1-line block ×4, first 2 shown]
	s_waitcnt lgkmcnt(2)
	v_add_f64 v[1:2], v[3:4], v[1:2]
	s_waitcnt lgkmcnt(0)
	v_add_f64 v[3:4], v[5:6], v[8:9]
	v_and_b32_e32 v5, 31, v0
	s_delay_alu instid0(VALU_DEP_1)
	v_cmpx_eq_u32_e32 0, v5
	s_cbranch_execz .LBB140_8
; %bb.7:
	v_lshrrev_b32_e32 v5, 1, v0
	s_delay_alu instid0(VALU_DEP_1)
	v_add_nc_u32_e32 v5, 0, v5
	ds_store_2addr_b64 v5, v[1:2], v[3:4] offset1:1
.LBB140_8:
	s_or_b32 exec_lo, exec_lo, s1
	s_delay_alu instid0(SALU_CYCLE_1)
	s_mov_b32 s1, exec_lo
	s_waitcnt lgkmcnt(0)
	s_barrier
	buffer_gl0_inv
	v_cmpx_eq_u32_e32 0, v0
	s_cbranch_execz .LBB140_10
; %bb.9:
	v_mov_b32_e32 v16, 0
	ds_load_2addr_b64 v[8:11], v16 offset0:2 offset1:3
	ds_load_2addr_b64 v[12:15], v16 offset0:4 offset1:5
	s_waitcnt lgkmcnt(1)
	v_add_f64 v[1:2], v[1:2], v[8:9]
	v_add_f64 v[3:4], v[3:4], v[10:11]
	s_waitcnt lgkmcnt(0)
	s_delay_alu instid0(VALU_DEP_2) | instskip(NEXT) | instid1(VALU_DEP_2)
	v_add_f64 v[5:6], v[1:2], v[12:13]
	v_add_f64 v[12:13], v[3:4], v[14:15]
	ds_load_2addr_b64 v[1:4], v16 offset0:6 offset1:7
	ds_load_2addr_b64 v[8:11], v16 offset0:8 offset1:9
	s_waitcnt lgkmcnt(1)
	v_add_f64 v[1:2], v[5:6], v[1:2]
	v_add_f64 v[3:4], v[12:13], v[3:4]
	s_waitcnt lgkmcnt(0)
	s_delay_alu instid0(VALU_DEP_2) | instskip(NEXT) | instid1(VALU_DEP_2)
	v_add_f64 v[5:6], v[1:2], v[8:9]
	v_add_f64 v[12:13], v[3:4], v[10:11]
	;; [unrolled: 9-line block ×15, first 2 shown]
	ds_load_2addr_b64 v[1:4], v16 offset0:62 offset1:63
	s_waitcnt lgkmcnt(0)
	v_add_f64 v[1:2], v[5:6], v[1:2]
	v_add_f64 v[3:4], v[8:9], v[3:4]
	ds_store_2addr_b64 v16, v[1:2], v[3:4] offset1:1
.LBB140_10:
	s_or_b32 exec_lo, exec_lo, s1
	s_waitcnt lgkmcnt(0)
	s_barrier
	buffer_gl0_inv
	s_and_saveexec_b32 s0, vcc_lo
	s_cbranch_execz .LBB140_13
; %bb.11:
	s_mul_i32 s0, s2, s9
	s_mul_hi_u32 s1, s2, s8
	s_mul_i32 s4, s27, s8
	s_add_i32 s0, s1, s0
	v_mov_b32_e32 v1, 0
	s_add_i32 s1, s0, s4
	s_mul_i32 s0, s2, s8
	v_add3_u32 v7, v7, 0, 0x200
	s_lshl_b64 s[0:1], s[0:1], 4
	ds_load_2addr_b64 v[3:6], v1 offset1:1
	s_add_u32 s0, s6, s0
	s_addc_u32 s1, s7, s1
	s_ashr_i32 s13, s12, 31
	s_load_b128 s[4:7], s[0:1], 0x0
	s_add_i32 s0, s25, s3
	s_lshl_b64 s[2:3], s[14:15], 4
	s_add_i32 s23, s0, s26
	s_delay_alu instid0(SALU_CYCLE_1)
	s_lshl_b64 s[0:1], s[22:23], 4
	s_waitcnt lgkmcnt(0)
	v_mul_f64 v[1:2], s[4:5], v[3:4]
	v_mul_f64 v[8:9], s[4:5], v[5:6]
	s_lshl_b64 s[4:5], s[20:21], 4
	s_add_u32 s2, s10, s2
	s_addc_u32 s3, s11, s3
	s_add_u32 s2, s2, s4
	s_addc_u32 s3, s3, s5
	;; [unrolled: 2-line block ×3, first 2 shown]
	s_lshl_b64 s[2:3], s[12:13], 14
	s_delay_alu instid0(VALU_DEP_2) | instskip(NEXT) | instid1(VALU_DEP_2)
	v_fma_f64 v[1:2], s[6:7], v[5:6], -v[1:2]
	v_fma_f64 v[3:4], v[3:4], -s[6:7], -v[8:9]
	v_mad_i64_i32 v[5:6], null, s12, v0, 0
	s_delay_alu instid0(VALU_DEP_1) | instskip(NEXT) | instid1(VALU_DEP_1)
	v_lshlrev_b64 v[5:6], 4, v[5:6]
	v_add_co_u32 v5, vcc_lo, s0, v5
	s_delay_alu instid0(VALU_DEP_2) | instskip(SKIP_1) | instid1(VALU_DEP_2)
	v_add_co_ci_u32_e32 v6, vcc_lo, s1, v6, vcc_lo
	s_mov_b32 s1, 0
	v_add_co_u32 v5, vcc_lo, v5, 8
	s_delay_alu instid0(VALU_DEP_2)
	v_add_co_ci_u32_e32 v6, vcc_lo, 0, v6, vcc_lo
	.p2align	6
.LBB140_12:                             ; =>This Inner Loop Header: Depth=1
	global_load_b128 v[8:11], v[5:6], off offset:-8
	ds_load_2addr_b64 v[12:15], v7 offset1:1
	v_add_nc_u32_e32 v0, 0x400, v0
	v_add_nc_u32_e32 v7, 0x4000, v7
	s_delay_alu instid0(VALU_DEP_2) | instskip(SKIP_4) | instid1(VALU_DEP_2)
	v_cmp_le_i32_e32 vcc_lo, s24, v0
	s_or_b32 s1, vcc_lo, s1
	s_waitcnt lgkmcnt(0)
	v_mul_f64 v[16:17], v[3:4], v[14:15]
	v_mul_f64 v[14:15], v[1:2], v[14:15]
	v_fma_f64 v[16:17], v[1:2], v[12:13], v[16:17]
	s_delay_alu instid0(VALU_DEP_2) | instskip(SKIP_1) | instid1(VALU_DEP_2)
	v_fma_f64 v[12:13], v[3:4], v[12:13], -v[14:15]
	s_waitcnt vmcnt(0)
	v_add_f64 v[8:9], v[8:9], v[16:17]
	s_delay_alu instid0(VALU_DEP_2) | instskip(SKIP_2) | instid1(VALU_DEP_1)
	v_add_f64 v[10:11], v[10:11], v[12:13]
	global_store_b128 v[5:6], v[8:11], off offset:-8
	v_add_co_u32 v5, s0, v5, s2
	v_add_co_ci_u32_e64 v6, s0, s3, v6, s0
	s_and_not1_b32 exec_lo, exec_lo, s1
	s_cbranch_execnz .LBB140_12
.LBB140_13:
	s_nop 0
	s_sendmsg sendmsg(MSG_DEALLOC_VGPRS)
	s_endpgm
	.section	.rodata,"a",@progbits
	.p2align	6, 0x0
	.amdhsa_kernel _ZN9rocsolver6v33100L17larf_right_kernelILi1024E19rocblas_complex_numIdEiPS3_EEvT1_S5_T2_lS5_lPKT0_lS6_lS5_l
		.amdhsa_group_segment_fixed_size 0
		.amdhsa_private_segment_fixed_size 0
		.amdhsa_kernarg_size 88
		.amdhsa_user_sgpr_count 13
		.amdhsa_user_sgpr_dispatch_ptr 0
		.amdhsa_user_sgpr_queue_ptr 0
		.amdhsa_user_sgpr_kernarg_segment_ptr 1
		.amdhsa_user_sgpr_dispatch_id 0
		.amdhsa_user_sgpr_private_segment_size 0
		.amdhsa_wavefront_size32 1
		.amdhsa_uses_dynamic_stack 0
		.amdhsa_enable_private_segment 0
		.amdhsa_system_sgpr_workgroup_id_x 1
		.amdhsa_system_sgpr_workgroup_id_y 1
		.amdhsa_system_sgpr_workgroup_id_z 1
		.amdhsa_system_sgpr_workgroup_info 0
		.amdhsa_system_vgpr_workitem_id 0
		.amdhsa_next_free_vgpr 20
		.amdhsa_next_free_sgpr 34
		.amdhsa_reserve_vcc 1
		.amdhsa_float_round_mode_32 0
		.amdhsa_float_round_mode_16_64 0
		.amdhsa_float_denorm_mode_32 3
		.amdhsa_float_denorm_mode_16_64 3
		.amdhsa_dx10_clamp 1
		.amdhsa_ieee_mode 1
		.amdhsa_fp16_overflow 0
		.amdhsa_workgroup_processor_mode 1
		.amdhsa_memory_ordered 1
		.amdhsa_forward_progress 0
		.amdhsa_shared_vgpr_count 0
		.amdhsa_exception_fp_ieee_invalid_op 0
		.amdhsa_exception_fp_denorm_src 0
		.amdhsa_exception_fp_ieee_div_zero 0
		.amdhsa_exception_fp_ieee_overflow 0
		.amdhsa_exception_fp_ieee_underflow 0
		.amdhsa_exception_fp_ieee_inexact 0
		.amdhsa_exception_int_div_zero 0
	.end_amdhsa_kernel
	.section	.text._ZN9rocsolver6v33100L17larf_right_kernelILi1024E19rocblas_complex_numIdEiPS3_EEvT1_S5_T2_lS5_lPKT0_lS6_lS5_l,"axG",@progbits,_ZN9rocsolver6v33100L17larf_right_kernelILi1024E19rocblas_complex_numIdEiPS3_EEvT1_S5_T2_lS5_lPKT0_lS6_lS5_l,comdat
.Lfunc_end140:
	.size	_ZN9rocsolver6v33100L17larf_right_kernelILi1024E19rocblas_complex_numIdEiPS3_EEvT1_S5_T2_lS5_lPKT0_lS6_lS5_l, .Lfunc_end140-_ZN9rocsolver6v33100L17larf_right_kernelILi1024E19rocblas_complex_numIdEiPS3_EEvT1_S5_T2_lS5_lPKT0_lS6_lS5_l
                                        ; -- End function
	.section	.AMDGPU.csdata,"",@progbits
; Kernel info:
; codeLenInByte = 2520
; NumSgprs: 36
; NumVgprs: 20
; ScratchSize: 0
; MemoryBound: 0
; FloatMode: 240
; IeeeMode: 1
; LDSByteSize: 0 bytes/workgroup (compile time only)
; SGPRBlocks: 4
; VGPRBlocks: 2
; NumSGPRsForWavesPerEU: 36
; NumVGPRsForWavesPerEU: 20
; Occupancy: 16
; WaveLimiterHint : 0
; COMPUTE_PGM_RSRC2:SCRATCH_EN: 0
; COMPUTE_PGM_RSRC2:USER_SGPR: 13
; COMPUTE_PGM_RSRC2:TRAP_HANDLER: 0
; COMPUTE_PGM_RSRC2:TGID_X_EN: 1
; COMPUTE_PGM_RSRC2:TGID_Y_EN: 1
; COMPUTE_PGM_RSRC2:TGID_Z_EN: 1
; COMPUTE_PGM_RSRC2:TIDIG_COMP_CNT: 0
	.section	.text._ZN9rocsolver6v33100L12restore_diagI19rocblas_complex_numIdEidPS3_EEvPT1_llT2_lT0_lS8_,"axG",@progbits,_ZN9rocsolver6v33100L12restore_diagI19rocblas_complex_numIdEidPS3_EEvPT1_llT2_lT0_lS8_,comdat
	.globl	_ZN9rocsolver6v33100L12restore_diagI19rocblas_complex_numIdEidPS3_EEvPT1_llT2_lT0_lS8_ ; -- Begin function _ZN9rocsolver6v33100L12restore_diagI19rocblas_complex_numIdEidPS3_EEvPT1_llT2_lT0_lS8_
	.p2align	8
	.type	_ZN9rocsolver6v33100L12restore_diagI19rocblas_complex_numIdEidPS3_EEvPT1_llT2_lT0_lS8_,@function
_ZN9rocsolver6v33100L12restore_diagI19rocblas_complex_numIdEidPS3_EEvPT1_llT2_lT0_lS8_: ; @_ZN9rocsolver6v33100L12restore_diagI19rocblas_complex_numIdEidPS3_EEvPT1_llT2_lT0_lS8_
; %bb.0:
	s_clause 0x1
	s_load_b32 s2, s[0:1], 0x4c
	s_load_b32 s3, s[0:1], 0x38
	v_bfe_u32 v2, v0, 10, 10
	s_waitcnt lgkmcnt(0)
	s_lshr_b32 s2, s2, 16
	s_delay_alu instid0(VALU_DEP_1) | instid1(SALU_CYCLE_1)
	v_mad_u64_u32 v[0:1], null, s15, s2, v[2:3]
	s_mov_b32 s2, exec_lo
	s_delay_alu instid0(VALU_DEP_1)
	v_cmpx_gt_i32_e64 s3, v0
	s_cbranch_execz .LBB141_2
; %bb.1:
	s_clause 0x3
	s_load_b64 s[2:3], s[0:1], 0x30
	s_load_b256 s[4:11], s[0:1], 0x0
	s_load_b32 s12, s[0:1], 0x28
	s_load_b64 s[0:1], s[0:1], 0x20
	s_ashr_i32 s13, s14, 31
	s_waitcnt lgkmcnt(0)
	s_mul_i32 s3, s14, s3
	s_mul_hi_u32 s15, s14, s2
	s_mul_i32 s16, s13, s2
	s_add_i32 s3, s15, s3
	s_mul_i32 s2, s14, s2
	s_add_i32 s3, s3, s16
	s_mul_i32 s9, s14, s9
	s_lshl_b64 s[2:3], s[2:3], 4
	s_mul_hi_u32 s15, s14, s8
	s_add_u32 s2, s10, s2
	s_addc_u32 s3, s11, s3
	s_lshl_b64 s[0:1], s[0:1], 4
	s_mul_i32 s13, s13, s8
	s_add_u32 s2, s2, s0
	v_mad_u64_u32 v[2:3], null, v0, s12, v[0:1]
	v_ashrrev_i32_e32 v1, 31, v0
	s_addc_u32 s3, s3, s1
	s_add_i32 s1, s15, s9
	s_mul_i32 s0, s14, s8
	s_add_i32 s1, s1, s13
	v_lshlrev_b64 v[0:1], 3, v[0:1]
	s_lshl_b64 s[0:1], s[0:1], 3
	v_ashrrev_i32_e32 v3, 31, v2
	s_add_u32 s4, s4, s0
	s_addc_u32 s5, s5, s1
	s_lshl_b64 s[0:1], s[6:7], 3
	s_delay_alu instid0(SALU_CYCLE_1)
	s_add_u32 s0, s4, s0
	s_addc_u32 s1, s5, s1
	v_add_co_u32 v0, vcc_lo, s0, v0
	v_add_co_ci_u32_e32 v1, vcc_lo, s1, v1, vcc_lo
	v_lshlrev_b64 v[3:4], 4, v[2:3]
	v_mov_b32_e32 v2, 0
	global_load_b64 v[0:1], v[0:1], off
	v_add_co_u32 v5, vcc_lo, s2, v3
	v_add_co_ci_u32_e32 v6, vcc_lo, s3, v4, vcc_lo
	v_mov_b32_e32 v3, v2
	s_waitcnt vmcnt(0)
	global_store_b128 v[5:6], v[0:3], off
.LBB141_2:
	s_nop 0
	s_sendmsg sendmsg(MSG_DEALLOC_VGPRS)
	s_endpgm
	.section	.rodata,"a",@progbits
	.p2align	6, 0x0
	.amdhsa_kernel _ZN9rocsolver6v33100L12restore_diagI19rocblas_complex_numIdEidPS3_EEvPT1_llT2_lT0_lS8_
		.amdhsa_group_segment_fixed_size 0
		.amdhsa_private_segment_fixed_size 0
		.amdhsa_kernarg_size 320
		.amdhsa_user_sgpr_count 14
		.amdhsa_user_sgpr_dispatch_ptr 0
		.amdhsa_user_sgpr_queue_ptr 0
		.amdhsa_user_sgpr_kernarg_segment_ptr 1
		.amdhsa_user_sgpr_dispatch_id 0
		.amdhsa_user_sgpr_private_segment_size 0
		.amdhsa_wavefront_size32 1
		.amdhsa_uses_dynamic_stack 0
		.amdhsa_enable_private_segment 0
		.amdhsa_system_sgpr_workgroup_id_x 1
		.amdhsa_system_sgpr_workgroup_id_y 1
		.amdhsa_system_sgpr_workgroup_id_z 0
		.amdhsa_system_sgpr_workgroup_info 0
		.amdhsa_system_vgpr_workitem_id 1
		.amdhsa_next_free_vgpr 7
		.amdhsa_next_free_sgpr 17
		.amdhsa_reserve_vcc 1
		.amdhsa_float_round_mode_32 0
		.amdhsa_float_round_mode_16_64 0
		.amdhsa_float_denorm_mode_32 3
		.amdhsa_float_denorm_mode_16_64 3
		.amdhsa_dx10_clamp 1
		.amdhsa_ieee_mode 1
		.amdhsa_fp16_overflow 0
		.amdhsa_workgroup_processor_mode 1
		.amdhsa_memory_ordered 1
		.amdhsa_forward_progress 0
		.amdhsa_shared_vgpr_count 0
		.amdhsa_exception_fp_ieee_invalid_op 0
		.amdhsa_exception_fp_denorm_src 0
		.amdhsa_exception_fp_ieee_div_zero 0
		.amdhsa_exception_fp_ieee_overflow 0
		.amdhsa_exception_fp_ieee_underflow 0
		.amdhsa_exception_fp_ieee_inexact 0
		.amdhsa_exception_int_div_zero 0
	.end_amdhsa_kernel
	.section	.text._ZN9rocsolver6v33100L12restore_diagI19rocblas_complex_numIdEidPS3_EEvPT1_llT2_lT0_lS8_,"axG",@progbits,_ZN9rocsolver6v33100L12restore_diagI19rocblas_complex_numIdEidPS3_EEvPT1_llT2_lT0_lS8_,comdat
.Lfunc_end141:
	.size	_ZN9rocsolver6v33100L12restore_diagI19rocblas_complex_numIdEidPS3_EEvPT1_llT2_lT0_lS8_, .Lfunc_end141-_ZN9rocsolver6v33100L12restore_diagI19rocblas_complex_numIdEidPS3_EEvPT1_llT2_lT0_lS8_
                                        ; -- End function
	.section	.AMDGPU.csdata,"",@progbits
; Kernel info:
; codeLenInByte = 308
; NumSgprs: 19
; NumVgprs: 7
; ScratchSize: 0
; MemoryBound: 0
; FloatMode: 240
; IeeeMode: 1
; LDSByteSize: 0 bytes/workgroup (compile time only)
; SGPRBlocks: 2
; VGPRBlocks: 0
; NumSGPRsForWavesPerEU: 19
; NumVGPRsForWavesPerEU: 7
; Occupancy: 16
; WaveLimiterHint : 0
; COMPUTE_PGM_RSRC2:SCRATCH_EN: 0
; COMPUTE_PGM_RSRC2:USER_SGPR: 14
; COMPUTE_PGM_RSRC2:TRAP_HANDLER: 0
; COMPUTE_PGM_RSRC2:TGID_X_EN: 1
; COMPUTE_PGM_RSRC2:TGID_Y_EN: 1
; COMPUTE_PGM_RSRC2:TGID_Z_EN: 0
; COMPUTE_PGM_RSRC2:TIDIG_COMP_CNT: 1
	.section	.text._ZN9rocsolver6v33100L14set_triangularI19rocblas_complex_numIdEPS3_TnNSt9enable_ifIX18rocblas_is_complexIT_EEiE4typeELi0EEEviiT0_iilPS6_lSA_il15rocblas_direct_15rocblas_storev_b,"axG",@progbits,_ZN9rocsolver6v33100L14set_triangularI19rocblas_complex_numIdEPS3_TnNSt9enable_ifIX18rocblas_is_complexIT_EEiE4typeELi0EEEviiT0_iilPS6_lSA_il15rocblas_direct_15rocblas_storev_b,comdat
	.globl	_ZN9rocsolver6v33100L14set_triangularI19rocblas_complex_numIdEPS3_TnNSt9enable_ifIX18rocblas_is_complexIT_EEiE4typeELi0EEEviiT0_iilPS6_lSA_il15rocblas_direct_15rocblas_storev_b ; -- Begin function _ZN9rocsolver6v33100L14set_triangularI19rocblas_complex_numIdEPS3_TnNSt9enable_ifIX18rocblas_is_complexIT_EEiE4typeELi0EEEviiT0_iilPS6_lSA_il15rocblas_direct_15rocblas_storev_b
	.p2align	8
	.type	_ZN9rocsolver6v33100L14set_triangularI19rocblas_complex_numIdEPS3_TnNSt9enable_ifIX18rocblas_is_complexIT_EEiE4typeELi0EEEviiT0_iilPS6_lSA_il15rocblas_direct_15rocblas_storev_b,@function
_ZN9rocsolver6v33100L14set_triangularI19rocblas_complex_numIdEPS3_TnNSt9enable_ifIX18rocblas_is_complexIT_EEiE4typeELi0EEEviiT0_iilPS6_lSA_il15rocblas_direct_15rocblas_storev_b: ; @_ZN9rocsolver6v33100L14set_triangularI19rocblas_complex_numIdEPS3_TnNSt9enable_ifIX18rocblas_is_complexIT_EEiE4typeELi0EEEviiT0_iilPS6_lSA_il15rocblas_direct_15rocblas_storev_b
; %bb.0:
	s_clause 0x1
	s_load_b32 s2, s[0:1], 0x64
	s_load_b64 s[16:17], s[0:1], 0x0
	v_and_b32_e32 v1, 0x3ff, v0
	v_bfe_u32 v2, v0, 10, 10
	s_waitcnt lgkmcnt(0)
	s_lshr_b32 s3, s2, 16
	s_and_b32 s2, s2, 0xffff
	s_delay_alu instid0(VALU_DEP_1) | instid1(SALU_CYCLE_1)
	v_mad_u64_u32 v[6:7], null, s13, s2, v[1:2]
	v_mad_u64_u32 v[0:1], null, s14, s3, v[2:3]
	s_mov_b32 s2, exec_lo
	s_delay_alu instid0(VALU_DEP_1) | instskip(NEXT) | instid1(VALU_DEP_1)
	v_max_u32_e32 v1, v6, v0
	v_cmpx_gt_u32_e64 s17, v1
	s_cbranch_execz .LBB142_36
; %bb.1:
	s_clause 0x2
	s_load_b256 s[4:11], s[0:1], 0x18
	s_load_b64 s[2:3], s[0:1], 0x40
	s_load_b32 s12, s[0:1], 0x38
	s_waitcnt lgkmcnt(0)
	s_mul_i32 s9, s15, s9
	s_mul_hi_u32 s13, s15, s8
	s_mul_i32 s8, s15, s8
	s_add_i32 s9, s13, s9
	s_mul_i32 s3, s15, s3
	s_lshl_b64 s[8:9], s[8:9], 4
	s_mul_hi_u32 s18, s15, s2
	s_add_u32 s13, s6, s8
	s_mul_i32 s2, s15, s2
	s_addc_u32 s14, s7, s9
	s_add_i32 s3, s18, s3
	s_delay_alu instid0(SALU_CYCLE_1) | instskip(NEXT) | instid1(SALU_CYCLE_1)
	s_lshl_b64 s[2:3], s[2:3], 4
	s_add_u32 s6, s10, s2
	s_addc_u32 s7, s11, s3
	s_mov_b32 s2, exec_lo
	v_cmpx_ne_u32_e64 v0, v6
	s_xor_b32 s18, exec_lo, s2
	s_cbranch_execz .LBB142_34
; %bb.2:
	s_clause 0x1
	s_load_b128 s[8:11], s[0:1], 0x8
	s_load_b128 s[0:3], s[0:1], 0x48
	s_waitcnt lgkmcnt(0)
	s_mul_i32 s3, s15, s5
	s_mul_hi_u32 s5, s15, s4
	s_mul_i32 s4, s15, s4
	s_add_i32 s5, s5, s3
	v_mov_b32_e32 v7, 0
	s_lshl_b64 s[4:5], s[4:5], 4
	s_ashr_i32 s21, s10, 31
	s_mov_b32 s20, s10
	s_add_u32 s3, s8, s4
	s_addc_u32 s8, s9, s5
	s_lshl_b64 s[4:5], s[20:21], 4
	s_delay_alu instid0(SALU_CYCLE_1) | instskip(SKIP_3) | instid1(SALU_CYCLE_1)
	s_add_u32 s3, s3, s4
	s_addc_u32 s4, s8, s5
	s_bitcmp1_b32 s2, 0
	s_cselect_b32 s2, -1, 0
	s_xor_b32 s2, s2, -1
	s_cmpk_lg_i32 s0, 0xab
	s_mov_b32 s0, -1
	s_cbranch_scc0 .LBB142_18
; %bb.3:
	s_mov_b32 s0, exec_lo
	v_cmpx_le_u32_e64 v0, v6
	s_xor_b32 s0, exec_lo, s0
	s_cbranch_execz .LBB142_5
; %bb.4:
	v_mad_u64_u32 v[2:3], null, v6, s12, 0
	s_ashr_i32 s5, s12, 31
	s_delay_alu instid0(VALU_DEP_1) | instskip(NEXT) | instid1(VALU_DEP_1)
	v_mov_b32_e32 v1, v3
	v_mad_u64_u32 v[3:4], null, v6, s5, v[1:2]
	v_mov_b32_e32 v1, 0
	s_delay_alu instid0(VALU_DEP_1) | instskip(NEXT) | instid1(VALU_DEP_3)
	v_lshlrev_b64 v[8:9], 4, v[0:1]
	v_lshlrev_b64 v[4:5], 4, v[2:3]
	v_mov_b32_e32 v2, v1
	v_mov_b32_e32 v3, v1
	s_delay_alu instid0(VALU_DEP_3) | instskip(NEXT) | instid1(VALU_DEP_4)
	v_add_co_u32 v10, vcc_lo, s6, v4
	v_add_co_ci_u32_e32 v5, vcc_lo, s7, v5, vcc_lo
	v_mov_b32_e32 v4, v1
	s_delay_alu instid0(VALU_DEP_3) | instskip(NEXT) | instid1(VALU_DEP_3)
	v_add_co_u32 v8, vcc_lo, v10, v8
	v_add_co_ci_u32_e32 v9, vcc_lo, v5, v9, vcc_lo
	v_mov_b32_e32 v5, v1
	global_store_b128 v[8:9], v[2:5], off
.LBB142_5:
	s_and_not1_saveexec_b32 s0, s0
	s_cbranch_execz .LBB142_17
; %bb.6:
	v_lshlrev_b64 v[1:2], 4, v[6:7]
	s_cmpk_lg_i32 s1, 0xb5
	s_mov_b32 s5, -1
	s_delay_alu instid0(VALU_DEP_1) | instskip(NEXT) | instid1(VALU_DEP_2)
	v_add_co_u32 v1, vcc_lo, s13, v1
	v_add_co_ci_u32_e32 v2, vcc_lo, s14, v2, vcc_lo
	global_load_b128 v[2:5], v[1:2], off
	s_cbranch_scc0 .LBB142_12
; %bb.7:
	v_mov_b32_e32 v1, 0
	s_and_not1_b32 vcc_lo, exec_lo, s2
	s_delay_alu instid0(VALU_DEP_1)
	v_lshlrev_b64 v[8:9], 4, v[0:1]
	s_cbranch_vccnz .LBB142_9
; %bb.8:
	s_sub_i32 s5, s16, s17
	v_mad_u64_u32 v[18:19], null, v6, s12, 0
	v_add_nc_u32_e32 v13, s5, v6
	s_ashr_i32 s5, s11, 31
	s_delay_alu instid0(VALU_DEP_1) | instskip(NEXT) | instid1(VALU_DEP_1)
	v_mad_u64_u32 v[10:11], null, v13, s11, 0
	v_mov_b32_e32 v1, v11
	s_waitcnt vmcnt(0)
	s_delay_alu instid0(VALU_DEP_1) | instskip(SKIP_1) | instid1(VALU_DEP_1)
	v_mad_u64_u32 v[11:12], null, v13, s5, v[1:2]
	s_ashr_i32 s5, s12, 31
	v_lshlrev_b64 v[10:11], 4, v[10:11]
	s_delay_alu instid0(VALU_DEP_1) | instskip(NEXT) | instid1(VALU_DEP_2)
	v_add_co_u32 v1, vcc_lo, s3, v10
	v_add_co_ci_u32_e32 v11, vcc_lo, s4, v11, vcc_lo
	s_delay_alu instid0(VALU_DEP_2) | instskip(NEXT) | instid1(VALU_DEP_2)
	v_add_co_u32 v10, vcc_lo, v1, v8
	v_add_co_ci_u32_e32 v11, vcc_lo, v11, v9, vcc_lo
	v_mov_b32_e32 v1, v19
	global_load_b128 v[10:13], v[10:11], off
	s_waitcnt vmcnt(0)
	v_mul_f64 v[14:15], v[2:3], v[10:11]
	v_mul_f64 v[16:17], v[2:3], v[12:13]
	s_delay_alu instid0(VALU_DEP_2) | instskip(NEXT) | instid1(VALU_DEP_2)
	v_fma_f64 v[12:13], v[4:5], v[12:13], -v[14:15]
	v_fma_f64 v[14:15], v[10:11], -v[4:5], -v[16:17]
	v_mad_u64_u32 v[10:11], null, v6, s5, v[1:2]
	s_mov_b32 s5, 0
	s_delay_alu instid0(VALU_DEP_1) | instskip(NEXT) | instid1(VALU_DEP_1)
	v_mov_b32_e32 v19, v10
	v_lshlrev_b64 v[10:11], 4, v[18:19]
	s_delay_alu instid0(VALU_DEP_1) | instskip(NEXT) | instid1(VALU_DEP_2)
	v_add_co_u32 v1, vcc_lo, s6, v10
	v_add_co_ci_u32_e32 v11, vcc_lo, s7, v11, vcc_lo
	s_delay_alu instid0(VALU_DEP_2) | instskip(NEXT) | instid1(VALU_DEP_2)
	v_add_co_u32 v10, vcc_lo, v1, v8
	v_add_co_ci_u32_e32 v11, vcc_lo, v11, v9, vcc_lo
	global_store_b128 v[10:11], v[12:15], off
.LBB142_9:
	s_and_not1_b32 vcc_lo, exec_lo, s5
	s_cbranch_vccnz .LBB142_11
; %bb.10:
	v_mad_u64_u32 v[10:11], null, v6, s12, 0
	s_sub_i32 s5, s16, s17
	s_delay_alu instid0(SALU_CYCLE_1) | instskip(SKIP_1) | instid1(VALU_DEP_2)
	v_add_nc_u32_e32 v16, s5, v6
	s_ashr_i32 s5, s12, 31
	v_mov_b32_e32 v1, v11
	s_delay_alu instid0(VALU_DEP_2) | instskip(NEXT) | instid1(VALU_DEP_1)
	v_mad_u64_u32 v[12:13], null, v16, s11, 0
	v_mov_b32_e32 v11, v13
	s_waitcnt vmcnt(0)
	s_delay_alu instid0(VALU_DEP_3)
	v_mad_u64_u32 v[13:14], null, v6, s5, v[1:2]
	s_ashr_i32 s5, s11, 31
	s_delay_alu instid0(VALU_DEP_2) | instid1(SALU_CYCLE_1)
	v_mad_u64_u32 v[14:15], null, v16, s5, v[11:12]
	s_delay_alu instid0(VALU_DEP_2) | instskip(NEXT) | instid1(VALU_DEP_2)
	v_mov_b32_e32 v11, v13
	v_mov_b32_e32 v13, v14
	s_delay_alu instid0(VALU_DEP_2) | instskip(NEXT) | instid1(VALU_DEP_2)
	v_lshlrev_b64 v[10:11], 4, v[10:11]
	v_lshlrev_b64 v[12:13], 4, v[12:13]
	s_delay_alu instid0(VALU_DEP_2) | instskip(NEXT) | instid1(VALU_DEP_3)
	v_add_co_u32 v1, vcc_lo, s6, v10
	v_add_co_ci_u32_e32 v10, vcc_lo, s7, v11, vcc_lo
	s_delay_alu instid0(VALU_DEP_3) | instskip(NEXT) | instid1(VALU_DEP_4)
	v_add_co_u32 v11, vcc_lo, s3, v12
	v_add_co_ci_u32_e32 v13, vcc_lo, s4, v13, vcc_lo
	s_delay_alu instid0(VALU_DEP_4) | instskip(NEXT) | instid1(VALU_DEP_4)
	v_add_co_u32 v16, vcc_lo, v1, v8
	v_add_co_ci_u32_e32 v17, vcc_lo, v10, v9, vcc_lo
	s_delay_alu instid0(VALU_DEP_4) | instskip(NEXT) | instid1(VALU_DEP_4)
	v_add_co_u32 v12, vcc_lo, v11, v8
	v_add_co_ci_u32_e32 v13, vcc_lo, v13, v9, vcc_lo
	global_load_b128 v[8:11], v[16:17], off
	global_load_b128 v[12:15], v[12:13], off
	s_waitcnt vmcnt(0)
	v_add_f64 v[12:13], v[12:13], v[8:9]
	v_add_f64 v[8:9], v[14:15], v[10:11]
	s_delay_alu instid0(VALU_DEP_2) | instskip(NEXT) | instid1(VALU_DEP_2)
	v_mul_f64 v[10:11], v[2:3], v[12:13]
	v_mul_f64 v[14:15], v[2:3], v[8:9]
	s_delay_alu instid0(VALU_DEP_2) | instskip(NEXT) | instid1(VALU_DEP_2)
	v_fma_f64 v[8:9], v[4:5], v[8:9], -v[10:11]
	v_fma_f64 v[10:11], v[12:13], -v[4:5], -v[14:15]
	global_store_b128 v[16:17], v[8:11], off
.LBB142_11:
	s_mov_b32 s5, 0
.LBB142_12:
	s_delay_alu instid0(SALU_CYCLE_1)
	s_and_not1_b32 vcc_lo, exec_lo, s5
	s_cbranch_vccnz .LBB142_17
; %bb.13:
	s_and_not1_b32 vcc_lo, exec_lo, s2
	s_mov_b32 s5, -1
	s_cbranch_vccnz .LBB142_15
; %bb.14:
	v_mad_u64_u32 v[8:9], null, v0, s11, 0
	s_ashr_i32 s5, s11, 31
	v_mad_u64_u32 v[17:18], null, v6, s12, 0
	s_delay_alu instid0(VALU_DEP_2) | instskip(SKIP_1) | instid1(VALU_DEP_1)
	v_dual_mov_b32 v12, 0 :: v_dual_mov_b32 v1, v9
	s_waitcnt vmcnt(0)
	v_mad_u64_u32 v[9:10], null, v0, s5, v[1:2]
	s_sub_i32 s5, s16, s17
	s_delay_alu instid0(SALU_CYCLE_1) | instskip(SKIP_1) | instid1(VALU_DEP_2)
	v_add_nc_u32_e32 v11, s5, v6
	s_ashr_i32 s5, s12, 31
	v_lshlrev_b64 v[8:9], 4, v[8:9]
	s_delay_alu instid0(VALU_DEP_2) | instskip(NEXT) | instid1(VALU_DEP_2)
	v_lshlrev_b64 v[10:11], 4, v[11:12]
	v_add_co_u32 v1, vcc_lo, s3, v8
	s_delay_alu instid0(VALU_DEP_3) | instskip(NEXT) | instid1(VALU_DEP_2)
	v_add_co_ci_u32_e32 v9, vcc_lo, s4, v9, vcc_lo
	v_add_co_u32 v8, vcc_lo, v1, v10
	s_delay_alu instid0(VALU_DEP_2)
	v_add_co_ci_u32_e32 v9, vcc_lo, v9, v11, vcc_lo
	v_mov_b32_e32 v1, v18
	global_load_b128 v[8:11], v[8:9], off
	s_waitcnt vmcnt(0)
	v_mul_f64 v[13:14], v[4:5], v[10:11]
	v_mul_f64 v[15:16], v[4:5], v[8:9]
	s_delay_alu instid0(VALU_DEP_2) | instskip(NEXT) | instid1(VALU_DEP_2)
	v_fma_f64 v[8:9], v[8:9], -v[2:3], -v[13:14]
	v_fma_f64 v[10:11], v[2:3], v[10:11], -v[15:16]
	v_mad_u64_u32 v[13:14], null, v6, s5, v[1:2]
	v_mov_b32_e32 v1, v12
	s_mov_b32 s5, 0
	s_delay_alu instid0(VALU_DEP_1) | instskip(NEXT) | instid1(VALU_DEP_3)
	v_lshlrev_b64 v[14:15], 4, v[0:1]
	v_mov_b32_e32 v18, v13
	s_delay_alu instid0(VALU_DEP_1) | instskip(NEXT) | instid1(VALU_DEP_1)
	v_lshlrev_b64 v[12:13], 4, v[17:18]
	v_add_co_u32 v1, vcc_lo, s6, v12
	s_delay_alu instid0(VALU_DEP_2) | instskip(NEXT) | instid1(VALU_DEP_2)
	v_add_co_ci_u32_e32 v13, vcc_lo, s7, v13, vcc_lo
	v_add_co_u32 v12, vcc_lo, v1, v14
	s_delay_alu instid0(VALU_DEP_2)
	v_add_co_ci_u32_e32 v13, vcc_lo, v13, v15, vcc_lo
	global_store_b128 v[12:13], v[8:11], off
.LBB142_15:
	s_and_not1_b32 vcc_lo, exec_lo, s5
	s_cbranch_vccnz .LBB142_17
; %bb.16:
	v_mad_u64_u32 v[8:9], null, v0, s11, 0
	v_mad_u64_u32 v[10:11], null, v6, s12, 0
	s_ashr_i32 s5, s11, 31
	s_delay_alu instid0(VALU_DEP_2) | instskip(NEXT) | instid1(VALU_DEP_2)
	v_mov_b32_e32 v1, v9
	v_mov_b32_e32 v9, v11
	s_waitcnt vmcnt(0)
	s_delay_alu instid0(VALU_DEP_2) | instskip(SKIP_2) | instid1(VALU_DEP_1)
	v_mad_u64_u32 v[11:12], null, v0, s5, v[1:2]
	v_mov_b32_e32 v1, 0
	s_ashr_i32 s5, s12, 31
	v_mov_b32_e32 v14, v1
	v_mad_u64_u32 v[12:13], null, v6, s5, v[9:10]
	s_delay_alu instid0(VALU_DEP_4) | instskip(SKIP_3) | instid1(VALU_DEP_3)
	v_mov_b32_e32 v9, v11
	s_sub_i32 s5, s16, s17
	v_lshlrev_b64 v[15:16], 4, v[0:1]
	v_add_nc_u32_e32 v13, s5, v6
	v_lshlrev_b64 v[8:9], 4, v[8:9]
	v_mov_b32_e32 v11, v12
	s_delay_alu instid0(VALU_DEP_3) | instskip(NEXT) | instid1(VALU_DEP_2)
	v_lshlrev_b64 v[12:13], 4, v[13:14]
	v_lshlrev_b64 v[10:11], 4, v[10:11]
	s_delay_alu instid0(VALU_DEP_4) | instskip(SKIP_1) | instid1(VALU_DEP_3)
	v_add_co_u32 v1, vcc_lo, s3, v8
	v_add_co_ci_u32_e32 v9, vcc_lo, s4, v9, vcc_lo
	v_add_co_u32 v10, vcc_lo, s6, v10
	s_delay_alu instid0(VALU_DEP_4) | instskip(NEXT) | instid1(VALU_DEP_4)
	v_add_co_ci_u32_e32 v11, vcc_lo, s7, v11, vcc_lo
	v_add_co_u32 v8, vcc_lo, v1, v12
	s_delay_alu instid0(VALU_DEP_4) | instskip(NEXT) | instid1(VALU_DEP_4)
	v_add_co_ci_u32_e32 v9, vcc_lo, v9, v13, vcc_lo
	v_add_co_u32 v17, vcc_lo, v10, v15
	s_delay_alu instid0(VALU_DEP_4)
	v_add_co_ci_u32_e32 v18, vcc_lo, v11, v16, vcc_lo
	global_load_b128 v[8:11], v[8:9], off
	global_load_b128 v[12:15], v[17:18], off
	s_waitcnt vmcnt(0)
	v_add_f64 v[8:9], v[8:9], v[12:13]
	v_add_f64 v[10:11], v[14:15], -v[10:11]
	s_delay_alu instid0(VALU_DEP_2) | instskip(NEXT) | instid1(VALU_DEP_2)
	v_mul_f64 v[12:13], v[2:3], v[8:9]
	v_mul_f64 v[14:15], v[2:3], v[10:11]
	s_delay_alu instid0(VALU_DEP_2) | instskip(NEXT) | instid1(VALU_DEP_2)
	v_fma_f64 v[1:2], v[4:5], v[10:11], -v[12:13]
	v_fma_f64 v[3:4], v[8:9], -v[4:5], -v[14:15]
	global_store_b128 v[17:18], v[1:4], off
.LBB142_17:
	s_or_b32 exec_lo, exec_lo, s0
	s_mov_b32 s0, 0
.LBB142_18:
	s_delay_alu instid0(SALU_CYCLE_1)
	s_and_not1_b32 vcc_lo, exec_lo, s0
	s_cbranch_vccnz .LBB142_34
; %bb.19:
	s_mov_b32 s0, exec_lo
	v_cmpx_ge_u32_e64 v0, v6
	s_xor_b32 s0, exec_lo, s0
	s_cbranch_execz .LBB142_21
; %bb.20:
	s_waitcnt vmcnt(0)
	v_mad_u64_u32 v[2:3], null, v6, s12, 0
	s_ashr_i32 s5, s12, 31
	s_delay_alu instid0(VALU_DEP_1) | instskip(NEXT) | instid1(VALU_DEP_1)
	v_mov_b32_e32 v1, v3
	v_mad_u64_u32 v[3:4], null, v6, s5, v[1:2]
	v_mov_b32_e32 v1, 0
	s_delay_alu instid0(VALU_DEP_1) | instskip(NEXT) | instid1(VALU_DEP_3)
	v_lshlrev_b64 v[4:5], 4, v[0:1]
	v_lshlrev_b64 v[2:3], 4, v[2:3]
	v_mov_b32_e32 v0, v1
	s_delay_alu instid0(VALU_DEP_2) | instskip(NEXT) | instid1(VALU_DEP_3)
	v_add_co_u32 v6, vcc_lo, s6, v2
	v_add_co_ci_u32_e32 v3, vcc_lo, s7, v3, vcc_lo
	v_mov_b32_e32 v2, v1
	s_delay_alu instid0(VALU_DEP_3) | instskip(NEXT) | instid1(VALU_DEP_3)
	v_add_co_u32 v4, vcc_lo, v6, v4
	v_add_co_ci_u32_e32 v5, vcc_lo, v3, v5, vcc_lo
	v_mov_b32_e32 v3, v1
                                        ; implicit-def: $vgpr6_vgpr7
	global_store_b128 v[4:5], v[0:3], off
                                        ; implicit-def: $vgpr0_vgpr1
.LBB142_21:
	s_and_not1_saveexec_b32 s0, s0
	s_cbranch_execz .LBB142_33
; %bb.22:
	v_lshlrev_b64 v[7:8], 4, v[6:7]
	s_cmpk_lg_i32 s1, 0xb5
	s_mov_b32 s1, -1
	s_delay_alu instid0(VALU_DEP_1) | instskip(SKIP_1) | instid1(VALU_DEP_2)
	v_add_co_u32 v1, vcc_lo, s13, v7
	s_waitcnt vmcnt(0)
	v_add_co_ci_u32_e32 v2, vcc_lo, s14, v8, vcc_lo
	global_load_b128 v[2:5], v[1:2], off
	v_cndmask_b32_e64 v1, 0, 1, s2
	s_delay_alu instid0(VALU_DEP_1)
	v_cmp_ne_u32_e32 vcc_lo, 1, v1
	s_cbranch_scc0 .LBB142_28
; %bb.23:
	v_mov_b32_e32 v1, 0
	s_and_b32 vcc_lo, exec_lo, vcc_lo
	s_delay_alu instid0(VALU_DEP_1)
	v_lshlrev_b64 v[9:10], 4, v[0:1]
	s_cbranch_vccnz .LBB142_25
; %bb.24:
	v_mad_u64_u32 v[11:12], null, v6, s11, 0
	s_ashr_i32 s1, s11, 31
	v_mad_u64_u32 v[19:20], null, v6, s12, 0
	s_delay_alu instid0(VALU_DEP_2) | instskip(SKIP_1) | instid1(VALU_DEP_1)
	v_mov_b32_e32 v1, v12
	s_waitcnt vmcnt(0)
	v_mad_u64_u32 v[12:13], null, v6, s1, v[1:2]
	s_ashr_i32 s1, s12, 31
	s_delay_alu instid0(VALU_DEP_1) | instskip(NEXT) | instid1(VALU_DEP_1)
	v_lshlrev_b64 v[11:12], 4, v[11:12]
	v_add_co_u32 v1, vcc_lo, s3, v11
	s_delay_alu instid0(VALU_DEP_2) | instskip(NEXT) | instid1(VALU_DEP_2)
	v_add_co_ci_u32_e32 v12, vcc_lo, s4, v12, vcc_lo
	v_add_co_u32 v11, vcc_lo, v1, v9
	s_delay_alu instid0(VALU_DEP_2)
	v_add_co_ci_u32_e32 v12, vcc_lo, v12, v10, vcc_lo
	v_mov_b32_e32 v1, v20
	global_load_b128 v[11:14], v[11:12], off
	s_waitcnt vmcnt(0)
	v_mul_f64 v[15:16], v[2:3], v[11:12]
	v_mul_f64 v[17:18], v[2:3], v[13:14]
	s_delay_alu instid0(VALU_DEP_2) | instskip(NEXT) | instid1(VALU_DEP_2)
	v_fma_f64 v[13:14], v[4:5], v[13:14], -v[15:16]
	v_fma_f64 v[15:16], v[11:12], -v[4:5], -v[17:18]
	v_mad_u64_u32 v[11:12], null, v6, s1, v[1:2]
	s_mov_b32 s1, 0
	s_delay_alu instid0(VALU_DEP_1) | instskip(NEXT) | instid1(VALU_DEP_1)
	v_mov_b32_e32 v20, v11
	v_lshlrev_b64 v[11:12], 4, v[19:20]
	s_delay_alu instid0(VALU_DEP_1) | instskip(NEXT) | instid1(VALU_DEP_2)
	v_add_co_u32 v1, vcc_lo, s6, v11
	v_add_co_ci_u32_e32 v12, vcc_lo, s7, v12, vcc_lo
	s_delay_alu instid0(VALU_DEP_2) | instskip(NEXT) | instid1(VALU_DEP_2)
	v_add_co_u32 v11, vcc_lo, v1, v9
	v_add_co_ci_u32_e32 v12, vcc_lo, v12, v10, vcc_lo
	global_store_b128 v[11:12], v[13:16], off
.LBB142_25:
	s_and_not1_b32 vcc_lo, exec_lo, s1
	s_cbranch_vccnz .LBB142_27
; %bb.26:
	v_mad_u64_u32 v[11:12], null, v6, s11, 0
	v_mad_u64_u32 v[13:14], null, v6, s12, 0
	s_ashr_i32 s1, s11, 31
	s_delay_alu instid0(VALU_DEP_1) | instskip(SKIP_1) | instid1(VALU_DEP_1)
	v_dual_mov_b32 v1, v12 :: v_dual_mov_b32 v12, v14
	s_waitcnt vmcnt(0)
	v_mad_u64_u32 v[14:15], null, v6, s1, v[1:2]
	s_ashr_i32 s1, s12, 31
	s_delay_alu instid0(VALU_DEP_2) | instid1(SALU_CYCLE_1)
	v_mad_u64_u32 v[15:16], null, v6, s1, v[12:13]
	s_delay_alu instid0(VALU_DEP_2) | instskip(NEXT) | instid1(VALU_DEP_2)
	v_mov_b32_e32 v12, v14
	v_mov_b32_e32 v14, v15
	s_delay_alu instid0(VALU_DEP_2) | instskip(NEXT) | instid1(VALU_DEP_2)
	v_lshlrev_b64 v[11:12], 4, v[11:12]
	v_lshlrev_b64 v[13:14], 4, v[13:14]
	s_delay_alu instid0(VALU_DEP_2) | instskip(NEXT) | instid1(VALU_DEP_3)
	v_add_co_u32 v1, vcc_lo, s3, v11
	v_add_co_ci_u32_e32 v12, vcc_lo, s4, v12, vcc_lo
	s_delay_alu instid0(VALU_DEP_3) | instskip(NEXT) | instid1(VALU_DEP_4)
	v_add_co_u32 v13, vcc_lo, s6, v13
	v_add_co_ci_u32_e32 v14, vcc_lo, s7, v14, vcc_lo
	s_delay_alu instid0(VALU_DEP_4) | instskip(NEXT) | instid1(VALU_DEP_4)
	v_add_co_u32 v11, vcc_lo, v1, v9
	v_add_co_ci_u32_e32 v12, vcc_lo, v12, v10, vcc_lo
	s_delay_alu instid0(VALU_DEP_4) | instskip(NEXT) | instid1(VALU_DEP_4)
	v_add_co_u32 v17, vcc_lo, v13, v9
	v_add_co_ci_u32_e32 v18, vcc_lo, v14, v10, vcc_lo
	global_load_b128 v[9:12], v[11:12], off
	global_load_b128 v[13:16], v[17:18], off
	s_waitcnt vmcnt(0)
	v_add_f64 v[13:14], v[9:10], v[13:14]
	v_add_f64 v[9:10], v[11:12], v[15:16]
	s_delay_alu instid0(VALU_DEP_2) | instskip(NEXT) | instid1(VALU_DEP_2)
	v_mul_f64 v[11:12], v[2:3], v[13:14]
	v_mul_f64 v[15:16], v[2:3], v[9:10]
	s_delay_alu instid0(VALU_DEP_2) | instskip(NEXT) | instid1(VALU_DEP_2)
	v_fma_f64 v[9:10], v[4:5], v[9:10], -v[11:12]
	v_fma_f64 v[11:12], v[13:14], -v[4:5], -v[15:16]
	global_store_b128 v[17:18], v[9:12], off
.LBB142_27:
	s_mov_b32 s1, 0
.LBB142_28:
	s_delay_alu instid0(SALU_CYCLE_1)
	s_and_not1_b32 vcc_lo, exec_lo, s1
	s_cbranch_vccnz .LBB142_33
; %bb.29:
	v_mov_b32_e32 v1, 0
	s_and_not1_b32 vcc_lo, exec_lo, s2
	s_mov_b32 s1, -1
	s_delay_alu instid0(VALU_DEP_1)
	v_lshlrev_b64 v[9:10], 4, v[0:1]
	s_cbranch_vccnz .LBB142_31
; %bb.30:
	v_mad_u64_u32 v[11:12], null, v0, s11, 0
	s_ashr_i32 s1, s11, 31
	v_mad_u64_u32 v[19:20], null, v6, s12, 0
	s_delay_alu instid0(VALU_DEP_2) | instskip(SKIP_1) | instid1(VALU_DEP_1)
	v_mov_b32_e32 v1, v12
	s_waitcnt vmcnt(0)
	v_mad_u64_u32 v[12:13], null, v0, s1, v[1:2]
	s_ashr_i32 s1, s12, 31
	s_delay_alu instid0(VALU_DEP_1) | instskip(NEXT) | instid1(VALU_DEP_1)
	v_lshlrev_b64 v[11:12], 4, v[11:12]
	v_add_co_u32 v1, vcc_lo, s3, v11
	s_delay_alu instid0(VALU_DEP_2) | instskip(NEXT) | instid1(VALU_DEP_2)
	v_add_co_ci_u32_e32 v12, vcc_lo, s4, v12, vcc_lo
	v_add_co_u32 v11, vcc_lo, v1, v7
	s_delay_alu instid0(VALU_DEP_2)
	v_add_co_ci_u32_e32 v12, vcc_lo, v12, v8, vcc_lo
	v_mov_b32_e32 v1, v20
	global_load_b128 v[11:14], v[11:12], off
	s_waitcnt vmcnt(0)
	v_mul_f64 v[15:16], v[4:5], v[13:14]
	v_mul_f64 v[17:18], v[4:5], v[11:12]
	s_delay_alu instid0(VALU_DEP_2) | instskip(NEXT) | instid1(VALU_DEP_2)
	v_fma_f64 v[11:12], v[11:12], -v[2:3], -v[15:16]
	v_fma_f64 v[13:14], v[2:3], v[13:14], -v[17:18]
	v_mad_u64_u32 v[15:16], null, v6, s1, v[1:2]
	s_mov_b32 s1, 0
	s_delay_alu instid0(VALU_DEP_1) | instskip(NEXT) | instid1(VALU_DEP_1)
	v_mov_b32_e32 v20, v15
	v_lshlrev_b64 v[15:16], 4, v[19:20]
	s_delay_alu instid0(VALU_DEP_1) | instskip(NEXT) | instid1(VALU_DEP_2)
	v_add_co_u32 v1, vcc_lo, s6, v15
	v_add_co_ci_u32_e32 v16, vcc_lo, s7, v16, vcc_lo
	s_delay_alu instid0(VALU_DEP_2) | instskip(NEXT) | instid1(VALU_DEP_2)
	v_add_co_u32 v15, vcc_lo, v1, v9
	v_add_co_ci_u32_e32 v16, vcc_lo, v16, v10, vcc_lo
	global_store_b128 v[15:16], v[11:14], off
.LBB142_31:
	s_and_not1_b32 vcc_lo, exec_lo, s1
	s_cbranch_vccnz .LBB142_33
; %bb.32:
	v_mad_u64_u32 v[11:12], null, v0, s11, 0
	v_mad_u64_u32 v[13:14], null, v6, s12, 0
	s_ashr_i32 s1, s11, 31
	s_delay_alu instid0(VALU_DEP_1) | instskip(SKIP_1) | instid1(VALU_DEP_1)
	v_dual_mov_b32 v1, v12 :: v_dual_mov_b32 v12, v14
	s_waitcnt vmcnt(0)
	v_mad_u64_u32 v[14:15], null, v0, s1, v[1:2]
	s_ashr_i32 s1, s12, 31
	s_delay_alu instid0(VALU_DEP_2) | instid1(SALU_CYCLE_1)
	v_mad_u64_u32 v[0:1], null, v6, s1, v[12:13]
	s_delay_alu instid0(VALU_DEP_2) | instskip(NEXT) | instid1(VALU_DEP_2)
	v_mov_b32_e32 v12, v14
	v_mov_b32_e32 v14, v0
	s_delay_alu instid0(VALU_DEP_2) | instskip(NEXT) | instid1(VALU_DEP_2)
	v_lshlrev_b64 v[0:1], 4, v[11:12]
	v_lshlrev_b64 v[11:12], 4, v[13:14]
	s_delay_alu instid0(VALU_DEP_2) | instskip(NEXT) | instid1(VALU_DEP_3)
	v_add_co_u32 v0, vcc_lo, s3, v0
	v_add_co_ci_u32_e32 v1, vcc_lo, s4, v1, vcc_lo
	s_delay_alu instid0(VALU_DEP_3) | instskip(NEXT) | instid1(VALU_DEP_4)
	v_add_co_u32 v6, vcc_lo, s6, v11
	v_add_co_ci_u32_e32 v11, vcc_lo, s7, v12, vcc_lo
	s_delay_alu instid0(VALU_DEP_4) | instskip(NEXT) | instid1(VALU_DEP_4)
	v_add_co_u32 v0, vcc_lo, v0, v7
	v_add_co_ci_u32_e32 v1, vcc_lo, v1, v8, vcc_lo
	s_delay_alu instid0(VALU_DEP_4) | instskip(NEXT) | instid1(VALU_DEP_4)
	v_add_co_u32 v14, vcc_lo, v6, v9
	v_add_co_ci_u32_e32 v15, vcc_lo, v11, v10, vcc_lo
	global_load_b128 v[6:9], v[0:1], off
	global_load_b128 v[10:13], v[14:15], off
	s_waitcnt vmcnt(0)
	v_add_f64 v[6:7], v[6:7], v[10:11]
	v_add_f64 v[0:1], v[12:13], -v[8:9]
	s_delay_alu instid0(VALU_DEP_2) | instskip(NEXT) | instid1(VALU_DEP_2)
	v_mul_f64 v[8:9], v[2:3], v[6:7]
	v_mul_f64 v[2:3], v[2:3], v[0:1]
	s_delay_alu instid0(VALU_DEP_2) | instskip(NEXT) | instid1(VALU_DEP_2)
	v_fma_f64 v[0:1], v[4:5], v[0:1], -v[8:9]
	v_fma_f64 v[2:3], v[6:7], -v[4:5], -v[2:3]
	global_store_b128 v[14:15], v[0:3], off
.LBB142_33:
	s_or_b32 exec_lo, exec_lo, s0
                                        ; implicit-def: $vgpr6_vgpr7
.LBB142_34:
	s_and_not1_saveexec_b32 s0, s18
	s_cbranch_execz .LBB142_36
; %bb.35:
	v_mov_b32_e32 v7, 0
	s_ashr_i32 s0, s12, 31
	s_waitcnt vmcnt(0)
	s_delay_alu instid0(VALU_DEP_1) | instskip(SKIP_1) | instid1(VALU_DEP_2)
	v_lshlrev_b64 v[4:5], 4, v[6:7]
	v_mad_u64_u32 v[7:8], null, v6, s12, 0
	v_add_co_u32 v0, vcc_lo, s13, v4
	s_delay_alu instid0(VALU_DEP_3) | instskip(NEXT) | instid1(VALU_DEP_3)
	v_add_co_ci_u32_e32 v1, vcc_lo, s14, v5, vcc_lo
	v_mad_u64_u32 v[9:10], null, v6, s0, v[8:9]
	global_load_b128 v[0:3], v[0:1], off
	v_mov_b32_e32 v8, v9
	s_delay_alu instid0(VALU_DEP_1) | instskip(NEXT) | instid1(VALU_DEP_1)
	v_lshlrev_b64 v[6:7], 4, v[7:8]
	v_add_co_u32 v6, vcc_lo, s6, v6
	s_delay_alu instid0(VALU_DEP_2) | instskip(NEXT) | instid1(VALU_DEP_2)
	v_add_co_ci_u32_e32 v7, vcc_lo, s7, v7, vcc_lo
	v_add_co_u32 v4, vcc_lo, v6, v4
	s_delay_alu instid0(VALU_DEP_2)
	v_add_co_ci_u32_e32 v5, vcc_lo, v7, v5, vcc_lo
	s_waitcnt vmcnt(0)
	global_store_b128 v[4:5], v[0:3], off
.LBB142_36:
	s_nop 0
	s_sendmsg sendmsg(MSG_DEALLOC_VGPRS)
	s_endpgm
	.section	.rodata,"a",@progbits
	.p2align	6, 0x0
	.amdhsa_kernel _ZN9rocsolver6v33100L14set_triangularI19rocblas_complex_numIdEPS3_TnNSt9enable_ifIX18rocblas_is_complexIT_EEiE4typeELi0EEEviiT0_iilPS6_lSA_il15rocblas_direct_15rocblas_storev_b
		.amdhsa_group_segment_fixed_size 0
		.amdhsa_private_segment_fixed_size 0
		.amdhsa_kernarg_size 344
		.amdhsa_user_sgpr_count 13
		.amdhsa_user_sgpr_dispatch_ptr 0
		.amdhsa_user_sgpr_queue_ptr 0
		.amdhsa_user_sgpr_kernarg_segment_ptr 1
		.amdhsa_user_sgpr_dispatch_id 0
		.amdhsa_user_sgpr_private_segment_size 0
		.amdhsa_wavefront_size32 1
		.amdhsa_uses_dynamic_stack 0
		.amdhsa_enable_private_segment 0
		.amdhsa_system_sgpr_workgroup_id_x 1
		.amdhsa_system_sgpr_workgroup_id_y 1
		.amdhsa_system_sgpr_workgroup_id_z 1
		.amdhsa_system_sgpr_workgroup_info 0
		.amdhsa_system_vgpr_workitem_id 1
		.amdhsa_next_free_vgpr 21
		.amdhsa_next_free_sgpr 22
		.amdhsa_reserve_vcc 1
		.amdhsa_float_round_mode_32 0
		.amdhsa_float_round_mode_16_64 0
		.amdhsa_float_denorm_mode_32 3
		.amdhsa_float_denorm_mode_16_64 3
		.amdhsa_dx10_clamp 1
		.amdhsa_ieee_mode 1
		.amdhsa_fp16_overflow 0
		.amdhsa_workgroup_processor_mode 1
		.amdhsa_memory_ordered 1
		.amdhsa_forward_progress 0
		.amdhsa_shared_vgpr_count 0
		.amdhsa_exception_fp_ieee_invalid_op 0
		.amdhsa_exception_fp_denorm_src 0
		.amdhsa_exception_fp_ieee_div_zero 0
		.amdhsa_exception_fp_ieee_overflow 0
		.amdhsa_exception_fp_ieee_underflow 0
		.amdhsa_exception_fp_ieee_inexact 0
		.amdhsa_exception_int_div_zero 0
	.end_amdhsa_kernel
	.section	.text._ZN9rocsolver6v33100L14set_triangularI19rocblas_complex_numIdEPS3_TnNSt9enable_ifIX18rocblas_is_complexIT_EEiE4typeELi0EEEviiT0_iilPS6_lSA_il15rocblas_direct_15rocblas_storev_b,"axG",@progbits,_ZN9rocsolver6v33100L14set_triangularI19rocblas_complex_numIdEPS3_TnNSt9enable_ifIX18rocblas_is_complexIT_EEiE4typeELi0EEEviiT0_iilPS6_lSA_il15rocblas_direct_15rocblas_storev_b,comdat
.Lfunc_end142:
	.size	_ZN9rocsolver6v33100L14set_triangularI19rocblas_complex_numIdEPS3_TnNSt9enable_ifIX18rocblas_is_complexIT_EEiE4typeELi0EEEviiT0_iilPS6_lSA_il15rocblas_direct_15rocblas_storev_b, .Lfunc_end142-_ZN9rocsolver6v33100L14set_triangularI19rocblas_complex_numIdEPS3_TnNSt9enable_ifIX18rocblas_is_complexIT_EEiE4typeELi0EEEviiT0_iilPS6_lSA_il15rocblas_direct_15rocblas_storev_b
                                        ; -- End function
	.section	.AMDGPU.csdata,"",@progbits
; Kernel info:
; codeLenInByte = 2900
; NumSgprs: 24
; NumVgprs: 21
; ScratchSize: 0
; MemoryBound: 1
; FloatMode: 240
; IeeeMode: 1
; LDSByteSize: 0 bytes/workgroup (compile time only)
; SGPRBlocks: 2
; VGPRBlocks: 2
; NumSGPRsForWavesPerEU: 24
; NumVGPRsForWavesPerEU: 21
; Occupancy: 16
; WaveLimiterHint : 0
; COMPUTE_PGM_RSRC2:SCRATCH_EN: 0
; COMPUTE_PGM_RSRC2:USER_SGPR: 13
; COMPUTE_PGM_RSRC2:TRAP_HANDLER: 0
; COMPUTE_PGM_RSRC2:TGID_X_EN: 1
; COMPUTE_PGM_RSRC2:TGID_Y_EN: 1
; COMPUTE_PGM_RSRC2:TGID_Z_EN: 1
; COMPUTE_PGM_RSRC2:TIDIG_COMP_CNT: 1
	.section	.text._ZN9rocsolver6v33100L7set_tauI19rocblas_complex_numIdEEEviPT_l,"axG",@progbits,_ZN9rocsolver6v33100L7set_tauI19rocblas_complex_numIdEEEviPT_l,comdat
	.globl	_ZN9rocsolver6v33100L7set_tauI19rocblas_complex_numIdEEEviPT_l ; -- Begin function _ZN9rocsolver6v33100L7set_tauI19rocblas_complex_numIdEEEviPT_l
	.p2align	8
	.type	_ZN9rocsolver6v33100L7set_tauI19rocblas_complex_numIdEEEviPT_l,@function
_ZN9rocsolver6v33100L7set_tauI19rocblas_complex_numIdEEEviPT_l: ; @_ZN9rocsolver6v33100L7set_tauI19rocblas_complex_numIdEEEviPT_l
; %bb.0:
	s_clause 0x1
	s_load_b32 s2, s[0:1], 0x24
	s_load_b32 s3, s[0:1], 0x0
	s_waitcnt lgkmcnt(0)
	s_and_b32 s2, s2, 0xffff
	s_delay_alu instid0(SALU_CYCLE_1) | instskip(SKIP_1) | instid1(VALU_DEP_1)
	v_mad_u64_u32 v[1:2], null, s14, s2, v[0:1]
	s_mov_b32 s2, exec_lo
	v_cmpx_gt_u32_e64 s3, v1
	s_cbranch_execz .LBB143_2
; %bb.1:
	s_load_b128 s[0:3], s[0:1], 0x8
	v_mov_b32_e32 v2, 0
	s_delay_alu instid0(VALU_DEP_1)
	v_lshlrev_b64 v[0:1], 4, v[1:2]
	s_waitcnt lgkmcnt(0)
	s_mul_i32 s3, s15, s3
	s_mul_hi_u32 s4, s15, s2
	s_mul_i32 s2, s15, s2
	s_add_i32 s3, s4, s3
	s_delay_alu instid0(SALU_CYCLE_1) | instskip(NEXT) | instid1(SALU_CYCLE_1)
	s_lshl_b64 s[2:3], s[2:3], 4
	s_add_u32 s0, s0, s2
	s_addc_u32 s1, s1, s3
	v_add_co_u32 v4, vcc_lo, s0, v0
	v_add_co_ci_u32_e32 v5, vcc_lo, s1, v1, vcc_lo
	global_load_b128 v[0:3], v[4:5], off
	s_waitcnt vmcnt(0)
	v_xor_b32_e32 v1, 0x80000000, v1
	v_xor_b32_e32 v3, 0x80000000, v3
	global_store_b128 v[4:5], v[0:3], off
.LBB143_2:
	s_nop 0
	s_sendmsg sendmsg(MSG_DEALLOC_VGPRS)
	s_endpgm
	.section	.rodata,"a",@progbits
	.p2align	6, 0x0
	.amdhsa_kernel _ZN9rocsolver6v33100L7set_tauI19rocblas_complex_numIdEEEviPT_l
		.amdhsa_group_segment_fixed_size 0
		.amdhsa_private_segment_fixed_size 0
		.amdhsa_kernarg_size 280
		.amdhsa_user_sgpr_count 14
		.amdhsa_user_sgpr_dispatch_ptr 0
		.amdhsa_user_sgpr_queue_ptr 0
		.amdhsa_user_sgpr_kernarg_segment_ptr 1
		.amdhsa_user_sgpr_dispatch_id 0
		.amdhsa_user_sgpr_private_segment_size 0
		.amdhsa_wavefront_size32 1
		.amdhsa_uses_dynamic_stack 0
		.amdhsa_enable_private_segment 0
		.amdhsa_system_sgpr_workgroup_id_x 1
		.amdhsa_system_sgpr_workgroup_id_y 1
		.amdhsa_system_sgpr_workgroup_id_z 0
		.amdhsa_system_sgpr_workgroup_info 0
		.amdhsa_system_vgpr_workitem_id 0
		.amdhsa_next_free_vgpr 6
		.amdhsa_next_free_sgpr 16
		.amdhsa_reserve_vcc 1
		.amdhsa_float_round_mode_32 0
		.amdhsa_float_round_mode_16_64 0
		.amdhsa_float_denorm_mode_32 3
		.amdhsa_float_denorm_mode_16_64 3
		.amdhsa_dx10_clamp 1
		.amdhsa_ieee_mode 1
		.amdhsa_fp16_overflow 0
		.amdhsa_workgroup_processor_mode 1
		.amdhsa_memory_ordered 1
		.amdhsa_forward_progress 0
		.amdhsa_shared_vgpr_count 0
		.amdhsa_exception_fp_ieee_invalid_op 0
		.amdhsa_exception_fp_denorm_src 0
		.amdhsa_exception_fp_ieee_div_zero 0
		.amdhsa_exception_fp_ieee_overflow 0
		.amdhsa_exception_fp_ieee_underflow 0
		.amdhsa_exception_fp_ieee_inexact 0
		.amdhsa_exception_int_div_zero 0
	.end_amdhsa_kernel
	.section	.text._ZN9rocsolver6v33100L7set_tauI19rocblas_complex_numIdEEEviPT_l,"axG",@progbits,_ZN9rocsolver6v33100L7set_tauI19rocblas_complex_numIdEEEviPT_l,comdat
.Lfunc_end143:
	.size	_ZN9rocsolver6v33100L7set_tauI19rocblas_complex_numIdEEEviPT_l, .Lfunc_end143-_ZN9rocsolver6v33100L7set_tauI19rocblas_complex_numIdEEEviPT_l
                                        ; -- End function
	.section	.AMDGPU.csdata,"",@progbits
; Kernel info:
; codeLenInByte = 180
; NumSgprs: 18
; NumVgprs: 6
; ScratchSize: 0
; MemoryBound: 0
; FloatMode: 240
; IeeeMode: 1
; LDSByteSize: 0 bytes/workgroup (compile time only)
; SGPRBlocks: 2
; VGPRBlocks: 0
; NumSGPRsForWavesPerEU: 18
; NumVGPRsForWavesPerEU: 6
; Occupancy: 16
; WaveLimiterHint : 0
; COMPUTE_PGM_RSRC2:SCRATCH_EN: 0
; COMPUTE_PGM_RSRC2:USER_SGPR: 14
; COMPUTE_PGM_RSRC2:TRAP_HANDLER: 0
; COMPUTE_PGM_RSRC2:TGID_X_EN: 1
; COMPUTE_PGM_RSRC2:TGID_Y_EN: 1
; COMPUTE_PGM_RSRC2:TGID_Z_EN: 0
; COMPUTE_PGM_RSRC2:TIDIG_COMP_CNT: 0
	.section	.text._ZN9rocsolver6v33100L20larft_kernel_forwardI19rocblas_complex_numIdEPS3_EEv15rocblas_storev_iiT0_iilPT_lS8_il,"axG",@progbits,_ZN9rocsolver6v33100L20larft_kernel_forwardI19rocblas_complex_numIdEPS3_EEv15rocblas_storev_iiT0_iilPT_lS8_il,comdat
	.globl	_ZN9rocsolver6v33100L20larft_kernel_forwardI19rocblas_complex_numIdEPS3_EEv15rocblas_storev_iiT0_iilPT_lS8_il ; -- Begin function _ZN9rocsolver6v33100L20larft_kernel_forwardI19rocblas_complex_numIdEPS3_EEv15rocblas_storev_iiT0_iilPT_lS8_il
	.p2align	8
	.type	_ZN9rocsolver6v33100L20larft_kernel_forwardI19rocblas_complex_numIdEPS3_EEv15rocblas_storev_iiT0_iilPT_lS8_il,@function
_ZN9rocsolver6v33100L20larft_kernel_forwardI19rocblas_complex_numIdEPS3_EEv15rocblas_storev_iiT0_iilPT_lS8_il: ; @_ZN9rocsolver6v33100L20larft_kernel_forwardI19rocblas_complex_numIdEPS3_EEv15rocblas_storev_iiT0_iilPT_lS8_il
; %bb.0:
	s_clause 0x4
	s_load_b64 s[20:21], s[0:1], 0x48
	s_load_b128 s[16:19], s[0:1], 0x0
	s_load_b32 s13, s[0:1], 0x5c
	s_load_b256 s[4:11], s[0:1], 0x20
	s_load_b32 s3, s[0:1], 0x40
	s_ashr_i32 s12, s15, 31
	v_lshlrev_b32_e32 v11, 4, v0
	s_waitcnt lgkmcnt(0)
	s_mul_i32 s2, s15, s21
	s_mul_hi_u32 s14, s15, s20
	s_mul_i32 s19, s12, s20
	s_add_i32 s2, s14, s2
	s_mul_i32 s20, s15, s20
	s_add_i32 s21, s2, s19
	v_cmp_gt_i32_e64 s2, s18, v0
	s_lshl_b64 s[20:21], s[20:21], 4
	s_and_b32 s19, s13, 0xffff
	s_add_u32 s28, s10, s20
	s_addc_u32 s29, s11, s21
	s_and_saveexec_b32 s10, s2
	s_cbranch_execz .LBB144_5
; %bb.1:
	v_add_nc_u32_e32 v1, 16, v11
	s_lshl_b32 s13, s18, 4
	v_mov_b32_e32 v5, v0
	s_add_i32 s14, s13, 16
	s_add_i32 s20, s3, 1
	v_mul_lo_u32 v3, s18, v1
	v_mad_u64_u32 v[1:2], null, v0, s3, v[0:1]
	s_mov_b32 s11, 0
	s_mul_i32 s14, s14, s19
	s_mul_i32 s20, s20, s19
	s_delay_alu instid0(VALU_DEP_2)
	v_add3_u32 v4, v3, v11, 0
	.p2align	6
.LBB144_2:                              ; =>This Loop Header: Depth=1
                                        ;     Child Loop BB144_3 Depth 2
	s_delay_alu instid0(VALU_DEP_2) | instskip(NEXT) | instid1(VALU_DEP_2)
	v_mov_b32_e32 v2, v1
	v_dual_mov_b32 v6, v4 :: v_dual_mov_b32 v7, v5
	s_mov_b32 s21, 0
	.p2align	6
.LBB144_3:                              ;   Parent Loop BB144_2 Depth=1
                                        ; =>  This Inner Loop Header: Depth=2
	s_delay_alu instid0(VALU_DEP_2) | instskip(NEXT) | instid1(VALU_DEP_2)
	v_ashrrev_i32_e32 v3, 31, v2
	v_add_nc_u32_e32 v7, 1, v7
	s_delay_alu instid0(VALU_DEP_2) | instskip(SKIP_1) | instid1(VALU_DEP_2)
	v_lshlrev_b64 v[8:9], 4, v[2:3]
	v_add_nc_u32_e32 v2, s3, v2
	v_add_co_u32 v8, vcc_lo, s28, v8
	s_delay_alu instid0(VALU_DEP_3)
	v_add_co_ci_u32_e32 v9, vcc_lo, s29, v9, vcc_lo
	v_cmp_le_i32_e32 vcc_lo, s18, v7
	global_load_b128 v[12:15], v[8:9], off
	s_or_b32 s21, vcc_lo, s21
	s_waitcnt vmcnt(0)
	ds_store_2addr_b64 v6, v[12:13], v[14:15] offset1:1
	v_add_nc_u32_e32 v6, s13, v6
	s_and_not1_b32 exec_lo, exec_lo, s21
	s_cbranch_execnz .LBB144_3
; %bb.4:                                ;   in Loop: Header=BB144_2 Depth=1
	s_or_b32 exec_lo, exec_lo, s21
	v_add_nc_u32_e32 v5, s19, v5
	v_add_nc_u32_e32 v4, s14, v4
	;; [unrolled: 1-line block ×3, first 2 shown]
	s_delay_alu instid0(VALU_DEP_3) | instskip(SKIP_1) | instid1(SALU_CYCLE_1)
	v_cmp_le_i32_e32 vcc_lo, s18, v5
	s_or_b32 s11, vcc_lo, s11
	s_and_not1_b32 exec_lo, exec_lo, s11
	s_cbranch_execnz .LBB144_2
.LBB144_5:
	s_or_b32 exec_lo, exec_lo, s10
	s_cmp_lt_i32 s18, 2
	s_waitcnt lgkmcnt(0)
	s_barrier
	buffer_gl0_inv
	s_cbranch_scc1 .LBB144_29
; %bb.6:
	s_load_b128 s[20:23], s[0:1], 0x10
	s_mul_i32 s1, s15, s9
	s_mul_hi_u32 s10, s15, s8
	s_mul_i32 s11, s12, s8
	s_add_i32 s1, s10, s1
	s_mul_i32 s0, s15, s8
	s_add_i32 s1, s1, s11
	s_mul_i32 s12, s4, s12
	s_lshl_b64 s[0:1], s[0:1], 4
	s_mul_hi_u32 s13, s4, s15
	v_dual_mov_b32 v2, 0 :: v_dual_add_nc_u32 v3, 16, v11
	s_mul_i32 s5, s5, s15
	s_mul_i32 s4, s4, s15
	v_or_b32_e32 v1, 8, v11
	s_delay_alu instid0(VALU_DEP_2)
	v_mul_lo_u32 v3, s18, v3
	v_add_nc_u32_e32 v14, 0, v11
	s_mov_b32 s9, 0
	s_mov_b32 s8, 1
	s_waitcnt lgkmcnt(0)
	s_ashr_i32 s11, s22, 31
	s_add_u32 s30, s6, s0
	s_addc_u32 s31, s7, s1
	s_lshl_b32 s33, s18, 4
	s_mov_b32 s10, s22
	s_add_i32 s34, s33, 0
	s_cmpk_lg_i32 s16, 0xb5
	s_mov_b32 s6, s23
	s_cselect_b32 s16, -1, 0
	s_add_i32 s0, s13, s12
	v_mul_lo_u32 v12, v0, s23
	s_add_i32 s5, s0, s5
	s_lshl_b64 s[0:1], s[10:11], 4
	s_lshl_b64 s[4:5], s[4:5], 4
	v_add3_u32 v13, v3, v11, 0
	s_add_u32 s0, s4, s0
	s_addc_u32 s1, s5, s1
	s_add_u32 s22, s20, s0
	s_addc_u32 s35, s21, s1
	s_ashr_i32 s7, s23, 31
	s_lshl_b32 s10, s23, 1
	s_lshl_b32 s36, s19, 4
	s_lshl_b64 s[12:13], s[6:7], 4
	s_add_u32 s14, s22, 32
	s_addc_u32 s15, s35, 0
	s_add_i32 s38, s33, 16
	s_mul_i32 s37, s23, s19
	s_mul_i32 s38, s38, s19
	s_mov_b64 s[20:21], 0
	s_mov_b32 s24, s23
	s_branch .LBB144_8
.LBB144_7:                              ;   in Loop: Header=BB144_8 Depth=1
	s_set_inst_prefetch_distance 0x2
	s_or_b32 exec_lo, exec_lo, s0
	s_add_i32 s8, s8, 1
	s_add_u32 s20, s20, 16
	s_addc_u32 s21, s21, 0
	s_add_i32 s10, s10, s23
	s_add_u32 s14, s14, 16
	s_addc_u32 s15, s15, 0
	s_add_i32 s24, s24, s23
	s_cmp_eq_u32 s8, s18
	s_waitcnt lgkmcnt(0)
	s_barrier
	buffer_gl0_inv
	s_cbranch_scc1 .LBB144_29
.LBB144_8:                              ; =>This Loop Header: Depth=1
                                        ;     Child Loop BB144_12 Depth 2
                                        ;       Child Loop BB144_14 Depth 3
                                        ;     Child Loop BB144_20 Depth 2
                                        ;       Child Loop BB144_22 Depth 3
	;; [unrolled: 2-line block ×3, first 2 shown]
	s_mul_i32 s0, s8, s18
	s_not_b32 s40, s8
	s_lshl_b32 s0, s0, 4
	s_add_i32 s40, s40, s17
	s_add_i32 s39, s34, s0
	v_cmp_gt_u32_e64 s0, s8, v0
	s_and_b32 vcc_lo, exec_lo, s16
	s_mov_b32 s1, -1
	s_cbranch_vccz .LBB144_16
; %bb.9:                                ;   in Loop: Header=BB144_8 Depth=1
	s_delay_alu instid0(VALU_DEP_1)
	s_and_saveexec_b32 s25, s0
	s_cbranch_execz .LBB144_15
; %bb.10:                               ;   in Loop: Header=BB144_8 Depth=1
	s_ashr_i32 s11, s10, 31
	v_dual_mov_b32 v4, v2 :: v_dual_mov_b32 v3, v1
	s_lshl_b64 s[0:1], s[10:11], 4
	v_mov_b32_e32 v9, v0
	s_add_u32 s26, s22, s0
	s_addc_u32 s27, s35, s1
	s_cmp_gt_i32 s40, 0
	s_mov_b32 s41, 0
	s_cselect_b32 s11, -1, 0
	s_lshl_b64 s[0:1], s[8:9], 4
	s_delay_alu instid0(SALU_CYCLE_1)
	s_add_u32 s0, s30, s0
	s_addc_u32 s1, s31, s1
	s_load_b128 s[4:7], s[0:1], 0x0
	s_branch .LBB144_12
.LBB144_11:                             ;   in Loop: Header=BB144_12 Depth=2
	s_waitcnt lgkmcnt(0)
	s_delay_alu instid0(VALU_DEP_1) | instskip(NEXT) | instid1(VALU_DEP_2)
	v_mul_f64 v[15:16], v[5:6], s[6:7]
	v_mul_f64 v[17:18], v[7:8], s[6:7]
	v_lshlrev_b32_e32 v10, 4, v9
	v_add_nc_u32_e32 v9, s19, v9
	v_add_co_u32 v3, s0, v3, s36
	s_delay_alu instid0(VALU_DEP_1) | instskip(NEXT) | instid1(VALU_DEP_3)
	v_add_co_ci_u32_e64 v4, s0, 0, v4, s0
	v_cmp_le_u32_e32 vcc_lo, s8, v9
	s_or_b32 s41, vcc_lo, s41
	v_fma_f64 v[15:16], v[7:8], s[4:5], -v[15:16]
	v_fma_f64 v[17:18], v[5:6], s[4:5], v[17:18]
	v_add_nc_u32_e32 v5, s39, v10
	v_add_nc_u32_e32 v10, 0, v10
	ds_load_2addr_b64 v[5:8], v5 offset1:1
	s_waitcnt lgkmcnt(0)
	v_add_f64 v[5:6], v[5:6], v[15:16]
	v_add_f64 v[7:8], v[17:18], v[7:8]
	ds_store_2addr_b64 v10, v[5:6], v[7:8] offset1:1
	s_and_not1_b32 exec_lo, exec_lo, s41
	s_cbranch_execz .LBB144_15
.LBB144_12:                             ;   Parent Loop BB144_8 Depth=1
                                        ; =>  This Loop Header: Depth=2
                                        ;       Child Loop BB144_14 Depth 3
	v_mov_b32_e32 v5, 0
	v_mov_b32_e32 v6, 0
	s_and_not1_b32 vcc_lo, exec_lo, s11
	s_delay_alu instid0(VALU_DEP_1)
	v_dual_mov_b32 v8, v6 :: v_dual_mov_b32 v7, v5
	s_cbranch_vccnz .LBB144_11
; %bb.13:                               ;   in Loop: Header=BB144_12 Depth=2
	v_mov_b32_e32 v5, 0
	v_mov_b32_e32 v6, 0
	s_mov_b32 s42, 0
	s_mov_b64 s[0:1], s[26:27]
	s_delay_alu instid0(VALU_DEP_1)
	v_dual_mov_b32 v8, v6 :: v_dual_mov_b32 v7, v5
	.p2align	6
.LBB144_14:                             ;   Parent Loop BB144_8 Depth=1
                                        ;     Parent Loop BB144_12 Depth=2
                                        ; =>    This Inner Loop Header: Depth=3
	v_add_co_u32 v15, vcc_lo, s0, v3
	v_add_co_ci_u32_e32 v16, vcc_lo, s1, v4, vcc_lo
	s_add_u32 s44, s0, s20
	s_addc_u32 s45, s1, s21
	s_add_i32 s42, s42, 1
	s_load_b128 s[44:47], s[44:45], 0x10
	global_load_b128 v[15:18], v[15:16], off offset:-8
	s_add_u32 s0, s0, s12
	s_addc_u32 s1, s1, s13
	s_cmp_ge_i32 s42, s40
	s_waitcnt vmcnt(0) lgkmcnt(0)
	v_mul_f64 v[19:20], s[46:47], v[17:18]
	v_mul_f64 v[21:22], s[46:47], v[15:16]
	s_delay_alu instid0(VALU_DEP_2) | instskip(NEXT) | instid1(VALU_DEP_2)
	v_fma_f64 v[15:16], s[44:45], v[15:16], v[19:20]
	v_fma_f64 v[17:18], s[44:45], v[17:18], -v[21:22]
	s_delay_alu instid0(VALU_DEP_2) | instskip(NEXT) | instid1(VALU_DEP_2)
	v_add_f64 v[7:8], v[7:8], v[15:16]
	v_add_f64 v[5:6], v[5:6], v[17:18]
	s_cbranch_scc0 .LBB144_14
	s_branch .LBB144_11
.LBB144_15:                             ;   in Loop: Header=BB144_8 Depth=1
	s_or_b32 exec_lo, exec_lo, s25
	s_mov_b32 s1, 0
.LBB144_16:                             ;   in Loop: Header=BB144_8 Depth=1
	s_delay_alu instid0(SALU_CYCLE_1)
	s_and_not1_b32 vcc_lo, exec_lo, s1
	s_cbranch_vccnz .LBB144_24
; %bb.17:                               ;   in Loop: Header=BB144_8 Depth=1
	s_mov_b32 s11, exec_lo
	v_cmpx_gt_u32_e64 s8, v0
	s_cbranch_execz .LBB144_23
; %bb.18:                               ;   in Loop: Header=BB144_8 Depth=1
	s_ashr_i32 s25, s24, 31
	v_mov_b32_e32 v3, v12
	s_lshl_b64 s[0:1], s[24:25], 4
	s_cmp_gt_i32 s40, 0
	v_mov_b32_e32 v15, v0
	s_cselect_b32 s25, -1, 0
	s_lshl_b64 s[4:5], s[8:9], 4
	s_mov_b32 s41, 0
	s_add_u32 s4, s30, s4
	s_addc_u32 s5, s31, s5
	s_load_b128 s[4:7], s[4:5], 0x0
	s_branch .LBB144_20
.LBB144_19:                             ;   in Loop: Header=BB144_20 Depth=2
	s_waitcnt lgkmcnt(0)
	s_delay_alu instid0(VALU_DEP_1) | instskip(NEXT) | instid1(VALU_DEP_2)
	v_mul_f64 v[9:10], v[5:6], s[6:7]
	v_mul_f64 v[16:17], v[7:8], s[6:7]
	v_add_nc_u32_e32 v3, s37, v3
	s_delay_alu instid0(VALU_DEP_3) | instskip(NEXT) | instid1(VALU_DEP_3)
	v_fma_f64 v[8:9], v[7:8], s[4:5], -v[9:10]
	v_fma_f64 v[16:17], v[5:6], s[4:5], v[16:17]
	v_lshlrev_b32_e32 v10, 4, v15
	v_add_nc_u32_e32 v15, s19, v15
	s_delay_alu instid0(VALU_DEP_2) | instskip(NEXT) | instid1(VALU_DEP_2)
	v_add_nc_u32_e32 v4, s39, v10
	v_cmp_le_u32_e32 vcc_lo, s8, v15
	ds_load_2addr_b64 v[4:7], v4 offset1:1
	s_or_b32 s41, vcc_lo, s41
	s_waitcnt lgkmcnt(0)
	v_add_f64 v[4:5], v[4:5], v[8:9]
	v_add_f64 v[6:7], v[16:17], v[6:7]
	v_add_nc_u32_e32 v8, 0, v10
	ds_store_2addr_b64 v8, v[4:5], v[6:7] offset1:1
	s_and_not1_b32 exec_lo, exec_lo, s41
	s_cbranch_execz .LBB144_23
.LBB144_20:                             ;   Parent Loop BB144_8 Depth=1
                                        ; =>  This Loop Header: Depth=2
                                        ;       Child Loop BB144_22 Depth 3
	v_mov_b32_e32 v5, 0
	v_mov_b32_e32 v6, 0
	s_and_not1_b32 vcc_lo, exec_lo, s25
	s_delay_alu instid0(VALU_DEP_1)
	v_dual_mov_b32 v8, v6 :: v_dual_mov_b32 v7, v5
	s_cbranch_vccnz .LBB144_19
; %bb.21:                               ;   in Loop: Header=BB144_20 Depth=2
	v_ashrrev_i32_e32 v4, 31, v3
	v_mov_b32_e32 v5, 0
	v_mov_b32_e32 v6, 0
	s_mov_b32 s42, 0
	s_mov_b64 s[26:27], s[14:15]
	v_lshlrev_b64 v[9:10], 4, v[3:4]
	s_delay_alu instid0(VALU_DEP_2)
	v_dual_mov_b32 v8, v6 :: v_dual_mov_b32 v7, v5
	.p2align	6
.LBB144_22:                             ;   Parent Loop BB144_8 Depth=1
                                        ;     Parent Loop BB144_20 Depth=2
                                        ; =>    This Inner Loop Header: Depth=3
	s_delay_alu instid0(VALU_DEP_2) | instskip(NEXT) | instid1(VALU_DEP_3)
	v_add_co_u32 v16, vcc_lo, s26, v9
	v_add_co_ci_u32_e32 v17, vcc_lo, s27, v10, vcc_lo
	s_add_u32 s44, s26, s0
	s_addc_u32 s45, s27, s1
	s_add_i32 s42, s42, 1
	global_load_b128 v[16:19], v[16:17], off
	s_load_b128 s[44:47], s[44:45], 0x0
	s_add_u32 s26, s26, 16
	s_addc_u32 s27, s27, 0
	s_cmp_ge_i32 s42, s40
	s_waitcnt vmcnt(0) lgkmcnt(0)
	v_mul_f64 v[20:21], v[18:19], s[46:47]
	v_mul_f64 v[18:19], v[18:19], s[44:45]
	s_delay_alu instid0(VALU_DEP_2) | instskip(NEXT) | instid1(VALU_DEP_2)
	v_fma_f64 v[20:21], v[16:17], s[44:45], v[20:21]
	v_fma_f64 v[16:17], v[16:17], s[46:47], -v[18:19]
	s_delay_alu instid0(VALU_DEP_2) | instskip(NEXT) | instid1(VALU_DEP_2)
	v_add_f64 v[7:8], v[7:8], v[20:21]
	v_add_f64 v[5:6], v[5:6], v[16:17]
	s_cbranch_scc0 .LBB144_22
	s_branch .LBB144_19
.LBB144_23:                             ;   in Loop: Header=BB144_8 Depth=1
	s_or_b32 exec_lo, exec_lo, s11
.LBB144_24:                             ;   in Loop: Header=BB144_8 Depth=1
	s_delay_alu instid0(SALU_CYCLE_1)
	s_mov_b32 s0, exec_lo
	s_waitcnt lgkmcnt(0)
	s_barrier
	buffer_gl0_inv
	v_cmpx_gt_u32_e64 s8, v0
	s_cbranch_execz .LBB144_7
; %bb.25:                               ;   in Loop: Header=BB144_8 Depth=1
	v_dual_mov_b32 v7, v14 :: v_dual_mov_b32 v8, v13
	v_mov_b32_e32 v9, v0
	s_mov_b32 s1, 0
	s_set_inst_prefetch_distance 0x1
	.p2align	6
.LBB144_26:                             ;   Parent Loop BB144_8 Depth=1
                                        ; =>  This Loop Header: Depth=2
                                        ;       Child Loop BB144_27 Depth 3
	s_delay_alu instid0(VALU_DEP_2) | instskip(SKIP_3) | instid1(VALU_DEP_2)
	v_dual_mov_b32 v3, 0 :: v_dual_mov_b32 v10, v7
	v_dual_mov_b32 v4, 0 :: v_dual_mov_b32 v15, v8
	v_mov_b32_e32 v16, v9
	s_mov_b32 s4, 0
	v_dual_mov_b32 v6, v4 :: v_dual_mov_b32 v5, v3
	.p2align	6
.LBB144_27:                             ;   Parent Loop BB144_8 Depth=1
                                        ;     Parent Loop BB144_26 Depth=2
                                        ; =>    This Inner Loop Header: Depth=3
	ds_load_2addr_b64 v[17:20], v10 offset1:1
	ds_load_2addr_b64 v[21:24], v15 offset1:1
	v_add_nc_u32_e32 v16, 1, v16
	v_add_nc_u32_e32 v15, s33, v15
	;; [unrolled: 1-line block ×3, first 2 shown]
	s_delay_alu instid0(VALU_DEP_3) | instskip(SKIP_4) | instid1(VALU_DEP_2)
	v_cmp_le_u32_e32 vcc_lo, s8, v16
	s_or_b32 s4, vcc_lo, s4
	s_waitcnt lgkmcnt(0)
	v_mul_f64 v[25:26], v[19:20], v[23:24]
	v_mul_f64 v[23:24], v[17:18], v[23:24]
	v_fma_f64 v[17:18], v[17:18], v[21:22], -v[25:26]
	s_delay_alu instid0(VALU_DEP_2) | instskip(NEXT) | instid1(VALU_DEP_2)
	v_fma_f64 v[19:20], v[19:20], v[21:22], v[23:24]
	v_add_f64 v[3:4], v[3:4], v[17:18]
	s_delay_alu instid0(VALU_DEP_2)
	v_add_f64 v[5:6], v[5:6], v[19:20]
	s_and_not1_b32 exec_lo, exec_lo, s4
	s_cbranch_execnz .LBB144_27
; %bb.28:                               ;   in Loop: Header=BB144_26 Depth=2
	s_or_b32 exec_lo, exec_lo, s4
	v_lshl_add_u32 v10, v9, 4, s39
	v_add_nc_u32_e32 v9, s19, v9
	v_add_nc_u32_e32 v8, s38, v8
	;; [unrolled: 1-line block ×3, first 2 shown]
	ds_store_2addr_b64 v10, v[3:4], v[5:6] offset1:1
	v_cmp_le_u32_e32 vcc_lo, s8, v9
	s_or_b32 s1, vcc_lo, s1
	s_delay_alu instid0(SALU_CYCLE_1)
	s_and_not1_b32 exec_lo, exec_lo, s1
	s_cbranch_execnz .LBB144_26
	s_branch .LBB144_7
.LBB144_29:
	s_and_saveexec_b32 s0, s2
	s_cbranch_execz .LBB144_34
; %bb.30:
	v_add_nc_u32_e32 v1, 16, v11
	s_lshl_b32 s2, s18, 4
	s_add_i32 s1, s3, 1
	s_add_i32 s5, s2, 16
	s_mul_i32 s1, s1, s19
	v_mul_lo_u32 v3, s18, v1
	v_mad_u64_u32 v[1:2], null, v0, s3, v[0:1]
	s_mov_b32 s4, 0
	s_mul_i32 s5, s5, s19
	s_delay_alu instid0(VALU_DEP_2)
	v_add3_u32 v4, v3, v11, 0
	.p2align	6
.LBB144_31:                             ; =>This Loop Header: Depth=1
                                        ;     Child Loop BB144_32 Depth 2
	s_delay_alu instid0(VALU_DEP_1)
	v_dual_mov_b32 v5, v4 :: v_dual_mov_b32 v2, v1
	v_mov_b32_e32 v6, v0
	s_mov_b32 s6, 0
	.p2align	6
.LBB144_32:                             ;   Parent Loop BB144_31 Depth=1
                                        ; =>  This Inner Loop Header: Depth=2
	ds_load_2addr_b64 v[7:10], v5 offset1:1
	v_ashrrev_i32_e32 v3, 31, v2
	v_add_nc_u32_e32 v6, 1, v6
	v_add_nc_u32_e32 v5, s2, v5
	s_delay_alu instid0(VALU_DEP_3) | instskip(NEXT) | instid1(VALU_DEP_3)
	v_lshlrev_b64 v[11:12], 4, v[2:3]
	v_cmp_le_i32_e32 vcc_lo, s18, v6
	v_add_nc_u32_e32 v2, s3, v2
	s_or_b32 s6, vcc_lo, s6
	s_delay_alu instid0(VALU_DEP_3) | instskip(NEXT) | instid1(VALU_DEP_1)
	v_add_co_u32 v11, s0, s28, v11
	v_add_co_ci_u32_e64 v12, s0, s29, v12, s0
	s_waitcnt lgkmcnt(0)
	global_store_b128 v[11:12], v[7:10], off
	s_and_not1_b32 exec_lo, exec_lo, s6
	s_cbranch_execnz .LBB144_32
; %bb.33:                               ;   in Loop: Header=BB144_31 Depth=1
	s_or_b32 exec_lo, exec_lo, s6
	v_add_nc_u32_e32 v0, s19, v0
	v_add_nc_u32_e32 v1, s1, v1
	;; [unrolled: 1-line block ×3, first 2 shown]
	s_delay_alu instid0(VALU_DEP_3) | instskip(SKIP_1) | instid1(SALU_CYCLE_1)
	v_cmp_le_i32_e32 vcc_lo, s18, v0
	s_or_b32 s4, vcc_lo, s4
	s_and_not1_b32 exec_lo, exec_lo, s4
	s_cbranch_execnz .LBB144_31
.LBB144_34:
	s_nop 0
	s_sendmsg sendmsg(MSG_DEALLOC_VGPRS)
	s_endpgm
	.section	.rodata,"a",@progbits
	.p2align	6, 0x0
	.amdhsa_kernel _ZN9rocsolver6v33100L20larft_kernel_forwardI19rocblas_complex_numIdEPS3_EEv15rocblas_storev_iiT0_iilPT_lS8_il
		.amdhsa_group_segment_fixed_size 0
		.amdhsa_private_segment_fixed_size 0
		.amdhsa_kernarg_size 336
		.amdhsa_user_sgpr_count 14
		.amdhsa_user_sgpr_dispatch_ptr 0
		.amdhsa_user_sgpr_queue_ptr 0
		.amdhsa_user_sgpr_kernarg_segment_ptr 1
		.amdhsa_user_sgpr_dispatch_id 0
		.amdhsa_user_sgpr_private_segment_size 0
		.amdhsa_wavefront_size32 1
		.amdhsa_uses_dynamic_stack 0
		.amdhsa_enable_private_segment 0
		.amdhsa_system_sgpr_workgroup_id_x 1
		.amdhsa_system_sgpr_workgroup_id_y 1
		.amdhsa_system_sgpr_workgroup_id_z 0
		.amdhsa_system_sgpr_workgroup_info 0
		.amdhsa_system_vgpr_workitem_id 0
		.amdhsa_next_free_vgpr 27
		.amdhsa_next_free_sgpr 48
		.amdhsa_reserve_vcc 1
		.amdhsa_float_round_mode_32 0
		.amdhsa_float_round_mode_16_64 0
		.amdhsa_float_denorm_mode_32 3
		.amdhsa_float_denorm_mode_16_64 3
		.amdhsa_dx10_clamp 1
		.amdhsa_ieee_mode 1
		.amdhsa_fp16_overflow 0
		.amdhsa_workgroup_processor_mode 1
		.amdhsa_memory_ordered 1
		.amdhsa_forward_progress 0
		.amdhsa_shared_vgpr_count 0
		.amdhsa_exception_fp_ieee_invalid_op 0
		.amdhsa_exception_fp_denorm_src 0
		.amdhsa_exception_fp_ieee_div_zero 0
		.amdhsa_exception_fp_ieee_overflow 0
		.amdhsa_exception_fp_ieee_underflow 0
		.amdhsa_exception_fp_ieee_inexact 0
		.amdhsa_exception_int_div_zero 0
	.end_amdhsa_kernel
	.section	.text._ZN9rocsolver6v33100L20larft_kernel_forwardI19rocblas_complex_numIdEPS3_EEv15rocblas_storev_iiT0_iilPT_lS8_il,"axG",@progbits,_ZN9rocsolver6v33100L20larft_kernel_forwardI19rocblas_complex_numIdEPS3_EEv15rocblas_storev_iiT0_iilPT_lS8_il,comdat
.Lfunc_end144:
	.size	_ZN9rocsolver6v33100L20larft_kernel_forwardI19rocblas_complex_numIdEPS3_EEv15rocblas_storev_iiT0_iilPT_lS8_il, .Lfunc_end144-_ZN9rocsolver6v33100L20larft_kernel_forwardI19rocblas_complex_numIdEPS3_EEv15rocblas_storev_iiT0_iilPT_lS8_il
                                        ; -- End function
	.section	.AMDGPU.csdata,"",@progbits
; Kernel info:
; codeLenInByte = 1928
; NumSgprs: 50
; NumVgprs: 27
; ScratchSize: 0
; MemoryBound: 0
; FloatMode: 240
; IeeeMode: 1
; LDSByteSize: 0 bytes/workgroup (compile time only)
; SGPRBlocks: 6
; VGPRBlocks: 3
; NumSGPRsForWavesPerEU: 50
; NumVGPRsForWavesPerEU: 27
; Occupancy: 16
; WaveLimiterHint : 0
; COMPUTE_PGM_RSRC2:SCRATCH_EN: 0
; COMPUTE_PGM_RSRC2:USER_SGPR: 14
; COMPUTE_PGM_RSRC2:TRAP_HANDLER: 0
; COMPUTE_PGM_RSRC2:TGID_X_EN: 1
; COMPUTE_PGM_RSRC2:TGID_Y_EN: 1
; COMPUTE_PGM_RSRC2:TGID_Z_EN: 0
; COMPUTE_PGM_RSRC2:TIDIG_COMP_CNT: 0
	.section	.text._ZN9rocsolver6v33100L21larft_kernel_backwardI19rocblas_complex_numIdEPS3_EEv15rocblas_storev_iiT0_iilPT_lS8_il,"axG",@progbits,_ZN9rocsolver6v33100L21larft_kernel_backwardI19rocblas_complex_numIdEPS3_EEv15rocblas_storev_iiT0_iilPT_lS8_il,comdat
	.globl	_ZN9rocsolver6v33100L21larft_kernel_backwardI19rocblas_complex_numIdEPS3_EEv15rocblas_storev_iiT0_iilPT_lS8_il ; -- Begin function _ZN9rocsolver6v33100L21larft_kernel_backwardI19rocblas_complex_numIdEPS3_EEv15rocblas_storev_iiT0_iilPT_lS8_il
	.p2align	8
	.type	_ZN9rocsolver6v33100L21larft_kernel_backwardI19rocblas_complex_numIdEPS3_EEv15rocblas_storev_iiT0_iilPT_lS8_il,@function
_ZN9rocsolver6v33100L21larft_kernel_backwardI19rocblas_complex_numIdEPS3_EEv15rocblas_storev_iiT0_iilPT_lS8_il: ; @_ZN9rocsolver6v33100L21larft_kernel_backwardI19rocblas_complex_numIdEPS3_EEv15rocblas_storev_iiT0_iilPT_lS8_il
; %bb.0:
	s_clause 0x4
	s_load_b64 s[20:21], s[0:1], 0x48
	s_load_b128 s[16:19], s[0:1], 0x0
	s_load_b32 s13, s[0:1], 0x5c
	s_load_b256 s[4:11], s[0:1], 0x20
	s_load_b32 s3, s[0:1], 0x40
	s_ashr_i32 s12, s15, 31
	v_add_nc_u32_e32 v10, 1, v0
	v_lshlrev_b32_e32 v11, 4, v0
	s_waitcnt lgkmcnt(0)
	s_mul_i32 s2, s15, s21
	s_mul_hi_u32 s14, s15, s20
	s_mul_i32 s19, s12, s20
	s_add_i32 s2, s14, s2
	s_mul_i32 s20, s15, s20
	s_add_i32 s21, s2, s19
	v_cmp_gt_i32_e64 s2, s18, v0
	s_lshl_b64 s[20:21], s[20:21], 4
	s_and_b32 s19, s13, 0xffff
	s_add_u32 s24, s10, s20
	s_addc_u32 s25, s11, s21
	s_and_saveexec_b32 s10, s2
	s_cbranch_execz .LBB145_5
; %bb.1:
	s_lshl_b32 s11, s18, 4
	v_add_nc_u32_e32 v3, 1, v0
	v_add3_u32 v4, 0, s11, v11
	v_mov_b32_e32 v5, v0
	s_mov_b32 s13, 0
	s_lshl_b32 s14, s19, 4
	.p2align	6
.LBB145_2:                              ; =>This Loop Header: Depth=1
                                        ;     Child Loop BB145_3 Depth 2
	s_delay_alu instid0(VALU_DEP_1)
	v_dual_mov_b32 v1, v5 :: v_dual_mov_b32 v6, v4
	s_mov_b32 s20, 0
	s_mov_b32 s21, 0
	.p2align	6
.LBB145_3:                              ;   Parent Loop BB145_2 Depth=1
                                        ; =>  This Inner Loop Header: Depth=2
	s_delay_alu instid0(VALU_DEP_1) | instskip(SKIP_1) | instid1(VALU_DEP_1)
	v_ashrrev_i32_e32 v2, 31, v1
	s_add_i32 s21, s21, 1
	v_lshlrev_b64 v[7:8], 4, v[1:2]
	v_add_nc_u32_e32 v1, s3, v1
	s_delay_alu instid0(VALU_DEP_2) | instskip(NEXT) | instid1(VALU_DEP_3)
	v_add_co_u32 v7, vcc_lo, s24, v7
	v_add_co_ci_u32_e32 v8, vcc_lo, s25, v8, vcc_lo
	v_cmp_eq_u32_e32 vcc_lo, s21, v3
	global_load_b128 v[12:15], v[7:8], off
	s_or_b32 s20, vcc_lo, s20
	s_waitcnt vmcnt(0)
	ds_store_2addr_b64 v6, v[12:13], v[14:15] offset1:1
	v_add_nc_u32_e32 v6, s11, v6
	s_and_not1_b32 exec_lo, exec_lo, s20
	s_cbranch_execnz .LBB145_3
; %bb.4:                                ;   in Loop: Header=BB145_2 Depth=1
	s_or_b32 exec_lo, exec_lo, s20
	v_add_nc_u32_e32 v5, s19, v5
	v_add_nc_u32_e32 v3, s19, v3
	;; [unrolled: 1-line block ×3, first 2 shown]
	s_delay_alu instid0(VALU_DEP_3) | instskip(SKIP_1) | instid1(SALU_CYCLE_1)
	v_cmp_le_i32_e32 vcc_lo, s18, v5
	s_or_b32 s13, vcc_lo, s13
	s_and_not1_b32 exec_lo, exec_lo, s13
	s_cbranch_execnz .LBB145_2
.LBB145_5:
	s_or_b32 exec_lo, exec_lo, s10
	s_cmp_lt_i32 s18, 2
	s_waitcnt lgkmcnt(0)
	s_barrier
	buffer_gl0_inv
	s_cbranch_scc1 .LBB145_29
; %bb.6:
	s_load_b128 s[20:23], s[0:1], 0x10
	s_mul_i32 s1, s15, s9
	s_mul_hi_u32 s9, s15, s8
	s_mul_i32 s10, s12, s8
	s_add_i32 s1, s9, s1
	s_mul_i32 s0, s15, s8
	s_add_i32 s1, s1, s10
	s_mul_i32 s10, s5, s15
	s_lshl_b64 s[0:1], s[0:1], 4
	s_mul_i32 s11, s4, s12
	s_mul_hi_u32 s9, s4, s15
	s_waitcnt lgkmcnt(0)
	s_ashr_i32 s5, s22, 31
	s_add_u32 s26, s6, s0
	s_addc_u32 s27, s7, s1
	s_lshl_b32 s28, s18, 4
	s_add_i32 s8, s18, -2
	s_sub_i32 s29, s17, s18
	s_add_i32 s30, s28, 0
	s_cmpk_lg_i32 s16, 0xb5
	s_mul_i32 s0, s4, s15
	s_cselect_b32 s31, -1, 0
	s_add_i32 s1, s9, s11
	s_mov_b32 s4, s22
	s_add_i32 s1, s1, s10
	s_lshl_b64 s[4:5], s[4:5], 4
	s_lshl_b64 s[0:1], s[0:1], 4
	s_mov_b32 s9, 0
	s_add_u32 s6, s0, s4
	s_addc_u32 s7, s1, s5
	s_lshl_b64 s[0:1], s[8:9], 4
	s_mov_b32 s4, s23
	s_add_u32 s5, s20, s0
	s_addc_u32 s10, s21, s1
	s_add_u32 s11, s5, s6
	s_addc_u32 s10, s10, s7
	s_ashr_i32 s5, s23, 31
	v_add_co_u32 v1, s11, s11, v11
	s_lshl_b32 s22, s19, 4
	v_add_co_ci_u32_e64 v2, null, s10, 0, s11
	s_lshl_b64 s[10:11], s[4:5], 4
	s_add_u32 s4, s6, s20
	s_addc_u32 s5, s7, s21
	s_add_u32 s20, s4, 8
	s_addc_u32 s21, s5, 0
	;; [unrolled: 2-line block ×3, first 2 shown]
	s_add_i32 s0, s28, 16
	v_mul_lo_u32 v12, v0, s23
	s_mul_i32 s0, s18, s0
	v_add_co_u32 v1, vcc_lo, v1, 16
	s_add_i32 s0, s0, 0
	v_add_co_ci_u32_e32 v2, vcc_lo, 0, v2, vcc_lo
	v_add3_u32 v13, s0, v11, -16
	s_add_i32 s1, s18, -1
	s_mul_i32 s12, s23, s8
	s_mul_i32 s14, s23, s1
	;; [unrolled: 1-line block ×3, first 2 shown]
	s_xor_b32 s36, s28, -16
	s_branch .LBB145_8
.LBB145_7:                              ;   in Loop: Header=BB145_8 Depth=1
	s_set_inst_prefetch_distance 0x2
	s_or_b32 exec_lo, exec_lo, s0
	v_add_co_u32 v1, vcc_lo, v1, -16
	s_add_i32 s0, s8, -1
	v_add_co_ci_u32_e32 v2, vcc_lo, -1, v2, vcc_lo
	v_add_nc_u32_e32 v13, s36, v13
	s_add_u32 s33, s33, -16
	s_addc_u32 s34, s34, -1
	s_sub_i32 s12, s12, s23
	s_sub_i32 s14, s14, s23
	s_cmp_lt_i32 s8, 1
	s_mov_b32 s8, s0
	s_waitcnt lgkmcnt(0)
	s_barrier
	buffer_gl0_inv
	s_cbranch_scc1 .LBB145_29
.LBB145_8:                              ; =>This Loop Header: Depth=1
                                        ;     Child Loop BB145_12 Depth 2
                                        ;       Child Loop BB145_14 Depth 3
                                        ;     Child Loop BB145_20 Depth 2
                                        ;       Child Loop BB145_22 Depth 3
	;; [unrolled: 2-line block ×3, first 2 shown]
	s_not_b32 s37, s8
	s_lshl_b32 s0, s8, 4
	s_mul_i32 s1, s8, s18
	s_add_i32 s37, s37, s18
	s_add_i32 s38, s30, s0
	s_lshl_b32 s0, s1, 4
	s_add_i32 s39, s8, s29
	s_add_i32 s38, s38, s0
	v_cmp_gt_i32_e64 s0, s37, v0
	s_and_b32 vcc_lo, exec_lo, s31
	s_mov_b32 s1, -1
	s_cbranch_vccz .LBB145_16
; %bb.9:                                ;   in Loop: Header=BB145_8 Depth=1
	s_delay_alu instid0(VALU_DEP_1)
	s_and_saveexec_b32 s13, s0
	s_cbranch_execz .LBB145_15
; %bb.10:                               ;   in Loop: Header=BB145_8 Depth=1
	s_cmp_gt_i32 s39, 0
	v_dual_mov_b32 v4, v2 :: v_dual_mov_b32 v3, v1
	s_cselect_b32 s15, -1, 0
	s_lshl_b64 s[0:1], s[8:9], 4
	v_mov_b32_e32 v9, v0
	s_add_u32 s0, s26, s0
	s_addc_u32 s1, s27, s1
	s_mov_b32 s16, 0
	s_load_b128 s[4:7], s[0:1], 0x0
	s_add_i32 s17, s38, 16
	s_branch .LBB145_12
.LBB145_11:                             ;   in Loop: Header=BB145_12 Depth=2
	s_waitcnt lgkmcnt(0)
	s_delay_alu instid0(VALU_DEP_1) | instskip(NEXT) | instid1(VALU_DEP_2)
	v_mul_f64 v[14:15], v[5:6], s[6:7]
	v_mul_f64 v[16:17], v[7:8], s[6:7]
	v_lshlrev_b32_e32 v18, 4, v9
	v_add_nc_u32_e32 v9, s19, v9
	v_add_co_u32 v3, s0, v3, s22
	s_delay_alu instid0(VALU_DEP_1) | instskip(NEXT) | instid1(VALU_DEP_3)
	v_add_co_ci_u32_e64 v4, s0, 0, v4, s0
	v_cmp_le_i32_e32 vcc_lo, s37, v9
	s_or_b32 s16, vcc_lo, s16
	v_fma_f64 v[14:15], v[7:8], s[4:5], -v[14:15]
	v_fma_f64 v[16:17], v[5:6], s[4:5], v[16:17]
	v_add_nc_u32_e32 v5, s17, v18
	ds_load_2addr_b64 v[5:8], v5 offset1:1
	s_waitcnt lgkmcnt(0)
	v_add_f64 v[5:6], v[5:6], v[14:15]
	v_add_f64 v[7:8], v[16:17], v[7:8]
	v_add_nc_u32_e32 v14, 0, v18
	ds_store_2addr_b64 v14, v[5:6], v[7:8] offset1:1
	s_and_not1_b32 exec_lo, exec_lo, s16
	s_cbranch_execz .LBB145_15
.LBB145_12:                             ;   Parent Loop BB145_8 Depth=1
                                        ; =>  This Loop Header: Depth=2
                                        ;       Child Loop BB145_14 Depth 3
	v_mov_b32_e32 v5, 0
	v_mov_b32_e32 v6, 0
	s_and_not1_b32 vcc_lo, exec_lo, s15
	s_delay_alu instid0(VALU_DEP_1)
	v_dual_mov_b32 v8, v6 :: v_dual_mov_b32 v7, v5
	s_cbranch_vccnz .LBB145_11
; %bb.13:                               ;   in Loop: Header=BB145_12 Depth=2
	v_mov_b32_e32 v5, 0
	v_mov_b32_e32 v6, 0
	s_mov_b64 s[0:1], 0
	s_mov_b32 s40, 0
	s_delay_alu instid0(VALU_DEP_1)
	v_dual_mov_b32 v8, v6 :: v_dual_mov_b32 v7, v5
	.p2align	6
.LBB145_14:                             ;   Parent Loop BB145_8 Depth=1
                                        ;     Parent Loop BB145_12 Depth=2
                                        ; =>    This Inner Loop Header: Depth=3
	v_add_co_u32 v14, vcc_lo, v3, s0
	v_add_co_ci_u32_e32 v15, vcc_lo, s1, v4, vcc_lo
	s_add_u32 s41, s33, s0
	s_addc_u32 s43, s34, s1
	s_add_u32 s42, s41, -8
	global_load_b128 v[14:17], v[14:15], off
	s_addc_u32 s43, s43, -1
	s_add_i32 s40, s40, 1
	s_load_b128 s[44:47], s[42:43], 0x0
	s_add_u32 s0, s0, s10
	s_addc_u32 s1, s1, s11
	s_cmp_ge_i32 s40, s39
	s_waitcnt vmcnt(0) lgkmcnt(0)
	v_mul_f64 v[18:19], s[46:47], v[16:17]
	v_mul_f64 v[20:21], s[46:47], v[14:15]
	s_delay_alu instid0(VALU_DEP_2) | instskip(NEXT) | instid1(VALU_DEP_2)
	v_fma_f64 v[14:15], s[44:45], v[14:15], v[18:19]
	v_fma_f64 v[16:17], s[44:45], v[16:17], -v[20:21]
	s_delay_alu instid0(VALU_DEP_2) | instskip(NEXT) | instid1(VALU_DEP_2)
	v_add_f64 v[7:8], v[7:8], v[14:15]
	v_add_f64 v[5:6], v[5:6], v[16:17]
	s_cbranch_scc0 .LBB145_14
	s_branch .LBB145_11
.LBB145_15:                             ;   in Loop: Header=BB145_8 Depth=1
	s_or_b32 exec_lo, exec_lo, s13
	s_mov_b32 s1, 0
.LBB145_16:                             ;   in Loop: Header=BB145_8 Depth=1
	s_delay_alu instid0(SALU_CYCLE_1)
	s_and_not1_b32 vcc_lo, exec_lo, s1
	s_cbranch_vccnz .LBB145_24
; %bb.17:                               ;   in Loop: Header=BB145_8 Depth=1
	s_mov_b32 s40, exec_lo
	v_cmpx_gt_i32_e64 s37, v0
	s_cbranch_execz .LBB145_23
; %bb.18:                               ;   in Loop: Header=BB145_8 Depth=1
	s_ashr_i32 s13, s12, 31
	v_mov_b32_e32 v3, v12
	s_lshl_b64 s[0:1], s[12:13], 4
	v_mov_b32_e32 v14, v0
	s_add_u32 s0, s20, s0
	s_addc_u32 s1, s21, s1
	s_ashr_i32 s15, s14, 31
	s_delay_alu instid0(SALU_CYCLE_1) | instskip(SKIP_4) | instid1(SALU_CYCLE_1)
	s_lshl_b64 s[16:17], s[14:15], 4
	s_cmp_gt_i32 s39, 0
	s_mov_b32 s15, 0
	s_cselect_b32 s13, -1, 0
	s_lshl_b64 s[4:5], s[8:9], 4
	s_add_u32 s4, s26, s4
	s_addc_u32 s5, s27, s5
	s_add_i32 s41, s38, 16
	s_load_b128 s[4:7], s[4:5], 0x0
	s_add_u32 s42, s20, s16
	s_addc_u32 s43, s21, s17
	s_branch .LBB145_20
.LBB145_19:                             ;   in Loop: Header=BB145_20 Depth=2
	s_waitcnt lgkmcnt(0)
	s_delay_alu instid0(VALU_DEP_1) | instskip(NEXT) | instid1(VALU_DEP_2)
	v_mul_f64 v[8:9], v[4:5], s[6:7]
	v_mul_f64 v[15:16], v[6:7], s[6:7]
	v_lshlrev_b32_e32 v17, 4, v14
	v_add_nc_u32_e32 v14, s19, v14
	v_add_nc_u32_e32 v3, s35, v3
	s_delay_alu instid0(VALU_DEP_2)
	v_cmp_le_i32_e32 vcc_lo, s37, v14
	s_or_b32 s15, vcc_lo, s15
	v_fma_f64 v[8:9], v[6:7], s[4:5], -v[8:9]
	v_fma_f64 v[15:16], v[4:5], s[4:5], v[15:16]
	v_add_nc_u32_e32 v4, s41, v17
	ds_load_2addr_b64 v[4:7], v4 offset1:1
	s_waitcnt lgkmcnt(0)
	v_add_f64 v[4:5], v[4:5], v[8:9]
	v_add_f64 v[6:7], v[15:16], v[6:7]
	v_add_nc_u32_e32 v8, 0, v17
	ds_store_2addr_b64 v8, v[4:5], v[6:7] offset1:1
	s_and_not1_b32 exec_lo, exec_lo, s15
	s_cbranch_execz .LBB145_23
.LBB145_20:                             ;   Parent Loop BB145_8 Depth=1
                                        ; =>  This Loop Header: Depth=2
                                        ;       Child Loop BB145_22 Depth 3
	v_mov_b32_e32 v4, 0
	v_mov_b32_e32 v5, 0
	s_and_not1_b32 vcc_lo, exec_lo, s13
	s_delay_alu instid0(VALU_DEP_1)
	v_dual_mov_b32 v7, v5 :: v_dual_mov_b32 v6, v4
	s_cbranch_vccnz .LBB145_19
; %bb.21:                               ;   in Loop: Header=BB145_20 Depth=2
	v_ashrrev_i32_e32 v4, 31, v3
	s_mov_b32 s44, 0
	s_mov_b64 s[16:17], s[0:1]
	s_delay_alu instid0(VALU_DEP_1) | instskip(SKIP_2) | instid1(VALU_DEP_3)
	v_lshlrev_b64 v[6:7], 4, v[3:4]
	v_mov_b32_e32 v4, 0
	v_mov_b32_e32 v5, 0
	v_add_co_u32 v8, vcc_lo, s42, v6
	s_delay_alu instid0(VALU_DEP_4) | instskip(NEXT) | instid1(VALU_DEP_3)
	v_add_co_ci_u32_e32 v9, vcc_lo, s43, v7, vcc_lo
	v_dual_mov_b32 v7, v5 :: v_dual_mov_b32 v6, v4
	.p2align	6
.LBB145_22:                             ;   Parent Loop BB145_8 Depth=1
                                        ;     Parent Loop BB145_20 Depth=2
                                        ; =>    This Inner Loop Header: Depth=3
	global_load_b128 v[15:18], v[8:9], off offset:-8
	s_add_u32 s46, s16, -8
	s_addc_u32 s47, s17, -1
	v_add_co_u32 v8, vcc_lo, v8, 16
	s_load_b128 s[48:51], s[46:47], 0x0
	v_add_co_ci_u32_e32 v9, vcc_lo, 0, v9, vcc_lo
	s_add_i32 s44, s44, 1
	s_add_u32 s16, s16, 16
	s_addc_u32 s17, s17, 0
	s_cmp_ge_i32 s44, s39
	s_waitcnt vmcnt(0) lgkmcnt(0)
	v_mul_f64 v[19:20], v[17:18], s[50:51]
	v_mul_f64 v[17:18], v[17:18], s[48:49]
	s_delay_alu instid0(VALU_DEP_2) | instskip(NEXT) | instid1(VALU_DEP_2)
	v_fma_f64 v[19:20], v[15:16], s[48:49], v[19:20]
	v_fma_f64 v[15:16], v[15:16], s[50:51], -v[17:18]
	s_delay_alu instid0(VALU_DEP_2) | instskip(NEXT) | instid1(VALU_DEP_2)
	v_add_f64 v[6:7], v[6:7], v[19:20]
	v_add_f64 v[4:5], v[4:5], v[15:16]
	s_cbranch_scc0 .LBB145_22
	s_branch .LBB145_19
.LBB145_23:                             ;   in Loop: Header=BB145_8 Depth=1
	s_or_b32 exec_lo, exec_lo, s40
.LBB145_24:                             ;   in Loop: Header=BB145_8 Depth=1
	s_delay_alu instid0(SALU_CYCLE_1)
	s_mov_b32 s0, exec_lo
	s_waitcnt lgkmcnt(0)
	s_barrier
	buffer_gl0_inv
	v_cmpx_gt_i32_e64 s37, v0
	s_cbranch_execz .LBB145_7
; %bb.25:                               ;   in Loop: Header=BB145_8 Depth=1
	v_dual_mov_b32 v7, v13 :: v_dual_mov_b32 v8, v0
	s_add_i32 s38, s38, 16
	s_mov_b32 s1, 0
	s_set_inst_prefetch_distance 0x1
	.p2align	6
.LBB145_26:                             ;   Parent Loop BB145_8 Depth=1
                                        ; =>  This Loop Header: Depth=2
                                        ;       Child Loop BB145_27 Depth 3
	v_mov_b32_e32 v3, 0
	v_dual_mov_b32 v4, 0 :: v_dual_mov_b32 v9, v7
	s_mov_b32 s5, -1
	s_mov_b32 s4, 0
	s_mov_b32 s6, 0
	s_delay_alu instid0(VALU_DEP_1)
	v_dual_mov_b32 v6, v4 :: v_dual_mov_b32 v5, v3
	.p2align	6
.LBB145_27:                             ;   Parent Loop BB145_8 Depth=1
                                        ;     Parent Loop BB145_26 Depth=2
                                        ; =>    This Inner Loop Header: Depth=3
	v_mov_b32_e32 v18, s6
	s_add_i32 s5, s5, 1
	s_add_i32 s6, s6, 16
	v_cmp_eq_u32_e32 vcc_lo, s5, v8
	ds_load_2addr_b64 v[14:17], v9 offset1:1
	ds_load_2addr_b64 v[18:21], v18 offset1:1
	v_add_nc_u32_e32 v9, s28, v9
	s_or_b32 s4, vcc_lo, s4
	s_waitcnt lgkmcnt(0)
	v_mul_f64 v[22:23], v[20:21], v[16:17]
	v_mul_f64 v[16:17], v[18:19], v[16:17]
	s_delay_alu instid0(VALU_DEP_2) | instskip(NEXT) | instid1(VALU_DEP_2)
	v_fma_f64 v[18:19], v[18:19], v[14:15], -v[22:23]
	v_fma_f64 v[14:15], v[20:21], v[14:15], v[16:17]
	s_delay_alu instid0(VALU_DEP_2) | instskip(NEXT) | instid1(VALU_DEP_2)
	v_add_f64 v[3:4], v[3:4], v[18:19]
	v_add_f64 v[5:6], v[5:6], v[14:15]
	s_and_not1_b32 exec_lo, exec_lo, s4
	s_cbranch_execnz .LBB145_27
; %bb.28:                               ;   in Loop: Header=BB145_26 Depth=2
	s_or_b32 exec_lo, exec_lo, s4
	v_lshl_add_u32 v9, v8, 4, s38
	v_add_nc_u32_e32 v8, s19, v8
	v_add_nc_u32_e32 v7, s22, v7
	ds_store_2addr_b64 v9, v[3:4], v[5:6] offset1:1
	v_cmp_le_i32_e32 vcc_lo, s37, v8
	s_or_b32 s1, vcc_lo, s1
	s_delay_alu instid0(SALU_CYCLE_1)
	s_and_not1_b32 exec_lo, exec_lo, s1
	s_cbranch_execnz .LBB145_26
	s_branch .LBB145_7
.LBB145_29:
	s_and_saveexec_b32 s0, s2
	s_cbranch_execz .LBB145_34
; %bb.30:
	s_lshl_b32 s1, s18, 4
	s_mov_b32 s2, 0
	v_add3_u32 v3, 0, s1, v11
	s_lshl_b32 s4, s19, 4
	.p2align	6
.LBB145_31:                             ; =>This Loop Header: Depth=1
                                        ;     Child Loop BB145_32 Depth 2
	s_delay_alu instid0(VALU_DEP_1)
	v_dual_mov_b32 v4, v3 :: v_dual_mov_b32 v1, v0
	s_mov_b32 s5, 0
	s_mov_b32 s6, 0
	.p2align	6
.LBB145_32:                             ;   Parent Loop BB145_31 Depth=1
                                        ; =>  This Inner Loop Header: Depth=2
	ds_load_2addr_b64 v[5:8], v4 offset1:1
	v_ashrrev_i32_e32 v2, 31, v1
	s_add_i32 s6, s6, 1
	v_add_nc_u32_e32 v4, s1, v4
	v_cmp_eq_u32_e32 vcc_lo, s6, v10
	s_delay_alu instid0(VALU_DEP_3) | instskip(SKIP_2) | instid1(VALU_DEP_2)
	v_lshlrev_b64 v[11:12], 4, v[1:2]
	v_add_nc_u32_e32 v1, s3, v1
	s_or_b32 s5, vcc_lo, s5
	v_add_co_u32 v11, s0, s24, v11
	s_delay_alu instid0(VALU_DEP_1)
	v_add_co_ci_u32_e64 v12, s0, s25, v12, s0
	s_waitcnt lgkmcnt(0)
	global_store_b128 v[11:12], v[5:8], off
	s_and_not1_b32 exec_lo, exec_lo, s5
	s_cbranch_execnz .LBB145_32
; %bb.33:                               ;   in Loop: Header=BB145_31 Depth=1
	s_or_b32 exec_lo, exec_lo, s5
	v_add_nc_u32_e32 v0, s19, v0
	v_add_nc_u32_e32 v10, s19, v10
	;; [unrolled: 1-line block ×3, first 2 shown]
	s_delay_alu instid0(VALU_DEP_3) | instskip(SKIP_1) | instid1(SALU_CYCLE_1)
	v_cmp_le_i32_e32 vcc_lo, s18, v0
	s_or_b32 s2, vcc_lo, s2
	s_and_not1_b32 exec_lo, exec_lo, s2
	s_cbranch_execnz .LBB145_31
.LBB145_34:
	s_nop 0
	s_sendmsg sendmsg(MSG_DEALLOC_VGPRS)
	s_endpgm
	.section	.rodata,"a",@progbits
	.p2align	6, 0x0
	.amdhsa_kernel _ZN9rocsolver6v33100L21larft_kernel_backwardI19rocblas_complex_numIdEPS3_EEv15rocblas_storev_iiT0_iilPT_lS8_il
		.amdhsa_group_segment_fixed_size 0
		.amdhsa_private_segment_fixed_size 0
		.amdhsa_kernarg_size 336
		.amdhsa_user_sgpr_count 14
		.amdhsa_user_sgpr_dispatch_ptr 0
		.amdhsa_user_sgpr_queue_ptr 0
		.amdhsa_user_sgpr_kernarg_segment_ptr 1
		.amdhsa_user_sgpr_dispatch_id 0
		.amdhsa_user_sgpr_private_segment_size 0
		.amdhsa_wavefront_size32 1
		.amdhsa_uses_dynamic_stack 0
		.amdhsa_enable_private_segment 0
		.amdhsa_system_sgpr_workgroup_id_x 1
		.amdhsa_system_sgpr_workgroup_id_y 1
		.amdhsa_system_sgpr_workgroup_id_z 0
		.amdhsa_system_sgpr_workgroup_info 0
		.amdhsa_system_vgpr_workitem_id 0
		.amdhsa_next_free_vgpr 24
		.amdhsa_next_free_sgpr 52
		.amdhsa_reserve_vcc 1
		.amdhsa_float_round_mode_32 0
		.amdhsa_float_round_mode_16_64 0
		.amdhsa_float_denorm_mode_32 3
		.amdhsa_float_denorm_mode_16_64 3
		.amdhsa_dx10_clamp 1
		.amdhsa_ieee_mode 1
		.amdhsa_fp16_overflow 0
		.amdhsa_workgroup_processor_mode 1
		.amdhsa_memory_ordered 1
		.amdhsa_forward_progress 0
		.amdhsa_shared_vgpr_count 0
		.amdhsa_exception_fp_ieee_invalid_op 0
		.amdhsa_exception_fp_denorm_src 0
		.amdhsa_exception_fp_ieee_div_zero 0
		.amdhsa_exception_fp_ieee_overflow 0
		.amdhsa_exception_fp_ieee_underflow 0
		.amdhsa_exception_fp_ieee_inexact 0
		.amdhsa_exception_int_div_zero 0
	.end_amdhsa_kernel
	.section	.text._ZN9rocsolver6v33100L21larft_kernel_backwardI19rocblas_complex_numIdEPS3_EEv15rocblas_storev_iiT0_iilPT_lS8_il,"axG",@progbits,_ZN9rocsolver6v33100L21larft_kernel_backwardI19rocblas_complex_numIdEPS3_EEv15rocblas_storev_iiT0_iilPT_lS8_il,comdat
.Lfunc_end145:
	.size	_ZN9rocsolver6v33100L21larft_kernel_backwardI19rocblas_complex_numIdEPS3_EEv15rocblas_storev_iiT0_iilPT_lS8_il, .Lfunc_end145-_ZN9rocsolver6v33100L21larft_kernel_backwardI19rocblas_complex_numIdEPS3_EEv15rocblas_storev_iiT0_iilPT_lS8_il
                                        ; -- End function
	.section	.AMDGPU.csdata,"",@progbits
; Kernel info:
; codeLenInByte = 1952
; NumSgprs: 54
; NumVgprs: 24
; ScratchSize: 0
; MemoryBound: 0
; FloatMode: 240
; IeeeMode: 1
; LDSByteSize: 0 bytes/workgroup (compile time only)
; SGPRBlocks: 6
; VGPRBlocks: 2
; NumSGPRsForWavesPerEU: 54
; NumVGPRsForWavesPerEU: 24
; Occupancy: 16
; WaveLimiterHint : 0
; COMPUTE_PGM_RSRC2:SCRATCH_EN: 0
; COMPUTE_PGM_RSRC2:USER_SGPR: 14
; COMPUTE_PGM_RSRC2:TRAP_HANDLER: 0
; COMPUTE_PGM_RSRC2:TGID_X_EN: 1
; COMPUTE_PGM_RSRC2:TGID_Y_EN: 1
; COMPUTE_PGM_RSRC2:TGID_Z_EN: 0
; COMPUTE_PGM_RSRC2:TIDIG_COMP_CNT: 0
	.section	.text._ZN9rocsolver6v33100L9copymatA1I19rocblas_complex_numIdEPS3_EEviiT0_iilPT_,"axG",@progbits,_ZN9rocsolver6v33100L9copymatA1I19rocblas_complex_numIdEPS3_EEviiT0_iilPT_,comdat
	.globl	_ZN9rocsolver6v33100L9copymatA1I19rocblas_complex_numIdEPS3_EEviiT0_iilPT_ ; -- Begin function _ZN9rocsolver6v33100L9copymatA1I19rocblas_complex_numIdEPS3_EEviiT0_iilPT_
	.p2align	8
	.type	_ZN9rocsolver6v33100L9copymatA1I19rocblas_complex_numIdEPS3_EEviiT0_iilPT_,@function
_ZN9rocsolver6v33100L9copymatA1I19rocblas_complex_numIdEPS3_EEviiT0_iilPT_: ; @_ZN9rocsolver6v33100L9copymatA1I19rocblas_complex_numIdEPS3_EEviiT0_iilPT_
; %bb.0:
	s_clause 0x1
	s_load_b32 s2, s[0:1], 0x34
	s_load_b64 s[8:9], s[0:1], 0x0
	v_bfe_u32 v2, v0, 10, 10
	v_and_b32_e32 v3, 0x3ff, v0
	s_waitcnt lgkmcnt(0)
	s_lshr_b32 s3, s2, 16
	s_and_b32 s2, s2, 0xffff
	s_delay_alu instid0(VALU_DEP_1) | instskip(SKIP_1) | instid1(VALU_DEP_2)
	v_mad_u64_u32 v[0:1], null, s14, s3, v[2:3]
	v_mad_u64_u32 v[1:2], null, s13, s2, v[3:4]
	v_cmp_gt_u32_e32 vcc_lo, s8, v0
	s_delay_alu instid0(VALU_DEP_2) | instskip(NEXT) | instid1(VALU_DEP_1)
	v_cmp_gt_u32_e64 s2, s9, v1
	s_and_b32 s2, s2, vcc_lo
	s_delay_alu instid0(SALU_CYCLE_1)
	s_and_saveexec_b32 s3, s2
	s_cbranch_execz .LBB146_2
; %bb.1:
	s_load_b256 s[0:7], s[0:1], 0x8
	s_ashr_i32 s10, s8, 31
	s_ashr_i32 s11, s9, 31
	s_mul_hi_u32 s12, s8, s15
	s_mul_i32 s13, s8, s15
	s_mul_i32 s10, s10, s15
	;; [unrolled: 1-line block ×3, first 2 shown]
	s_mul_hi_u32 s14, s13, s9
	s_add_i32 s10, s12, s10
	s_add_i32 s11, s14, s11
	s_mul_i32 s12, s10, s9
	s_mul_i32 s10, s13, s9
	s_add_i32 s11, s11, s12
	v_mad_u64_u32 v[7:8], null, v1, s8, v[0:1]
	s_lshl_b64 s[10:11], s[10:11], 4
	s_waitcnt lgkmcnt(0)
	v_mad_u64_u32 v[5:6], null, v1, s3, v[0:1]
	s_add_u32 s9, s6, s10
	s_mul_i32 s5, s15, s5
	s_mul_hi_u32 s10, s15, s4
	v_mov_b32_e32 v6, 0
	s_mul_i32 s4, s15, s4
	s_addc_u32 s3, s7, s11
	s_add_i32 s5, s10, s5
	s_mov_b32 s6, s2
	s_lshl_b64 s[4:5], s[4:5], 4
	s_ashr_i32 s7, s2, 31
	v_lshlrev_b64 v[2:3], 4, v[5:6]
	s_add_u32 s2, s0, s4
	s_addc_u32 s4, s1, s5
	s_lshl_b64 s[0:1], s[6:7], 4
	v_mov_b32_e32 v8, v6
	s_add_u32 s0, s2, s0
	s_addc_u32 s1, s4, s1
	v_add_co_u32 v2, vcc_lo, s0, v2
	v_add_co_ci_u32_e32 v3, vcc_lo, s1, v3, vcc_lo
	v_lshlrev_b64 v[0:1], 4, v[7:8]
	global_load_b128 v[2:5], v[2:3], off
	v_add_co_u32 v0, vcc_lo, s9, v0
	v_add_co_ci_u32_e32 v1, vcc_lo, s3, v1, vcc_lo
	s_waitcnt vmcnt(0)
	global_store_b128 v[0:1], v[2:5], off
.LBB146_2:
	s_nop 0
	s_sendmsg sendmsg(MSG_DEALLOC_VGPRS)
	s_endpgm
	.section	.rodata,"a",@progbits
	.p2align	6, 0x0
	.amdhsa_kernel _ZN9rocsolver6v33100L9copymatA1I19rocblas_complex_numIdEPS3_EEviiT0_iilPT_
		.amdhsa_group_segment_fixed_size 0
		.amdhsa_private_segment_fixed_size 0
		.amdhsa_kernarg_size 296
		.amdhsa_user_sgpr_count 13
		.amdhsa_user_sgpr_dispatch_ptr 0
		.amdhsa_user_sgpr_queue_ptr 0
		.amdhsa_user_sgpr_kernarg_segment_ptr 1
		.amdhsa_user_sgpr_dispatch_id 0
		.amdhsa_user_sgpr_private_segment_size 0
		.amdhsa_wavefront_size32 1
		.amdhsa_uses_dynamic_stack 0
		.amdhsa_enable_private_segment 0
		.amdhsa_system_sgpr_workgroup_id_x 1
		.amdhsa_system_sgpr_workgroup_id_y 1
		.amdhsa_system_sgpr_workgroup_id_z 1
		.amdhsa_system_sgpr_workgroup_info 0
		.amdhsa_system_vgpr_workitem_id 1
		.amdhsa_next_free_vgpr 9
		.amdhsa_next_free_sgpr 16
		.amdhsa_reserve_vcc 1
		.amdhsa_float_round_mode_32 0
		.amdhsa_float_round_mode_16_64 0
		.amdhsa_float_denorm_mode_32 3
		.amdhsa_float_denorm_mode_16_64 3
		.amdhsa_dx10_clamp 1
		.amdhsa_ieee_mode 1
		.amdhsa_fp16_overflow 0
		.amdhsa_workgroup_processor_mode 1
		.amdhsa_memory_ordered 1
		.amdhsa_forward_progress 0
		.amdhsa_shared_vgpr_count 0
		.amdhsa_exception_fp_ieee_invalid_op 0
		.amdhsa_exception_fp_denorm_src 0
		.amdhsa_exception_fp_ieee_div_zero 0
		.amdhsa_exception_fp_ieee_overflow 0
		.amdhsa_exception_fp_ieee_underflow 0
		.amdhsa_exception_fp_ieee_inexact 0
		.amdhsa_exception_int_div_zero 0
	.end_amdhsa_kernel
	.section	.text._ZN9rocsolver6v33100L9copymatA1I19rocblas_complex_numIdEPS3_EEviiT0_iilPT_,"axG",@progbits,_ZN9rocsolver6v33100L9copymatA1I19rocblas_complex_numIdEPS3_EEviiT0_iilPT_,comdat
.Lfunc_end146:
	.size	_ZN9rocsolver6v33100L9copymatA1I19rocblas_complex_numIdEPS3_EEviiT0_iilPT_, .Lfunc_end146-_ZN9rocsolver6v33100L9copymatA1I19rocblas_complex_numIdEPS3_EEviiT0_iilPT_
                                        ; -- End function
	.section	.AMDGPU.csdata,"",@progbits
; Kernel info:
; codeLenInByte = 320
; NumSgprs: 18
; NumVgprs: 9
; ScratchSize: 0
; MemoryBound: 0
; FloatMode: 240
; IeeeMode: 1
; LDSByteSize: 0 bytes/workgroup (compile time only)
; SGPRBlocks: 2
; VGPRBlocks: 1
; NumSGPRsForWavesPerEU: 18
; NumVGPRsForWavesPerEU: 9
; Occupancy: 16
; WaveLimiterHint : 0
; COMPUTE_PGM_RSRC2:SCRATCH_EN: 0
; COMPUTE_PGM_RSRC2:USER_SGPR: 13
; COMPUTE_PGM_RSRC2:TRAP_HANDLER: 0
; COMPUTE_PGM_RSRC2:TGID_X_EN: 1
; COMPUTE_PGM_RSRC2:TGID_Y_EN: 1
; COMPUTE_PGM_RSRC2:TGID_Z_EN: 1
; COMPUTE_PGM_RSRC2:TIDIG_COMP_CNT: 1
	.section	.text._ZN9rocsolver6v33100L8addmatA1I19rocblas_complex_numIdEPS3_EEviiT0_iilPT_,"axG",@progbits,_ZN9rocsolver6v33100L8addmatA1I19rocblas_complex_numIdEPS3_EEviiT0_iilPT_,comdat
	.globl	_ZN9rocsolver6v33100L8addmatA1I19rocblas_complex_numIdEPS3_EEviiT0_iilPT_ ; -- Begin function _ZN9rocsolver6v33100L8addmatA1I19rocblas_complex_numIdEPS3_EEviiT0_iilPT_
	.p2align	8
	.type	_ZN9rocsolver6v33100L8addmatA1I19rocblas_complex_numIdEPS3_EEviiT0_iilPT_,@function
_ZN9rocsolver6v33100L8addmatA1I19rocblas_complex_numIdEPS3_EEviiT0_iilPT_: ; @_ZN9rocsolver6v33100L8addmatA1I19rocblas_complex_numIdEPS3_EEviiT0_iilPT_
; %bb.0:
	s_clause 0x1
	s_load_b32 s2, s[0:1], 0x34
	s_load_b64 s[8:9], s[0:1], 0x0
	v_bfe_u32 v2, v0, 10, 10
	v_and_b32_e32 v3, 0x3ff, v0
	s_waitcnt lgkmcnt(0)
	s_lshr_b32 s3, s2, 16
	s_and_b32 s2, s2, 0xffff
	s_delay_alu instid0(VALU_DEP_1) | instskip(SKIP_1) | instid1(VALU_DEP_2)
	v_mad_u64_u32 v[0:1], null, s14, s3, v[2:3]
	v_mad_u64_u32 v[1:2], null, s13, s2, v[3:4]
	v_cmp_gt_u32_e32 vcc_lo, s8, v0
	s_delay_alu instid0(VALU_DEP_2) | instskip(NEXT) | instid1(VALU_DEP_1)
	v_cmp_gt_u32_e64 s2, s9, v1
	s_and_b32 s2, s2, vcc_lo
	s_delay_alu instid0(SALU_CYCLE_1)
	s_and_saveexec_b32 s3, s2
	s_cbranch_execz .LBB147_2
; %bb.1:
	s_load_b256 s[0:7], s[0:1], 0x8
	s_ashr_i32 s10, s8, 31
	s_ashr_i32 s11, s9, 31
	s_mul_hi_u32 s12, s8, s15
	s_mul_i32 s13, s8, s15
	s_mul_i32 s10, s10, s15
	;; [unrolled: 1-line block ×3, first 2 shown]
	s_mul_hi_u32 s14, s13, s9
	s_add_i32 s10, s12, s10
	s_add_i32 s11, s14, s11
	s_mul_i32 s12, s10, s9
	v_mad_u64_u32 v[2:3], null, v1, s8, v[0:1]
	v_mov_b32_e32 v3, 0
	s_mul_i32 s10, s13, s9
	s_add_i32 s11, s11, s12
	s_delay_alu instid0(SALU_CYCLE_1)
	s_lshl_b64 s[8:9], s[10:11], 4
	s_waitcnt lgkmcnt(0)
	v_mad_u64_u32 v[4:5], null, v1, s3, v[0:1]
	s_add_u32 s8, s6, s8
	s_mul_i32 s5, s15, s5
	s_mul_hi_u32 s6, s15, s4
	v_mov_b32_e32 v5, v3
	s_mul_i32 s4, s15, s4
	s_addc_u32 s9, s7, s9
	s_add_i32 s5, s6, s5
	v_lshlrev_b64 v[0:1], 4, v[2:3]
	s_lshl_b64 s[4:5], s[4:5], 4
	s_mov_b32 s6, s2
	s_ashr_i32 s7, s2, 31
	v_lshlrev_b64 v[2:3], 4, v[4:5]
	s_add_u32 s2, s0, s4
	s_addc_u32 s3, s1, s5
	s_lshl_b64 s[0:1], s[6:7], 4
	v_add_co_u32 v0, vcc_lo, s8, v0
	s_add_u32 s0, s2, s0
	v_add_co_ci_u32_e32 v1, vcc_lo, s9, v1, vcc_lo
	s_addc_u32 s1, s3, s1
	v_add_co_u32 v8, vcc_lo, s0, v2
	v_add_co_ci_u32_e32 v9, vcc_lo, s1, v3, vcc_lo
	global_load_b128 v[0:3], v[0:1], off
	global_load_b128 v[4:7], v[8:9], off
	s_waitcnt vmcnt(0)
	v_add_f64 v[0:1], v[4:5], -v[0:1]
	v_add_f64 v[2:3], v[6:7], -v[2:3]
	global_store_b128 v[8:9], v[0:3], off
.LBB147_2:
	s_nop 0
	s_sendmsg sendmsg(MSG_DEALLOC_VGPRS)
	s_endpgm
	.section	.rodata,"a",@progbits
	.p2align	6, 0x0
	.amdhsa_kernel _ZN9rocsolver6v33100L8addmatA1I19rocblas_complex_numIdEPS3_EEviiT0_iilPT_
		.amdhsa_group_segment_fixed_size 0
		.amdhsa_private_segment_fixed_size 0
		.amdhsa_kernarg_size 296
		.amdhsa_user_sgpr_count 13
		.amdhsa_user_sgpr_dispatch_ptr 0
		.amdhsa_user_sgpr_queue_ptr 0
		.amdhsa_user_sgpr_kernarg_segment_ptr 1
		.amdhsa_user_sgpr_dispatch_id 0
		.amdhsa_user_sgpr_private_segment_size 0
		.amdhsa_wavefront_size32 1
		.amdhsa_uses_dynamic_stack 0
		.amdhsa_enable_private_segment 0
		.amdhsa_system_sgpr_workgroup_id_x 1
		.amdhsa_system_sgpr_workgroup_id_y 1
		.amdhsa_system_sgpr_workgroup_id_z 1
		.amdhsa_system_sgpr_workgroup_info 0
		.amdhsa_system_vgpr_workitem_id 1
		.amdhsa_next_free_vgpr 10
		.amdhsa_next_free_sgpr 16
		.amdhsa_reserve_vcc 1
		.amdhsa_float_round_mode_32 0
		.amdhsa_float_round_mode_16_64 0
		.amdhsa_float_denorm_mode_32 3
		.amdhsa_float_denorm_mode_16_64 3
		.amdhsa_dx10_clamp 1
		.amdhsa_ieee_mode 1
		.amdhsa_fp16_overflow 0
		.amdhsa_workgroup_processor_mode 1
		.amdhsa_memory_ordered 1
		.amdhsa_forward_progress 0
		.amdhsa_shared_vgpr_count 0
		.amdhsa_exception_fp_ieee_invalid_op 0
		.amdhsa_exception_fp_denorm_src 0
		.amdhsa_exception_fp_ieee_div_zero 0
		.amdhsa_exception_fp_ieee_overflow 0
		.amdhsa_exception_fp_ieee_underflow 0
		.amdhsa_exception_fp_ieee_inexact 0
		.amdhsa_exception_int_div_zero 0
	.end_amdhsa_kernel
	.section	.text._ZN9rocsolver6v33100L8addmatA1I19rocblas_complex_numIdEPS3_EEviiT0_iilPT_,"axG",@progbits,_ZN9rocsolver6v33100L8addmatA1I19rocblas_complex_numIdEPS3_EEviiT0_iilPT_,comdat
.Lfunc_end147:
	.size	_ZN9rocsolver6v33100L8addmatA1I19rocblas_complex_numIdEPS3_EEviiT0_iilPT_, .Lfunc_end147-_ZN9rocsolver6v33100L8addmatA1I19rocblas_complex_numIdEPS3_EEviiT0_iilPT_
                                        ; -- End function
	.section	.AMDGPU.csdata,"",@progbits
; Kernel info:
; codeLenInByte = 348
; NumSgprs: 18
; NumVgprs: 10
; ScratchSize: 0
; MemoryBound: 0
; FloatMode: 240
; IeeeMode: 1
; LDSByteSize: 0 bytes/workgroup (compile time only)
; SGPRBlocks: 2
; VGPRBlocks: 1
; NumSGPRsForWavesPerEU: 18
; NumVGPRsForWavesPerEU: 10
; Occupancy: 16
; WaveLimiterHint : 0
; COMPUTE_PGM_RSRC2:SCRATCH_EN: 0
; COMPUTE_PGM_RSRC2:USER_SGPR: 13
; COMPUTE_PGM_RSRC2:TRAP_HANDLER: 0
; COMPUTE_PGM_RSRC2:TGID_X_EN: 1
; COMPUTE_PGM_RSRC2:TGID_Y_EN: 1
; COMPUTE_PGM_RSRC2:TGID_Z_EN: 1
; COMPUTE_PGM_RSRC2:TIDIG_COMP_CNT: 1
	.section	.text._ZN9rocsolver6v33100L15gesvdj_finalizeI19rocblas_complex_numIdEdEEviPT0_lPT_ilS7_il,"axG",@progbits,_ZN9rocsolver6v33100L15gesvdj_finalizeI19rocblas_complex_numIdEdEEviPT0_lPT_ilS7_il,comdat
	.globl	_ZN9rocsolver6v33100L15gesvdj_finalizeI19rocblas_complex_numIdEdEEviPT0_lPT_ilS7_il ; -- Begin function _ZN9rocsolver6v33100L15gesvdj_finalizeI19rocblas_complex_numIdEdEEviPT0_lPT_ilS7_il
	.p2align	8
	.type	_ZN9rocsolver6v33100L15gesvdj_finalizeI19rocblas_complex_numIdEdEEviPT0_lPT_ilS7_il,@function
_ZN9rocsolver6v33100L15gesvdj_finalizeI19rocblas_complex_numIdEdEEviPT0_lPT_ilS7_il: ; @_ZN9rocsolver6v33100L15gesvdj_finalizeI19rocblas_complex_numIdEdEEviPT0_lPT_ilS7_il
; %bb.0:
	s_clause 0x1
	s_load_b32 s2, s[0:1], 0x54
	s_load_b32 s8, s[0:1], 0x0
	s_mov_b32 s3, exec_lo
	s_waitcnt lgkmcnt(0)
	s_and_b32 s2, s2, 0xffff
	s_delay_alu instid0(SALU_CYCLE_1) | instskip(SKIP_1) | instid1(VALU_DEP_1)
	v_mad_u64_u32 v[1:2], null, s14, s2, v[0:1]
	s_mov_b32 s2, 0
	v_max_i32_e32 v0, 0, v1
	s_delay_alu instid0(VALU_DEP_1)
	v_cmpx_gt_i32_e64 s8, v0
	s_cbranch_execz .LBB148_7
; %bb.1:
	s_clause 0x5
	s_load_b128 s[16:19], s[0:1], 0x8
	s_load_b128 s[4:7], s[0:1], 0x28
	s_load_b64 s[12:13], s[0:1], 0x40
	s_load_b32 s3, s[0:1], 0x20
	s_load_b32 s9, s[0:1], 0x38
	s_load_b64 s[10:11], s[0:1], 0x18
	s_ashr_i32 s14, s15, 31
	v_mov_b32_e32 v0, 0
	s_waitcnt lgkmcnt(0)
	s_mul_i32 s1, s15, s19
	s_mul_hi_u32 s19, s15, s18
	s_mul_i32 s20, s14, s18
	s_add_i32 s1, s19, s1
	s_mul_i32 s0, s15, s18
	s_add_i32 s1, s1, s20
	s_mul_i32 s21, s15, s5
	s_lshl_b64 s[0:1], s[0:1], 3
	s_mul_hi_u32 s19, s15, s4
	s_mul_i32 s20, s14, s4
	s_mul_i32 s18, s15, s4
	s_add_u32 s4, s16, s0
	s_addc_u32 s5, s17, s1
	s_add_i32 s0, s19, s21
	s_mul_i32 s13, s15, s13
	s_add_i32 s19, s0, s20
	s_mul_hi_u32 s0, s15, s12
	s_lshl_b64 s[16:17], s[18:19], 4
	s_mul_i32 s14, s14, s12
	s_add_u32 s1, s10, s16
	s_addc_u32 s10, s11, s17
	s_add_i32 s0, s0, s13
	s_mul_i32 s12, s15, s12
	s_add_i32 s13, s0, s14
	v_cmp_eq_u32_e64 s0, 0, v1
	s_lshl_b64 s[12:13], s[12:13], 4
	s_delay_alu instid0(SALU_CYCLE_1)
	s_add_u32 s6, s6, s12
	s_addc_u32 s7, s7, s13
	s_add_i32 s11, s3, 1
	s_set_inst_prefetch_distance 0x1
	s_branch .LBB148_3
	.p2align	6
.LBB148_2:                              ;   in Loop: Header=BB148_3 Depth=1
	s_add_i32 s8, s8, -1
	v_add_nc_u32_e32 v1, s9, v1
	s_add_i32 s2, s2, s11
	s_add_u32 s4, s4, 8
	s_addc_u32 s5, s5, 0
	s_cmp_lg_u32 s8, 0
	s_cbranch_scc0 .LBB148_7
.LBB148_3:                              ; =>This Inner Loop Header: Depth=1
	s_ashr_i32 s3, s2, 31
	s_delay_alu instid0(SALU_CYCLE_1) | instskip(NEXT) | instid1(SALU_CYCLE_1)
	s_lshl_b64 s[12:13], s[2:3], 4
	s_add_u32 s12, s1, s12
	s_addc_u32 s13, s10, s13
	global_load_b64 v[2:3], v0, s[12:13]
	s_and_saveexec_b32 s3, s0
	s_cbranch_execz .LBB148_5
; %bb.4:                                ;   in Loop: Header=BB148_3 Depth=1
	s_waitcnt vmcnt(0)
	v_dual_mov_b32 v4, v2 :: v_dual_and_b32 v5, 0x7fffffff, v3
	global_store_b64 v0, v[4:5], s[4:5]
.LBB148_5:                              ;   in Loop: Header=BB148_3 Depth=1
	s_or_b32 exec_lo, exec_lo, s3
	s_waitcnt vmcnt(0)
	v_cmp_ngt_f64_e32 vcc_lo, 0, v[2:3]
	s_cbranch_vccnz .LBB148_2
; %bb.6:                                ;   in Loop: Header=BB148_3 Depth=1
	v_ashrrev_i32_e32 v2, 31, v1
	s_delay_alu instid0(VALU_DEP_1) | instskip(NEXT) | instid1(VALU_DEP_1)
	v_lshlrev_b64 v[2:3], 4, v[1:2]
	v_add_co_u32 v6, vcc_lo, s6, v2
	s_delay_alu instid0(VALU_DEP_2)
	v_add_co_ci_u32_e32 v7, vcc_lo, s7, v3, vcc_lo
	global_load_b128 v[2:5], v[6:7], off
	s_waitcnt vmcnt(0)
	v_xor_b32_e32 v3, 0x80000000, v3
	v_xor_b32_e32 v5, 0x80000000, v5
	global_store_b128 v[6:7], v[2:5], off
	s_branch .LBB148_2
.LBB148_7:
	s_set_inst_prefetch_distance 0x2
	s_nop 0
	s_sendmsg sendmsg(MSG_DEALLOC_VGPRS)
	s_endpgm
	.section	.rodata,"a",@progbits
	.p2align	6, 0x0
	.amdhsa_kernel _ZN9rocsolver6v33100L15gesvdj_finalizeI19rocblas_complex_numIdEdEEviPT0_lPT_ilS7_il
		.amdhsa_group_segment_fixed_size 0
		.amdhsa_private_segment_fixed_size 0
		.amdhsa_kernarg_size 328
		.amdhsa_user_sgpr_count 14
		.amdhsa_user_sgpr_dispatch_ptr 0
		.amdhsa_user_sgpr_queue_ptr 0
		.amdhsa_user_sgpr_kernarg_segment_ptr 1
		.amdhsa_user_sgpr_dispatch_id 0
		.amdhsa_user_sgpr_private_segment_size 0
		.amdhsa_wavefront_size32 1
		.amdhsa_uses_dynamic_stack 0
		.amdhsa_enable_private_segment 0
		.amdhsa_system_sgpr_workgroup_id_x 1
		.amdhsa_system_sgpr_workgroup_id_y 1
		.amdhsa_system_sgpr_workgroup_id_z 0
		.amdhsa_system_sgpr_workgroup_info 0
		.amdhsa_system_vgpr_workitem_id 0
		.amdhsa_next_free_vgpr 8
		.amdhsa_next_free_sgpr 22
		.amdhsa_reserve_vcc 1
		.amdhsa_float_round_mode_32 0
		.amdhsa_float_round_mode_16_64 0
		.amdhsa_float_denorm_mode_32 3
		.amdhsa_float_denorm_mode_16_64 3
		.amdhsa_dx10_clamp 1
		.amdhsa_ieee_mode 1
		.amdhsa_fp16_overflow 0
		.amdhsa_workgroup_processor_mode 1
		.amdhsa_memory_ordered 1
		.amdhsa_forward_progress 0
		.amdhsa_shared_vgpr_count 0
		.amdhsa_exception_fp_ieee_invalid_op 0
		.amdhsa_exception_fp_denorm_src 0
		.amdhsa_exception_fp_ieee_div_zero 0
		.amdhsa_exception_fp_ieee_overflow 0
		.amdhsa_exception_fp_ieee_underflow 0
		.amdhsa_exception_fp_ieee_inexact 0
		.amdhsa_exception_int_div_zero 0
	.end_amdhsa_kernel
	.section	.text._ZN9rocsolver6v33100L15gesvdj_finalizeI19rocblas_complex_numIdEdEEviPT0_lPT_ilS7_il,"axG",@progbits,_ZN9rocsolver6v33100L15gesvdj_finalizeI19rocblas_complex_numIdEdEEviPT0_lPT_ilS7_il,comdat
.Lfunc_end148:
	.size	_ZN9rocsolver6v33100L15gesvdj_finalizeI19rocblas_complex_numIdEdEEviPT0_lPT_ilS7_il, .Lfunc_end148-_ZN9rocsolver6v33100L15gesvdj_finalizeI19rocblas_complex_numIdEdEEviPT0_lPT_ilS7_il
                                        ; -- End function
	.section	.AMDGPU.csdata,"",@progbits
; Kernel info:
; codeLenInByte = 460
; NumSgprs: 24
; NumVgprs: 8
; ScratchSize: 0
; MemoryBound: 0
; FloatMode: 240
; IeeeMode: 1
; LDSByteSize: 0 bytes/workgroup (compile time only)
; SGPRBlocks: 2
; VGPRBlocks: 0
; NumSGPRsForWavesPerEU: 24
; NumVGPRsForWavesPerEU: 8
; Occupancy: 16
; WaveLimiterHint : 0
; COMPUTE_PGM_RSRC2:SCRATCH_EN: 0
; COMPUTE_PGM_RSRC2:USER_SGPR: 14
; COMPUTE_PGM_RSRC2:TRAP_HANDLER: 0
; COMPUTE_PGM_RSRC2:TGID_X_EN: 1
; COMPUTE_PGM_RSRC2:TGID_Y_EN: 1
; COMPUTE_PGM_RSRC2:TGID_Z_EN: 0
; COMPUTE_PGM_RSRC2:TIDIG_COMP_CNT: 0
	.section	.text._ZN9rocsolver6v33100L16org2r_init_identI19rocblas_complex_numIdEPS3_EEviiiT0_iil,"axG",@progbits,_ZN9rocsolver6v33100L16org2r_init_identI19rocblas_complex_numIdEPS3_EEviiiT0_iil,comdat
	.globl	_ZN9rocsolver6v33100L16org2r_init_identI19rocblas_complex_numIdEPS3_EEviiiT0_iil ; -- Begin function _ZN9rocsolver6v33100L16org2r_init_identI19rocblas_complex_numIdEPS3_EEviiiT0_iil
	.p2align	8
	.type	_ZN9rocsolver6v33100L16org2r_init_identI19rocblas_complex_numIdEPS3_EEviiiT0_iil,@function
_ZN9rocsolver6v33100L16org2r_init_identI19rocblas_complex_numIdEPS3_EEviiiT0_iil: ; @_ZN9rocsolver6v33100L16org2r_init_identI19rocblas_complex_numIdEPS3_EEviiiT0_iil
; %bb.0:
	s_clause 0x1
	s_load_b32 s2, s[0:1], 0x34
	s_load_b128 s[4:7], s[0:1], 0x0
	v_and_b32_e32 v1, 0x3ff, v0
	v_bfe_u32 v0, v0, 10, 10
	s_waitcnt lgkmcnt(0)
	s_lshr_b32 s3, s2, 16
	s_and_b32 s2, s2, 0xffff
	s_delay_alu instid0(SALU_CYCLE_1) | instskip(SKIP_1) | instid1(VALU_DEP_2)
	v_mad_u64_u32 v[4:5], null, s13, s2, v[1:2]
	v_mad_u64_u32 v[2:3], null, s14, s3, v[0:1]
	v_cmp_gt_u32_e32 vcc_lo, s4, v4
	s_delay_alu instid0(VALU_DEP_2) | instskip(NEXT) | instid1(VALU_DEP_1)
	v_cmp_gt_u32_e64 s2, s5, v2
	s_and_b32 s2, vcc_lo, s2
	s_delay_alu instid0(SALU_CYCLE_1)
	s_and_saveexec_b32 s3, s2
	s_cbranch_execz .LBB149_5
; %bb.1:
	s_clause 0x1
	s_load_b64 s[4:5], s[0:1], 0x20
	s_load_b128 s[0:3], s[0:1], 0x10
                                        ; implicit-def: $vgpr0_vgpr1
	s_waitcnt lgkmcnt(0)
	s_mul_i32 s5, s15, s5
	s_mul_hi_u32 s7, s15, s4
	s_mul_i32 s4, s15, s4
	s_add_i32 s5, s7, s5
	s_ashr_i32 s9, s2, 31
	s_lshl_b64 s[4:5], s[4:5], 4
	s_mov_b32 s8, s2
	s_add_u32 s2, s0, s4
	s_addc_u32 s4, s1, s5
	s_lshl_b64 s[0:1], s[8:9], 4
	s_delay_alu instid0(SALU_CYCLE_1)
	s_add_u32 s0, s2, s0
	s_addc_u32 s1, s4, s1
	s_mov_b32 s4, 0
	s_mov_b32 s2, exec_lo
	v_cmpx_ne_u32_e64 v4, v2
	s_xor_b32 s2, exec_lo, s2
	s_cbranch_execnz .LBB149_6
; %bb.2:
	s_and_not1_saveexec_b32 s2, s2
	s_cbranch_execnz .LBB149_13
.LBB149_3:
	s_or_b32 exec_lo, exec_lo, s2
	s_delay_alu instid0(SALU_CYCLE_1)
	s_and_b32 exec_lo, exec_lo, s4
	s_cbranch_execz .LBB149_5
.LBB149_4:
	v_mov_b32_e32 v2, 0
	s_delay_alu instid0(VALU_DEP_1)
	v_mov_b32_e32 v3, v2
	global_store_b64 v[0:1], v[2:3], off
.LBB149_5:
	s_nop 0
	s_sendmsg sendmsg(MSG_DEALLOC_VGPRS)
	s_endpgm
.LBB149_6:
	s_mov_b32 s5, exec_lo
                                        ; implicit-def: $vgpr0_vgpr1
	v_cmpx_le_u32_e64 v2, v4
	s_xor_b32 s5, exec_lo, s5
	s_cbranch_execz .LBB149_10
; %bb.7:
	v_cmp_le_u32_e32 vcc_lo, s6, v2
                                        ; implicit-def: $vgpr0_vgpr1
	s_and_saveexec_b32 s6, vcc_lo
	s_delay_alu instid0(SALU_CYCLE_1)
	s_xor_b32 s6, exec_lo, s6
	s_cbranch_execz .LBB149_9
; %bb.8:
	v_mad_u64_u32 v[5:6], null, v2, s3, v[4:5]
	v_mov_b32_e32 v6, 0
	s_mov_b32 s4, exec_lo
	s_delay_alu instid0(VALU_DEP_1) | instskip(SKIP_1) | instid1(VALU_DEP_2)
	v_lshlrev_b64 v[0:1], 4, v[5:6]
	v_mov_b32_e32 v5, v6
	v_add_co_u32 v2, vcc_lo, s0, v0
	s_delay_alu instid0(VALU_DEP_3) | instskip(NEXT) | instid1(VALU_DEP_2)
	v_add_co_ci_u32_e32 v3, vcc_lo, s1, v1, vcc_lo
	v_add_co_u32 v0, vcc_lo, v2, 8
	s_delay_alu instid0(VALU_DEP_2)
	v_add_co_ci_u32_e32 v1, vcc_lo, 0, v3, vcc_lo
	global_store_b64 v[2:3], v[5:6], off
.LBB149_9:
	s_or_b32 exec_lo, exec_lo, s6
	s_delay_alu instid0(SALU_CYCLE_1)
	s_and_b32 s4, s4, exec_lo
                                        ; implicit-def: $vgpr4_vgpr5
                                        ; implicit-def: $vgpr2_vgpr3
.LBB149_10:
	s_and_not1_saveexec_b32 s5, s5
	s_cbranch_execz .LBB149_12
; %bb.11:
	v_mad_u64_u32 v[5:6], null, v2, s3, v[4:5]
	v_mov_b32_e32 v6, 0
	s_or_b32 s4, s4, exec_lo
	s_delay_alu instid0(VALU_DEP_1) | instskip(SKIP_1) | instid1(VALU_DEP_2)
	v_lshlrev_b64 v[0:1], 4, v[5:6]
	v_mov_b32_e32 v5, v6
	v_add_co_u32 v2, vcc_lo, s0, v0
	s_delay_alu instid0(VALU_DEP_3) | instskip(NEXT) | instid1(VALU_DEP_2)
	v_add_co_ci_u32_e32 v3, vcc_lo, s1, v1, vcc_lo
	v_add_co_u32 v0, vcc_lo, v2, 8
	s_delay_alu instid0(VALU_DEP_2)
	v_add_co_ci_u32_e32 v1, vcc_lo, 0, v3, vcc_lo
	global_store_b64 v[2:3], v[5:6], off
.LBB149_12:
	s_or_b32 exec_lo, exec_lo, s5
	s_delay_alu instid0(SALU_CYCLE_1)
	s_and_b32 s4, s4, exec_lo
                                        ; implicit-def: $vgpr2_vgpr3
	s_and_not1_saveexec_b32 s2, s2
	s_cbranch_execz .LBB149_3
.LBB149_13:
	v_mad_u64_u32 v[0:1], null, v2, s3, v[2:3]
	v_dual_mov_b32 v1, 0 :: v_dual_mov_b32 v4, 0x3ff00000
	s_or_b32 s4, s4, exec_lo
	s_delay_alu instid0(VALU_DEP_1) | instskip(NEXT) | instid1(VALU_DEP_1)
	v_lshlrev_b64 v[2:3], 4, v[0:1]
	v_add_co_u32 v5, vcc_lo, s0, v2
	s_delay_alu instid0(VALU_DEP_2) | instskip(SKIP_1) | instid1(VALU_DEP_3)
	v_add_co_ci_u32_e32 v6, vcc_lo, s1, v3, vcc_lo
	v_mov_b32_e32 v3, v1
	v_add_co_u32 v0, vcc_lo, v5, 8
	s_delay_alu instid0(VALU_DEP_3) | instskip(SKIP_2) | instid1(SALU_CYCLE_1)
	v_add_co_ci_u32_e32 v1, vcc_lo, 0, v6, vcc_lo
	global_store_b64 v[5:6], v[3:4], off
	s_or_b32 exec_lo, exec_lo, s2
	s_and_b32 exec_lo, exec_lo, s4
	s_cbranch_execnz .LBB149_4
	s_branch .LBB149_5
	.section	.rodata,"a",@progbits
	.p2align	6, 0x0
	.amdhsa_kernel _ZN9rocsolver6v33100L16org2r_init_identI19rocblas_complex_numIdEPS3_EEviiiT0_iil
		.amdhsa_group_segment_fixed_size 0
		.amdhsa_private_segment_fixed_size 0
		.amdhsa_kernarg_size 296
		.amdhsa_user_sgpr_count 13
		.amdhsa_user_sgpr_dispatch_ptr 0
		.amdhsa_user_sgpr_queue_ptr 0
		.amdhsa_user_sgpr_kernarg_segment_ptr 1
		.amdhsa_user_sgpr_dispatch_id 0
		.amdhsa_user_sgpr_private_segment_size 0
		.amdhsa_wavefront_size32 1
		.amdhsa_uses_dynamic_stack 0
		.amdhsa_enable_private_segment 0
		.amdhsa_system_sgpr_workgroup_id_x 1
		.amdhsa_system_sgpr_workgroup_id_y 1
		.amdhsa_system_sgpr_workgroup_id_z 1
		.amdhsa_system_sgpr_workgroup_info 0
		.amdhsa_system_vgpr_workitem_id 1
		.amdhsa_next_free_vgpr 7
		.amdhsa_next_free_sgpr 16
		.amdhsa_reserve_vcc 1
		.amdhsa_float_round_mode_32 0
		.amdhsa_float_round_mode_16_64 0
		.amdhsa_float_denorm_mode_32 3
		.amdhsa_float_denorm_mode_16_64 3
		.amdhsa_dx10_clamp 1
		.amdhsa_ieee_mode 1
		.amdhsa_fp16_overflow 0
		.amdhsa_workgroup_processor_mode 1
		.amdhsa_memory_ordered 1
		.amdhsa_forward_progress 0
		.amdhsa_shared_vgpr_count 0
		.amdhsa_exception_fp_ieee_invalid_op 0
		.amdhsa_exception_fp_denorm_src 0
		.amdhsa_exception_fp_ieee_div_zero 0
		.amdhsa_exception_fp_ieee_overflow 0
		.amdhsa_exception_fp_ieee_underflow 0
		.amdhsa_exception_fp_ieee_inexact 0
		.amdhsa_exception_int_div_zero 0
	.end_amdhsa_kernel
	.section	.text._ZN9rocsolver6v33100L16org2r_init_identI19rocblas_complex_numIdEPS3_EEviiiT0_iil,"axG",@progbits,_ZN9rocsolver6v33100L16org2r_init_identI19rocblas_complex_numIdEPS3_EEviiiT0_iil,comdat
.Lfunc_end149:
	.size	_ZN9rocsolver6v33100L16org2r_init_identI19rocblas_complex_numIdEPS3_EEviiiT0_iil, .Lfunc_end149-_ZN9rocsolver6v33100L16org2r_init_identI19rocblas_complex_numIdEPS3_EEviiiT0_iil
                                        ; -- End function
	.section	.AMDGPU.csdata,"",@progbits
; Kernel info:
; codeLenInByte = 580
; NumSgprs: 18
; NumVgprs: 7
; ScratchSize: 0
; MemoryBound: 0
; FloatMode: 240
; IeeeMode: 1
; LDSByteSize: 0 bytes/workgroup (compile time only)
; SGPRBlocks: 2
; VGPRBlocks: 0
; NumSGPRsForWavesPerEU: 18
; NumVGPRsForWavesPerEU: 7
; Occupancy: 16
; WaveLimiterHint : 0
; COMPUTE_PGM_RSRC2:SCRATCH_EN: 0
; COMPUTE_PGM_RSRC2:USER_SGPR: 13
; COMPUTE_PGM_RSRC2:TRAP_HANDLER: 0
; COMPUTE_PGM_RSRC2:TGID_X_EN: 1
; COMPUTE_PGM_RSRC2:TGID_Y_EN: 1
; COMPUTE_PGM_RSRC2:TGID_Z_EN: 1
; COMPUTE_PGM_RSRC2:TIDIG_COMP_CNT: 1
	.section	.text._ZN9rocsolver6v33100L12subtract_tauI19rocblas_complex_numIdEPS3_EEviiT0_iilPT_l,"axG",@progbits,_ZN9rocsolver6v33100L12subtract_tauI19rocblas_complex_numIdEPS3_EEviiT0_iilPT_l,comdat
	.globl	_ZN9rocsolver6v33100L12subtract_tauI19rocblas_complex_numIdEPS3_EEviiT0_iilPT_l ; -- Begin function _ZN9rocsolver6v33100L12subtract_tauI19rocblas_complex_numIdEPS3_EEviiT0_iilPT_l
	.p2align	8
	.type	_ZN9rocsolver6v33100L12subtract_tauI19rocblas_complex_numIdEPS3_EEviiT0_iilPT_l,@function
_ZN9rocsolver6v33100L12subtract_tauI19rocblas_complex_numIdEPS3_EEviiT0_iilPT_l: ; @_ZN9rocsolver6v33100L12subtract_tauI19rocblas_complex_numIdEPS3_EEviiT0_iilPT_l
; %bb.0:
	s_clause 0x3
	s_load_b64 s[8:9], s[0:1], 0x10
	s_load_b128 s[4:7], s[0:1], 0x18
	s_load_b64 s[10:11], s[0:1], 0x28
	s_load_b128 s[0:3], s[0:1], 0x0
	s_waitcnt lgkmcnt(0)
	s_ashr_i32 s13, s8, 31
	s_mov_b32 s12, s8
	s_mul_i32 s5, s15, s5
	s_mul_hi_u32 s8, s15, s4
	s_mul_i32 s4, s15, s4
	s_add_i32 s5, s8, s5
	s_mul_i32 s8, s15, s11
	s_lshl_b64 s[4:5], s[4:5], 4
	s_mul_hi_u32 s11, s15, s10
	s_add_u32 s14, s2, s4
	s_addc_u32 s5, s3, s5
	s_lshl_b64 s[2:3], s[12:13], 4
	s_mul_i32 s4, s15, s10
	s_add_u32 s10, s14, s2
	s_addc_u32 s12, s5, s3
	s_add_i32 s5, s11, s8
	s_mul_i32 s1, s9, s1
	s_lshl_b64 s[2:3], s[4:5], 4
	s_delay_alu instid0(SALU_CYCLE_1) | instskip(SKIP_4) | instid1(SALU_CYCLE_1)
	s_add_u32 s2, s6, s2
	s_addc_u32 s3, s7, s3
	s_add_i32 s0, s1, s0
	s_load_b128 s[4:7], s[2:3], 0x0
	s_ashr_i32 s1, s0, 31
	s_lshl_b64 s[0:1], s[0:1], 4
	s_waitcnt lgkmcnt(0)
	s_xor_b32 s8, s5, 0x80000000
	s_xor_b32 s7, s7, 0x80000000
	v_dual_mov_b32 v4, 0 :: v_dual_mov_b32 v1, s8
	v_dual_mov_b32 v0, s4 :: v_dual_mov_b32 v3, s7
	v_mov_b32_e32 v2, s6
	s_add_u32 s0, s10, s0
	s_addc_u32 s1, s12, s1
	global_store_b128 v4, v[0:3], s[2:3]
	v_add_f64 v[0:1], -s[4:5], 1.0
	global_store_b128 v4, v[0:3], s[0:1]
	s_nop 0
	s_sendmsg sendmsg(MSG_DEALLOC_VGPRS)
	s_endpgm
	.section	.rodata,"a",@progbits
	.p2align	6, 0x0
	.amdhsa_kernel _ZN9rocsolver6v33100L12subtract_tauI19rocblas_complex_numIdEPS3_EEviiT0_iilPT_l
		.amdhsa_group_segment_fixed_size 0
		.amdhsa_private_segment_fixed_size 0
		.amdhsa_kernarg_size 48
		.amdhsa_user_sgpr_count 15
		.amdhsa_user_sgpr_dispatch_ptr 0
		.amdhsa_user_sgpr_queue_ptr 0
		.amdhsa_user_sgpr_kernarg_segment_ptr 1
		.amdhsa_user_sgpr_dispatch_id 0
		.amdhsa_user_sgpr_private_segment_size 0
		.amdhsa_wavefront_size32 1
		.amdhsa_uses_dynamic_stack 0
		.amdhsa_enable_private_segment 0
		.amdhsa_system_sgpr_workgroup_id_x 1
		.amdhsa_system_sgpr_workgroup_id_y 0
		.amdhsa_system_sgpr_workgroup_id_z 0
		.amdhsa_system_sgpr_workgroup_info 0
		.amdhsa_system_vgpr_workitem_id 0
		.amdhsa_next_free_vgpr 5
		.amdhsa_next_free_sgpr 16
		.amdhsa_reserve_vcc 0
		.amdhsa_float_round_mode_32 0
		.amdhsa_float_round_mode_16_64 0
		.amdhsa_float_denorm_mode_32 3
		.amdhsa_float_denorm_mode_16_64 3
		.amdhsa_dx10_clamp 1
		.amdhsa_ieee_mode 1
		.amdhsa_fp16_overflow 0
		.amdhsa_workgroup_processor_mode 1
		.amdhsa_memory_ordered 1
		.amdhsa_forward_progress 0
		.amdhsa_shared_vgpr_count 0
		.amdhsa_exception_fp_ieee_invalid_op 0
		.amdhsa_exception_fp_denorm_src 0
		.amdhsa_exception_fp_ieee_div_zero 0
		.amdhsa_exception_fp_ieee_overflow 0
		.amdhsa_exception_fp_ieee_underflow 0
		.amdhsa_exception_fp_ieee_inexact 0
		.amdhsa_exception_int_div_zero 0
	.end_amdhsa_kernel
	.section	.text._ZN9rocsolver6v33100L12subtract_tauI19rocblas_complex_numIdEPS3_EEviiT0_iilPT_l,"axG",@progbits,_ZN9rocsolver6v33100L12subtract_tauI19rocblas_complex_numIdEPS3_EEviiT0_iilPT_l,comdat
.Lfunc_end150:
	.size	_ZN9rocsolver6v33100L12subtract_tauI19rocblas_complex_numIdEPS3_EEviiT0_iilPT_l, .Lfunc_end150-_ZN9rocsolver6v33100L12subtract_tauI19rocblas_complex_numIdEPS3_EEviiT0_iilPT_l
                                        ; -- End function
	.section	.AMDGPU.csdata,"",@progbits
; Kernel info:
; codeLenInByte = 228
; NumSgprs: 16
; NumVgprs: 5
; ScratchSize: 0
; MemoryBound: 0
; FloatMode: 240
; IeeeMode: 1
; LDSByteSize: 0 bytes/workgroup (compile time only)
; SGPRBlocks: 1
; VGPRBlocks: 0
; NumSGPRsForWavesPerEU: 16
; NumVGPRsForWavesPerEU: 5
; Occupancy: 16
; WaveLimiterHint : 0
; COMPUTE_PGM_RSRC2:SCRATCH_EN: 0
; COMPUTE_PGM_RSRC2:USER_SGPR: 15
; COMPUTE_PGM_RSRC2:TRAP_HANDLER: 0
; COMPUTE_PGM_RSRC2:TGID_X_EN: 1
; COMPUTE_PGM_RSRC2:TGID_Y_EN: 0
; COMPUTE_PGM_RSRC2:TGID_Z_EN: 0
; COMPUTE_PGM_RSRC2:TIDIG_COMP_CNT: 0
	.section	.text._ZN9rocsolver6v33100L6restauI19rocblas_complex_numIdEEEviPT_l,"axG",@progbits,_ZN9rocsolver6v33100L6restauI19rocblas_complex_numIdEEEviPT_l,comdat
	.globl	_ZN9rocsolver6v33100L6restauI19rocblas_complex_numIdEEEviPT_l ; -- Begin function _ZN9rocsolver6v33100L6restauI19rocblas_complex_numIdEEEviPT_l
	.p2align	8
	.type	_ZN9rocsolver6v33100L6restauI19rocblas_complex_numIdEEEviPT_l,@function
_ZN9rocsolver6v33100L6restauI19rocblas_complex_numIdEEEviPT_l: ; @_ZN9rocsolver6v33100L6restauI19rocblas_complex_numIdEEEviPT_l
; %bb.0:
	s_clause 0x1
	s_load_b32 s2, s[0:1], 0x24
	s_load_b32 s3, s[0:1], 0x0
	s_waitcnt lgkmcnt(0)
	s_and_b32 s2, s2, 0xffff
	s_delay_alu instid0(SALU_CYCLE_1) | instskip(SKIP_1) | instid1(VALU_DEP_1)
	v_mad_u64_u32 v[1:2], null, s14, s2, v[0:1]
	s_mov_b32 s2, exec_lo
	v_cmpx_gt_u32_e64 s3, v1
	s_cbranch_execz .LBB151_2
; %bb.1:
	s_load_b128 s[0:3], s[0:1], 0x8
	v_mov_b32_e32 v2, 0
	s_delay_alu instid0(VALU_DEP_1)
	v_lshlrev_b64 v[0:1], 4, v[1:2]
	s_waitcnt lgkmcnt(0)
	s_mul_i32 s3, s15, s3
	s_mul_hi_u32 s4, s15, s2
	s_mul_i32 s2, s15, s2
	s_add_i32 s3, s4, s3
	s_delay_alu instid0(SALU_CYCLE_1) | instskip(NEXT) | instid1(SALU_CYCLE_1)
	s_lshl_b64 s[2:3], s[2:3], 4
	s_add_u32 s0, s0, s2
	s_addc_u32 s1, s1, s3
	v_add_co_u32 v4, vcc_lo, s0, v0
	v_add_co_ci_u32_e32 v5, vcc_lo, s1, v1, vcc_lo
	global_load_b128 v[0:3], v[4:5], off
	s_waitcnt vmcnt(0)
	v_xor_b32_e32 v1, 0x80000000, v1
	v_xor_b32_e32 v3, 0x80000000, v3
	global_store_b128 v[4:5], v[0:3], off
.LBB151_2:
	s_nop 0
	s_sendmsg sendmsg(MSG_DEALLOC_VGPRS)
	s_endpgm
	.section	.rodata,"a",@progbits
	.p2align	6, 0x0
	.amdhsa_kernel _ZN9rocsolver6v33100L6restauI19rocblas_complex_numIdEEEviPT_l
		.amdhsa_group_segment_fixed_size 0
		.amdhsa_private_segment_fixed_size 0
		.amdhsa_kernarg_size 280
		.amdhsa_user_sgpr_count 14
		.amdhsa_user_sgpr_dispatch_ptr 0
		.amdhsa_user_sgpr_queue_ptr 0
		.amdhsa_user_sgpr_kernarg_segment_ptr 1
		.amdhsa_user_sgpr_dispatch_id 0
		.amdhsa_user_sgpr_private_segment_size 0
		.amdhsa_wavefront_size32 1
		.amdhsa_uses_dynamic_stack 0
		.amdhsa_enable_private_segment 0
		.amdhsa_system_sgpr_workgroup_id_x 1
		.amdhsa_system_sgpr_workgroup_id_y 1
		.amdhsa_system_sgpr_workgroup_id_z 0
		.amdhsa_system_sgpr_workgroup_info 0
		.amdhsa_system_vgpr_workitem_id 0
		.amdhsa_next_free_vgpr 6
		.amdhsa_next_free_sgpr 16
		.amdhsa_reserve_vcc 1
		.amdhsa_float_round_mode_32 0
		.amdhsa_float_round_mode_16_64 0
		.amdhsa_float_denorm_mode_32 3
		.amdhsa_float_denorm_mode_16_64 3
		.amdhsa_dx10_clamp 1
		.amdhsa_ieee_mode 1
		.amdhsa_fp16_overflow 0
		.amdhsa_workgroup_processor_mode 1
		.amdhsa_memory_ordered 1
		.amdhsa_forward_progress 0
		.amdhsa_shared_vgpr_count 0
		.amdhsa_exception_fp_ieee_invalid_op 0
		.amdhsa_exception_fp_denorm_src 0
		.amdhsa_exception_fp_ieee_div_zero 0
		.amdhsa_exception_fp_ieee_overflow 0
		.amdhsa_exception_fp_ieee_underflow 0
		.amdhsa_exception_fp_ieee_inexact 0
		.amdhsa_exception_int_div_zero 0
	.end_amdhsa_kernel
	.section	.text._ZN9rocsolver6v33100L6restauI19rocblas_complex_numIdEEEviPT_l,"axG",@progbits,_ZN9rocsolver6v33100L6restauI19rocblas_complex_numIdEEEviPT_l,comdat
.Lfunc_end151:
	.size	_ZN9rocsolver6v33100L6restauI19rocblas_complex_numIdEEEviPT_l, .Lfunc_end151-_ZN9rocsolver6v33100L6restauI19rocblas_complex_numIdEEEviPT_l
                                        ; -- End function
	.section	.AMDGPU.csdata,"",@progbits
; Kernel info:
; codeLenInByte = 180
; NumSgprs: 18
; NumVgprs: 6
; ScratchSize: 0
; MemoryBound: 0
; FloatMode: 240
; IeeeMode: 1
; LDSByteSize: 0 bytes/workgroup (compile time only)
; SGPRBlocks: 2
; VGPRBlocks: 0
; NumSGPRsForWavesPerEU: 18
; NumVGPRsForWavesPerEU: 6
; Occupancy: 16
; WaveLimiterHint : 0
; COMPUTE_PGM_RSRC2:SCRATCH_EN: 0
; COMPUTE_PGM_RSRC2:USER_SGPR: 14
; COMPUTE_PGM_RSRC2:TRAP_HANDLER: 0
; COMPUTE_PGM_RSRC2:TGID_X_EN: 1
; COMPUTE_PGM_RSRC2:TGID_Y_EN: 1
; COMPUTE_PGM_RSRC2:TGID_Z_EN: 0
; COMPUTE_PGM_RSRC2:TIDIG_COMP_CNT: 0
	.section	.text._ZN9rocsolver6v33100L8set_zeroI19rocblas_complex_numIdEPS3_EEviiT0_iil13rocblas_fill_,"axG",@progbits,_ZN9rocsolver6v33100L8set_zeroI19rocblas_complex_numIdEPS3_EEviiT0_iil13rocblas_fill_,comdat
	.globl	_ZN9rocsolver6v33100L8set_zeroI19rocblas_complex_numIdEPS3_EEviiT0_iil13rocblas_fill_ ; -- Begin function _ZN9rocsolver6v33100L8set_zeroI19rocblas_complex_numIdEPS3_EEviiT0_iil13rocblas_fill_
	.p2align	8
	.type	_ZN9rocsolver6v33100L8set_zeroI19rocblas_complex_numIdEPS3_EEviiT0_iil13rocblas_fill_,@function
_ZN9rocsolver6v33100L8set_zeroI19rocblas_complex_numIdEPS3_EEviiT0_iil13rocblas_fill_: ; @_ZN9rocsolver6v33100L8set_zeroI19rocblas_complex_numIdEPS3_EEviiT0_iil13rocblas_fill_
; %bb.0:
	s_clause 0x1
	s_load_b32 s4, s[0:1], 0x34
	s_load_b64 s[2:3], s[0:1], 0x0
	v_and_b32_e32 v2, 0x3ff, v0
	v_bfe_u32 v3, v0, 10, 10
	s_waitcnt lgkmcnt(0)
	s_lshr_b32 s5, s4, 16
	s_and_b32 s4, s4, 0xffff
	s_delay_alu instid0(VALU_DEP_1) | instid1(SALU_CYCLE_1)
	v_mad_u64_u32 v[0:1], null, s13, s4, v[2:3]
	v_mad_u64_u32 v[1:2], null, s14, s5, v[3:4]
	s_delay_alu instid0(VALU_DEP_2) | instskip(NEXT) | instid1(VALU_DEP_2)
	v_cmp_gt_u32_e32 vcc_lo, s2, v0
	v_cmp_gt_u32_e64 s2, s3, v1
	s_delay_alu instid0(VALU_DEP_1) | instskip(NEXT) | instid1(SALU_CYCLE_1)
	s_and_b32 s2, vcc_lo, s2
	s_and_saveexec_b32 s3, s2
	s_cbranch_execz .LBB152_12
; %bb.1:
	s_load_b32 s3, s[0:1], 0x20
	s_waitcnt lgkmcnt(0)
	s_cmpk_lt_i32 s3, 0x7a
	s_cbranch_scc1 .LBB152_4
; %bb.2:
	s_cmpk_gt_i32 s3, 0x7a
	s_cbranch_scc0 .LBB152_5
; %bb.3:
	s_cmpk_eq_i32 s3, 0x7b
	s_cselect_b32 s2, -1, 0
	s_cbranch_execz .LBB152_6
	s_branch .LBB152_7
.LBB152_4:
	s_mov_b32 s2, 0
	s_cbranch_execnz .LBB152_8
	s_branch .LBB152_10
.LBB152_5:
	s_mov_b32 s2, 0
.LBB152_6:
	v_cmp_gt_u32_e32 vcc_lo, v1, v0
	s_and_not1_b32 s2, s2, exec_lo
	s_and_b32 s4, vcc_lo, exec_lo
	s_delay_alu instid0(SALU_CYCLE_1)
	s_or_b32 s2, s2, s4
.LBB152_7:
	s_branch .LBB152_10
.LBB152_8:
	s_cmpk_eq_i32 s3, 0x79
	s_cbranch_scc0 .LBB152_10
; %bb.9:
	v_cmp_gt_u32_e32 vcc_lo, v0, v1
	s_and_not1_b32 s2, s2, exec_lo
	s_and_b32 s3, vcc_lo, exec_lo
	s_delay_alu instid0(SALU_CYCLE_1)
	s_or_b32 s2, s2, s3
.LBB152_10:
	s_delay_alu instid0(SALU_CYCLE_1)
	s_and_b32 exec_lo, exec_lo, s2
	s_cbranch_execz .LBB152_12
; %bb.11:
	s_clause 0x1
	s_load_b64 s[4:5], s[0:1], 0x18
	s_load_b128 s[0:3], s[0:1], 0x8
	s_waitcnt lgkmcnt(0)
	s_mul_i32 s5, s15, s5
	v_mad_u64_u32 v[2:3], null, v1, s3, v[0:1]
	s_mul_hi_u32 s6, s15, s4
	v_mov_b32_e32 v3, 0
	s_mul_i32 s4, s15, s4
	s_add_i32 s5, s6, s5
	s_ashr_i32 s3, s2, 31
	s_lshl_b64 s[4:5], s[4:5], 4
	s_delay_alu instid0(VALU_DEP_2)
	v_lshlrev_b64 v[0:1], 4, v[2:3]
	s_add_u32 s4, s0, s4
	s_addc_u32 s5, s1, s5
	s_lshl_b64 s[0:1], s[2:3], 4
	v_mov_b32_e32 v4, v3
	s_add_u32 s0, s4, s0
	s_addc_u32 s1, s5, s1
	v_add_co_u32 v0, vcc_lo, s0, v0
	v_mov_b32_e32 v2, v3
	v_add_co_ci_u32_e32 v1, vcc_lo, s1, v1, vcc_lo
	v_mov_b32_e32 v5, v3
	global_store_b128 v[0:1], v[2:5], off
.LBB152_12:
	s_nop 0
	s_sendmsg sendmsg(MSG_DEALLOC_VGPRS)
	s_endpgm
	.section	.rodata,"a",@progbits
	.p2align	6, 0x0
	.amdhsa_kernel _ZN9rocsolver6v33100L8set_zeroI19rocblas_complex_numIdEPS3_EEviiT0_iil13rocblas_fill_
		.amdhsa_group_segment_fixed_size 0
		.amdhsa_private_segment_fixed_size 0
		.amdhsa_kernarg_size 296
		.amdhsa_user_sgpr_count 13
		.amdhsa_user_sgpr_dispatch_ptr 0
		.amdhsa_user_sgpr_queue_ptr 0
		.amdhsa_user_sgpr_kernarg_segment_ptr 1
		.amdhsa_user_sgpr_dispatch_id 0
		.amdhsa_user_sgpr_private_segment_size 0
		.amdhsa_wavefront_size32 1
		.amdhsa_uses_dynamic_stack 0
		.amdhsa_enable_private_segment 0
		.amdhsa_system_sgpr_workgroup_id_x 1
		.amdhsa_system_sgpr_workgroup_id_y 1
		.amdhsa_system_sgpr_workgroup_id_z 1
		.amdhsa_system_sgpr_workgroup_info 0
		.amdhsa_system_vgpr_workitem_id 1
		.amdhsa_next_free_vgpr 6
		.amdhsa_next_free_sgpr 16
		.amdhsa_reserve_vcc 1
		.amdhsa_float_round_mode_32 0
		.amdhsa_float_round_mode_16_64 0
		.amdhsa_float_denorm_mode_32 3
		.amdhsa_float_denorm_mode_16_64 3
		.amdhsa_dx10_clamp 1
		.amdhsa_ieee_mode 1
		.amdhsa_fp16_overflow 0
		.amdhsa_workgroup_processor_mode 1
		.amdhsa_memory_ordered 1
		.amdhsa_forward_progress 0
		.amdhsa_shared_vgpr_count 0
		.amdhsa_exception_fp_ieee_invalid_op 0
		.amdhsa_exception_fp_denorm_src 0
		.amdhsa_exception_fp_ieee_div_zero 0
		.amdhsa_exception_fp_ieee_overflow 0
		.amdhsa_exception_fp_ieee_underflow 0
		.amdhsa_exception_fp_ieee_inexact 0
		.amdhsa_exception_int_div_zero 0
	.end_amdhsa_kernel
	.section	.text._ZN9rocsolver6v33100L8set_zeroI19rocblas_complex_numIdEPS3_EEviiT0_iil13rocblas_fill_,"axG",@progbits,_ZN9rocsolver6v33100L8set_zeroI19rocblas_complex_numIdEPS3_EEviiT0_iil13rocblas_fill_,comdat
.Lfunc_end152:
	.size	_ZN9rocsolver6v33100L8set_zeroI19rocblas_complex_numIdEPS3_EEviiT0_iil13rocblas_fill_, .Lfunc_end152-_ZN9rocsolver6v33100L8set_zeroI19rocblas_complex_numIdEPS3_EEviiT0_iil13rocblas_fill_
                                        ; -- End function
	.section	.AMDGPU.csdata,"",@progbits
; Kernel info:
; codeLenInByte = 364
; NumSgprs: 18
; NumVgprs: 6
; ScratchSize: 0
; MemoryBound: 0
; FloatMode: 240
; IeeeMode: 1
; LDSByteSize: 0 bytes/workgroup (compile time only)
; SGPRBlocks: 2
; VGPRBlocks: 0
; NumSGPRsForWavesPerEU: 18
; NumVGPRsForWavesPerEU: 6
; Occupancy: 16
; WaveLimiterHint : 0
; COMPUTE_PGM_RSRC2:SCRATCH_EN: 0
; COMPUTE_PGM_RSRC2:USER_SGPR: 13
; COMPUTE_PGM_RSRC2:TRAP_HANDLER: 0
; COMPUTE_PGM_RSRC2:TGID_X_EN: 1
; COMPUTE_PGM_RSRC2:TGID_Y_EN: 1
; COMPUTE_PGM_RSRC2:TGID_Z_EN: 1
; COMPUTE_PGM_RSRC2:TIDIG_COMP_CNT: 1
	.text
	.p2alignl 7, 3214868480
	.fill 96, 4, 3214868480
	.type	__const.__assert_fail.fmt,@object ; @__const.__assert_fail.fmt
	.section	.rodata.str1.16,"aMS",@progbits,1
	.p2align	4, 0x0
__const.__assert_fail.fmt:
	.asciz	"%s:%u: %s: Device-side assertion `%s' failed.\n"
	.size	__const.__assert_fail.fmt, 47

	.type	.str.1,@object                  ; @.str.1
	.section	.rodata.str1.1,"aMS",@progbits,1
.str.1:
	.asciz	"total_bytes <= max_lds"
	.size	.str.1, 23

	.type	.str.2,@object                  ; @.str.2
.str.2:
	.asciz	"/root/src/amdgpu-assembly/repos/ROCm__rocSOLVER/library/src/lapack/roclapack_syevj_heevj.hpp"
	.size	.str.2, 93

	.type	__PRETTY_FUNCTION__._ZN9rocsolver6v33100L17syevj_diag_rotateILb0EffPfEEvbiiT2_iilPT0_Pii,@object ; @__PRETTY_FUNCTION__._ZN9rocsolver6v33100L17syevj_diag_rotateILb0EffPfEEvbiiT2_iilPT0_Pii
__PRETTY_FUNCTION__._ZN9rocsolver6v33100L17syevj_diag_rotateILb0EffPfEEvbiiT2_iilPT0_Pii:
	.asciz	"void rocsolver::syevj_diag_rotate(const bool, const rocblas_int, const rocblas_int, U, const rocblas_int, const rocblas_int, const rocblas_stride, T *, rocblas_int *, rocblas_int) [APPLY_LEFT = false, T = float, S = float, U = float *]"
	.size	__PRETTY_FUNCTION__._ZN9rocsolver6v33100L17syevj_diag_rotateILb0EffPfEEvbiiT2_iilPT0_Pii, 236

	.type	__PRETTY_FUNCTION__._ZN9rocsolver6v33100L17syevj_diag_rotateILb1EffPfEEvbiiT2_iilPT0_Pii,@object ; @__PRETTY_FUNCTION__._ZN9rocsolver6v33100L17syevj_diag_rotateILb1EffPfEEvbiiT2_iilPT0_Pii
__PRETTY_FUNCTION__._ZN9rocsolver6v33100L17syevj_diag_rotateILb1EffPfEEvbiiT2_iilPT0_Pii:
	.asciz	"void rocsolver::syevj_diag_rotate(const bool, const rocblas_int, const rocblas_int, U, const rocblas_int, const rocblas_int, const rocblas_stride, T *, rocblas_int *, rocblas_int) [APPLY_LEFT = true, T = float, S = float, U = float *]"
	.size	__PRETTY_FUNCTION__._ZN9rocsolver6v33100L17syevj_diag_rotateILb1EffPfEEvbiiT2_iilPT0_Pii, 235

	.type	__PRETTY_FUNCTION__._ZN9rocsolver6v33100L17syevj_diag_rotateILb0EddPdEEvbiiT2_iilPT0_Pii,@object ; @__PRETTY_FUNCTION__._ZN9rocsolver6v33100L17syevj_diag_rotateILb0EddPdEEvbiiT2_iilPT0_Pii
__PRETTY_FUNCTION__._ZN9rocsolver6v33100L17syevj_diag_rotateILb0EddPdEEvbiiT2_iilPT0_Pii:
	.asciz	"void rocsolver::syevj_diag_rotate(const bool, const rocblas_int, const rocblas_int, U, const rocblas_int, const rocblas_int, const rocblas_stride, T *, rocblas_int *, rocblas_int) [APPLY_LEFT = false, T = double, S = double, U = double *]"
	.size	__PRETTY_FUNCTION__._ZN9rocsolver6v33100L17syevj_diag_rotateILb0EddPdEEvbiiT2_iilPT0_Pii, 239

	.type	__PRETTY_FUNCTION__._ZN9rocsolver6v33100L17syevj_diag_rotateILb1EddPdEEvbiiT2_iilPT0_Pii,@object ; @__PRETTY_FUNCTION__._ZN9rocsolver6v33100L17syevj_diag_rotateILb1EddPdEEvbiiT2_iilPT0_Pii
__PRETTY_FUNCTION__._ZN9rocsolver6v33100L17syevj_diag_rotateILb1EddPdEEvbiiT2_iilPT0_Pii:
	.asciz	"void rocsolver::syevj_diag_rotate(const bool, const rocblas_int, const rocblas_int, U, const rocblas_int, const rocblas_int, const rocblas_stride, T *, rocblas_int *, rocblas_int) [APPLY_LEFT = true, T = double, S = double, U = double *]"
	.size	__PRETTY_FUNCTION__._ZN9rocsolver6v33100L17syevj_diag_rotateILb1EddPdEEvbiiT2_iilPT0_Pii, 238

	.type	__PRETTY_FUNCTION__._ZN9rocsolver6v33100L17syevj_diag_rotateILb0E19rocblas_complex_numIfEfPS3_EEvbiiT2_iilPT0_Pii,@object ; @__PRETTY_FUNCTION__._ZN9rocsolver6v33100L17syevj_diag_rotateILb0E19rocblas_complex_numIfEfPS3_EEvbiiT2_iilPT0_Pii
__PRETTY_FUNCTION__._ZN9rocsolver6v33100L17syevj_diag_rotateILb0E19rocblas_complex_numIfEfPS3_EEvbiiT2_iilPT0_Pii:
	.asciz	"void rocsolver::syevj_diag_rotate(const bool, const rocblas_int, const rocblas_int, U, const rocblas_int, const rocblas_int, const rocblas_stride, T *, rocblas_int *, rocblas_int) [APPLY_LEFT = false, T = rocblas_complex_num<float>, S = float, U = rocblas_complex_num<float> *]"
	.size	__PRETTY_FUNCTION__._ZN9rocsolver6v33100L17syevj_diag_rotateILb0E19rocblas_complex_numIfEfPS3_EEvbiiT2_iilPT0_Pii, 278

	.type	__PRETTY_FUNCTION__._ZN9rocsolver6v33100L17syevj_diag_rotateILb1E19rocblas_complex_numIfEfPS3_EEvbiiT2_iilPT0_Pii,@object ; @__PRETTY_FUNCTION__._ZN9rocsolver6v33100L17syevj_diag_rotateILb1E19rocblas_complex_numIfEfPS3_EEvbiiT2_iilPT0_Pii
__PRETTY_FUNCTION__._ZN9rocsolver6v33100L17syevj_diag_rotateILb1E19rocblas_complex_numIfEfPS3_EEvbiiT2_iilPT0_Pii:
	.asciz	"void rocsolver::syevj_diag_rotate(const bool, const rocblas_int, const rocblas_int, U, const rocblas_int, const rocblas_int, const rocblas_stride, T *, rocblas_int *, rocblas_int) [APPLY_LEFT = true, T = rocblas_complex_num<float>, S = float, U = rocblas_complex_num<float> *]"
	.size	__PRETTY_FUNCTION__._ZN9rocsolver6v33100L17syevj_diag_rotateILb1E19rocblas_complex_numIfEfPS3_EEvbiiT2_iilPT0_Pii, 277

	.type	__PRETTY_FUNCTION__._ZN9rocsolver6v33100L17syevj_diag_rotateILb0E19rocblas_complex_numIdEdPS3_EEvbiiT2_iilPT0_Pii,@object ; @__PRETTY_FUNCTION__._ZN9rocsolver6v33100L17syevj_diag_rotateILb0E19rocblas_complex_numIdEdPS3_EEvbiiT2_iilPT0_Pii
__PRETTY_FUNCTION__._ZN9rocsolver6v33100L17syevj_diag_rotateILb0E19rocblas_complex_numIdEdPS3_EEvbiiT2_iilPT0_Pii:
	.asciz	"void rocsolver::syevj_diag_rotate(const bool, const rocblas_int, const rocblas_int, U, const rocblas_int, const rocblas_int, const rocblas_stride, T *, rocblas_int *, rocblas_int) [APPLY_LEFT = false, T = rocblas_complex_num<double>, S = double, U = rocblas_complex_num<double> *]"
	.size	__PRETTY_FUNCTION__._ZN9rocsolver6v33100L17syevj_diag_rotateILb0E19rocblas_complex_numIdEdPS3_EEvbiiT2_iilPT0_Pii, 281

	.type	__PRETTY_FUNCTION__._ZN9rocsolver6v33100L17syevj_diag_rotateILb1E19rocblas_complex_numIdEdPS3_EEvbiiT2_iilPT0_Pii,@object ; @__PRETTY_FUNCTION__._ZN9rocsolver6v33100L17syevj_diag_rotateILb1E19rocblas_complex_numIdEdPS3_EEvbiiT2_iilPT0_Pii
__PRETTY_FUNCTION__._ZN9rocsolver6v33100L17syevj_diag_rotateILb1E19rocblas_complex_numIdEdPS3_EEvbiiT2_iilPT0_Pii:
	.asciz	"void rocsolver::syevj_diag_rotate(const bool, const rocblas_int, const rocblas_int, U, const rocblas_int, const rocblas_int, const rocblas_stride, T *, rocblas_int *, rocblas_int) [APPLY_LEFT = true, T = rocblas_complex_num<double>, S = double, U = rocblas_complex_num<double> *]"
	.size	__PRETTY_FUNCTION__._ZN9rocsolver6v33100L17syevj_diag_rotateILb1E19rocblas_complex_numIdEdPS3_EEvbiiT2_iilPT0_Pii, 280

	.type	__hip_cuid_a3b2310542b20f5,@object ; @__hip_cuid_a3b2310542b20f5
	.section	.bss,"aw",@nobits
	.globl	__hip_cuid_a3b2310542b20f5
__hip_cuid_a3b2310542b20f5:
	.byte	0                               ; 0x0
	.size	__hip_cuid_a3b2310542b20f5, 1

	.ident	"AMD clang version 19.0.0git (https://github.com/RadeonOpenCompute/llvm-project roc-6.4.0 25133 c7fe45cf4b819c5991fe208aaa96edf142730f1d)"
	.section	".note.GNU-stack","",@progbits
	.addrsig
	.addrsig_sym __hip_cuid_a3b2310542b20f5
	.amdgpu_metadata
---
amdhsa.kernels:
  - .args:
      - .address_space:  global
        .offset:         0
        .size:           8
        .value_kind:     global_buffer
      - .offset:         8
        .size:           4
        .value_kind:     by_value
      - .offset:         12
        .size:           4
        .value_kind:     by_value
    .group_segment_fixed_size: 0
    .kernarg_segment_align: 8
    .kernarg_segment_size: 16
    .language:       OpenCL C
    .language_version:
      - 2
      - 0
    .max_flat_workgroup_size: 32
    .name:           _ZN9rocsolver6v33100L6iota_nIfEEvPT_jS2_
    .private_segment_fixed_size: 0
    .sgpr_count:     6
    .sgpr_spill_count: 0
    .symbol:         _ZN9rocsolver6v33100L6iota_nIfEEvPT_jS2_.kd
    .uniform_work_group_size: 1
    .uses_dynamic_stack: false
    .vgpr_count:     2
    .vgpr_spill_count: 0
    .wavefront_size: 32
    .workgroup_processor_mode: 1
  - .args:
      - .address_space:  global
        .offset:         0
        .size:           8
        .value_kind:     global_buffer
      - .offset:         8
        .size:           4
        .value_kind:     by_value
      - .offset:         12
        .size:           4
        .value_kind:     by_value
      - .offset:         16
        .size:           4
        .value_kind:     by_value
      - .offset:         24
        .size:           4
        .value_kind:     hidden_block_count_x
      - .offset:         28
        .size:           4
        .value_kind:     hidden_block_count_y
      - .offset:         32
        .size:           4
        .value_kind:     hidden_block_count_z
      - .offset:         36
        .size:           2
        .value_kind:     hidden_group_size_x
      - .offset:         38
        .size:           2
        .value_kind:     hidden_group_size_y
      - .offset:         40
        .size:           2
        .value_kind:     hidden_group_size_z
      - .offset:         42
        .size:           2
        .value_kind:     hidden_remainder_x
      - .offset:         44
        .size:           2
        .value_kind:     hidden_remainder_y
      - .offset:         46
        .size:           2
        .value_kind:     hidden_remainder_z
      - .offset:         64
        .size:           8
        .value_kind:     hidden_global_offset_x
      - .offset:         72
        .size:           8
        .value_kind:     hidden_global_offset_y
      - .offset:         80
        .size:           8
        .value_kind:     hidden_global_offset_z
      - .offset:         88
        .size:           2
        .value_kind:     hidden_grid_dims
    .group_segment_fixed_size: 0
    .kernarg_segment_align: 8
    .kernarg_segment_size: 280
    .language:       OpenCL C
    .language_version:
      - 2
      - 0
    .max_flat_workgroup_size: 1024
    .name:           _ZN9rocsolver6v33100L10reset_infoIfiiEEvPT_T0_T1_S4_
    .private_segment_fixed_size: 0
    .sgpr_count:     18
    .sgpr_spill_count: 0
    .symbol:         _ZN9rocsolver6v33100L10reset_infoIfiiEEvPT_T0_T1_S4_.kd
    .uniform_work_group_size: 1
    .uses_dynamic_stack: false
    .vgpr_count:     5
    .vgpr_spill_count: 0
    .wavefront_size: 32
    .workgroup_processor_mode: 1
  - .args:
      - .address_space:  global
        .offset:         0
        .size:           8
        .value_kind:     global_buffer
      - .offset:         8
        .size:           4
        .value_kind:     by_value
      - .offset:         12
        .size:           4
        .value_kind:     by_value
      - .offset:         16
        .size:           4
        .value_kind:     by_value
      - .offset:         24
        .size:           4
        .value_kind:     hidden_block_count_x
      - .offset:         28
        .size:           4
        .value_kind:     hidden_block_count_y
      - .offset:         32
        .size:           4
        .value_kind:     hidden_block_count_z
      - .offset:         36
        .size:           2
        .value_kind:     hidden_group_size_x
      - .offset:         38
        .size:           2
        .value_kind:     hidden_group_size_y
      - .offset:         40
        .size:           2
        .value_kind:     hidden_group_size_z
      - .offset:         42
        .size:           2
        .value_kind:     hidden_remainder_x
      - .offset:         44
        .size:           2
        .value_kind:     hidden_remainder_y
      - .offset:         46
        .size:           2
        .value_kind:     hidden_remainder_z
      - .offset:         64
        .size:           8
        .value_kind:     hidden_global_offset_x
      - .offset:         72
        .size:           8
        .value_kind:     hidden_global_offset_y
      - .offset:         80
        .size:           8
        .value_kind:     hidden_global_offset_z
      - .offset:         88
        .size:           2
        .value_kind:     hidden_grid_dims
    .group_segment_fixed_size: 0
    .kernarg_segment_align: 8
    .kernarg_segment_size: 280
    .language:       OpenCL C
    .language_version:
      - 2
      - 0
    .max_flat_workgroup_size: 1024
    .name:           _ZN9rocsolver6v33100L10reset_infoIiiiEEvPT_T0_T1_S4_
    .private_segment_fixed_size: 0
    .sgpr_count:     18
    .sgpr_spill_count: 0
    .symbol:         _ZN9rocsolver6v33100L10reset_infoIiiiEEvPT_T0_T1_S4_.kd
    .uniform_work_group_size: 1
    .uses_dynamic_stack: false
    .vgpr_count:     6
    .vgpr_spill_count: 0
    .wavefront_size: 32
    .workgroup_processor_mode: 1
  - .args:
      - .offset:         0
        .size:           4
        .value_kind:     by_value
      - .address_space:  global
        .offset:         8
        .size:           8
        .value_kind:     global_buffer
      - .offset:         16
        .size:           8
        .value_kind:     by_value
      - .address_space:  global
        .offset:         24
        .size:           8
        .value_kind:     global_buffer
      - .offset:         32
        .size:           8
        .value_kind:     by_value
      - .offset:         40
        .size:           4
        .value_kind:     by_value
      - .offset:         48
        .size:           4
        .value_kind:     hidden_block_count_x
      - .offset:         52
        .size:           4
        .value_kind:     hidden_block_count_y
      - .offset:         56
        .size:           4
        .value_kind:     hidden_block_count_z
      - .offset:         60
        .size:           2
        .value_kind:     hidden_group_size_x
      - .offset:         62
        .size:           2
        .value_kind:     hidden_group_size_y
      - .offset:         64
        .size:           2
        .value_kind:     hidden_group_size_z
      - .offset:         66
        .size:           2
        .value_kind:     hidden_remainder_x
      - .offset:         68
        .size:           2
        .value_kind:     hidden_remainder_y
      - .offset:         70
        .size:           2
        .value_kind:     hidden_remainder_z
      - .offset:         88
        .size:           8
        .value_kind:     hidden_global_offset_x
      - .offset:         96
        .size:           8
        .value_kind:     hidden_global_offset_y
      - .offset:         104
        .size:           8
        .value_kind:     hidden_global_offset_z
      - .offset:         112
        .size:           2
        .value_kind:     hidden_grid_dims
    .group_segment_fixed_size: 0
    .kernarg_segment_align: 8
    .kernarg_segment_size: 304
    .language:       OpenCL C
    .language_version:
      - 2
      - 0
    .max_flat_workgroup_size: 1024
    .name:           _ZN9rocsolver6v33100L16syev_scalar_caseIfPfTnNSt9enable_ifIXnt18rocblas_is_complexIT_EEiE4typeELi0EEEv14rocblas_evect_T0_lPS4_li
    .private_segment_fixed_size: 0
    .sgpr_count:     18
    .sgpr_spill_count: 0
    .symbol:         _ZN9rocsolver6v33100L16syev_scalar_caseIfPfTnNSt9enable_ifIXnt18rocblas_is_complexIT_EEiE4typeELi0EEEv14rocblas_evect_T0_lPS4_li.kd
    .uniform_work_group_size: 1
    .uses_dynamic_stack: false
    .vgpr_count:     8
    .vgpr_spill_count: 0
    .wavefront_size: 32
    .workgroup_processor_mode: 1
  - .args:
      - .offset:         0
        .size:           4
        .value_kind:     by_value
      - .offset:         4
        .size:           4
        .value_kind:     by_value
      - .offset:         8
        .size:           4
        .value_kind:     by_value
      - .offset:         12
        .size:           4
        .value_kind:     by_value
      - .address_space:  global
        .offset:         16
        .size:           8
        .value_kind:     global_buffer
      - .offset:         24
        .size:           4
        .value_kind:     by_value
      - .offset:         28
        .size:           4
        .value_kind:     by_value
      - .offset:         32
        .size:           8
        .value_kind:     by_value
      - .offset:         40
        .size:           4
        .value_kind:     by_value
      - .offset:         44
        .size:           4
        .value_kind:     by_value
      - .address_space:  global
        .offset:         48
        .size:           8
        .value_kind:     global_buffer
      - .offset:         56
        .size:           4
        .value_kind:     by_value
      - .address_space:  global
        .offset:         64
        .size:           8
        .value_kind:     global_buffer
      - .address_space:  global
        .offset:         72
        .size:           8
        .value_kind:     global_buffer
      - .offset:         80
        .size:           8
        .value_kind:     by_value
      - .address_space:  global
        .offset:         88
        .size:           8
        .value_kind:     global_buffer
      - .address_space:  global
        .offset:         96
        .size:           8
        .value_kind:     global_buffer
    .group_segment_fixed_size: 0
    .kernarg_segment_align: 8
    .kernarg_segment_size: 104
    .language:       OpenCL C
    .language_version:
      - 2
      - 0
    .max_flat_workgroup_size: 1024
    .name:           _ZN9rocsolver6v33100L18syevj_small_kernelIffPfEEv14rocblas_esort_14rocblas_evect_13rocblas_fill_iT1_iilT0_S7_PS7_iPiS8_lS9_PT_
    .private_segment_fixed_size: 0
    .sgpr_count:     66
    .sgpr_spill_count: 0
    .symbol:         _ZN9rocsolver6v33100L18syevj_small_kernelIffPfEEv14rocblas_esort_14rocblas_evect_13rocblas_fill_iT1_iilT0_S7_PS7_iPiS8_lS9_PT_.kd
    .uniform_work_group_size: 1
    .uses_dynamic_stack: false
    .vgpr_count:     36
    .vgpr_spill_count: 0
    .wavefront_size: 32
    .workgroup_processor_mode: 1
  - .args:
      - .offset:         0
        .size:           4
        .value_kind:     by_value
      - .offset:         4
        .size:           4
        .value_kind:     by_value
      - .offset:         8
        .size:           4
        .value_kind:     by_value
      - .offset:         12
        .size:           4
        .value_kind:     by_value
      - .address_space:  global
        .offset:         16
        .size:           8
        .value_kind:     global_buffer
      - .offset:         24
        .size:           4
        .value_kind:     by_value
      - .offset:         28
        .size:           4
        .value_kind:     by_value
      - .offset:         32
        .size:           8
        .value_kind:     by_value
      - .offset:         40
        .size:           4
        .value_kind:     by_value
      - .address_space:  global
        .offset:         48
        .size:           8
        .value_kind:     global_buffer
      - .address_space:  global
        .offset:         56
        .size:           8
        .value_kind:     global_buffer
      - .address_space:  global
        .offset:         64
        .size:           8
        .value_kind:     global_buffer
      - .address_space:  global
        .offset:         72
        .size:           8
        .value_kind:     global_buffer
      - .address_space:  global
        .offset:         80
        .size:           8
        .value_kind:     global_buffer
      - .address_space:  global
        .offset:         88
        .size:           8
        .value_kind:     global_buffer
      - .offset:         96
        .size:           4
        .value_kind:     hidden_block_count_x
      - .offset:         100
        .size:           4
        .value_kind:     hidden_block_count_y
      - .offset:         104
        .size:           4
        .value_kind:     hidden_block_count_z
      - .offset:         108
        .size:           2
        .value_kind:     hidden_group_size_x
      - .offset:         110
        .size:           2
        .value_kind:     hidden_group_size_y
      - .offset:         112
        .size:           2
        .value_kind:     hidden_group_size_z
      - .offset:         114
        .size:           2
        .value_kind:     hidden_remainder_x
      - .offset:         116
        .size:           2
        .value_kind:     hidden_remainder_y
      - .offset:         118
        .size:           2
        .value_kind:     hidden_remainder_z
      - .offset:         136
        .size:           8
        .value_kind:     hidden_global_offset_x
      - .offset:         144
        .size:           8
        .value_kind:     hidden_global_offset_y
      - .offset:         152
        .size:           8
        .value_kind:     hidden_global_offset_z
      - .offset:         160
        .size:           2
        .value_kind:     hidden_grid_dims
      - .offset:         216
        .size:           4
        .value_kind:     hidden_dynamic_lds_size
    .group_segment_fixed_size: 0
    .kernarg_segment_align: 8
    .kernarg_segment_size: 352
    .language:       OpenCL C
    .language_version:
      - 2
      - 0
    .max_flat_workgroup_size: 1024
    .name:           _ZN9rocsolver6v33100L10syevj_initIffPfEEv14rocblas_evect_13rocblas_fill_iiT1_iilT0_PS6_PT_S7_PiSA_SA_
    .private_segment_fixed_size: 0
    .sgpr_count:     49
    .sgpr_spill_count: 0
    .symbol:         _ZN9rocsolver6v33100L10syevj_initIffPfEEv14rocblas_evect_13rocblas_fill_iiT1_iilT0_PS6_PT_S7_PiSA_SA_.kd
    .uniform_work_group_size: 1
    .uses_dynamic_stack: false
    .vgpr_count:     22
    .vgpr_spill_count: 0
    .wavefront_size: 32
    .workgroup_processor_mode: 1
  - .args:
      - .offset:         0
        .size:           4
        .value_kind:     by_value
      - .address_space:  global
        .offset:         8
        .size:           8
        .value_kind:     global_buffer
      - .offset:         16
        .size:           4
        .value_kind:     by_value
      - .offset:         20
        .size:           4
        .value_kind:     by_value
      - .offset:         24
        .size:           8
        .value_kind:     by_value
      - .offset:         32
        .size:           4
        .value_kind:     by_value
      - .address_space:  global
        .offset:         40
        .size:           8
        .value_kind:     global_buffer
      - .address_space:  global
        .offset:         48
        .size:           8
        .value_kind:     global_buffer
      - .offset:         56
        .size:           4
        .value_kind:     hidden_block_count_x
      - .offset:         60
        .size:           4
        .value_kind:     hidden_block_count_y
      - .offset:         64
        .size:           4
        .value_kind:     hidden_block_count_z
      - .offset:         68
        .size:           2
        .value_kind:     hidden_group_size_x
      - .offset:         70
        .size:           2
        .value_kind:     hidden_group_size_y
      - .offset:         72
        .size:           2
        .value_kind:     hidden_group_size_z
      - .offset:         74
        .size:           2
        .value_kind:     hidden_remainder_x
      - .offset:         76
        .size:           2
        .value_kind:     hidden_remainder_y
      - .offset:         78
        .size:           2
        .value_kind:     hidden_remainder_z
      - .offset:         96
        .size:           8
        .value_kind:     hidden_global_offset_x
      - .offset:         104
        .size:           8
        .value_kind:     hidden_global_offset_y
      - .offset:         112
        .size:           8
        .value_kind:     hidden_global_offset_z
      - .offset:         120
        .size:           2
        .value_kind:     hidden_grid_dims
      - .offset:         176
        .size:           4
        .value_kind:     hidden_dynamic_lds_size
    .group_segment_fixed_size: 0
    .kernarg_segment_align: 8
    .kernarg_segment_size: 312
    .language:       OpenCL C
    .language_version:
      - 2
      - 0
    .max_flat_workgroup_size: 1024
    .name:           _ZN9rocsolver6v33100L17syevj_diag_kernelIffPfEEviT1_iilT0_PT_Pi
    .private_segment_fixed_size: 0
    .sgpr_count:     25
    .sgpr_spill_count: 0
    .symbol:         _ZN9rocsolver6v33100L17syevj_diag_kernelIffPfEEviT1_iilT0_PT_Pi.kd
    .uniform_work_group_size: 1
    .uses_dynamic_stack: false
    .vgpr_count:     28
    .vgpr_spill_count: 0
    .wavefront_size: 32
    .workgroup_processor_mode: 1
  - .args:
      - .offset:         0
        .size:           1
        .value_kind:     by_value
      - .offset:         4
        .size:           4
        .value_kind:     by_value
      - .address_space:  global
        .offset:         8
        .size:           8
        .value_kind:     global_buffer
      - .offset:         16
        .size:           4
        .value_kind:     by_value
      - .offset:         20
        .size:           4
        .value_kind:     by_value
      - .offset:         24
        .size:           8
        .value_kind:     by_value
      - .address_space:  global
        .offset:         32
        .size:           8
        .value_kind:     global_buffer
      - .address_space:  global
        .offset:         40
        .size:           8
        .value_kind:     global_buffer
      - .offset:         48
        .size:           4
        .value_kind:     hidden_block_count_x
      - .offset:         52
        .size:           4
        .value_kind:     hidden_block_count_y
      - .offset:         56
        .size:           4
        .value_kind:     hidden_block_count_z
      - .offset:         60
        .size:           2
        .value_kind:     hidden_group_size_x
      - .offset:         62
        .size:           2
        .value_kind:     hidden_group_size_y
      - .offset:         64
        .size:           2
        .value_kind:     hidden_group_size_z
      - .offset:         66
        .size:           2
        .value_kind:     hidden_remainder_x
      - .offset:         68
        .size:           2
        .value_kind:     hidden_remainder_y
      - .offset:         70
        .size:           2
        .value_kind:     hidden_remainder_z
      - .offset:         88
        .size:           8
        .value_kind:     hidden_global_offset_x
      - .offset:         96
        .size:           8
        .value_kind:     hidden_global_offset_y
      - .offset:         104
        .size:           8
        .value_kind:     hidden_global_offset_z
      - .offset:         112
        .size:           2
        .value_kind:     hidden_grid_dims
    .group_segment_fixed_size: 0
    .kernarg_segment_align: 8
    .kernarg_segment_size: 304
    .language:       OpenCL C
    .language_version:
      - 2
      - 0
    .max_flat_workgroup_size: 1024
    .name:           _ZN9rocsolver6v33100L21syevj_diag_rotate_orgILb0EffPfEEvbiT2_iilPT0_Pi
    .private_segment_fixed_size: 0
    .sgpr_count:     22
    .sgpr_spill_count: 0
    .symbol:         _ZN9rocsolver6v33100L21syevj_diag_rotate_orgILb0EffPfEEvbiT2_iilPT0_Pi.kd
    .uniform_work_group_size: 1
    .uses_dynamic_stack: false
    .vgpr_count:     9
    .vgpr_spill_count: 0
    .wavefront_size: 32
    .workgroup_processor_mode: 1
  - .args:
      - .offset:         0
        .size:           1
        .value_kind:     by_value
      - .offset:         4
        .size:           4
        .value_kind:     by_value
      - .address_space:  global
        .offset:         8
        .size:           8
        .value_kind:     global_buffer
      - .offset:         16
        .size:           4
        .value_kind:     by_value
      - .offset:         20
        .size:           4
        .value_kind:     by_value
      - .offset:         24
        .size:           8
        .value_kind:     by_value
      - .address_space:  global
        .offset:         32
        .size:           8
        .value_kind:     global_buffer
      - .address_space:  global
        .offset:         40
        .size:           8
        .value_kind:     global_buffer
      - .offset:         48
        .size:           4
        .value_kind:     hidden_block_count_x
      - .offset:         52
        .size:           4
        .value_kind:     hidden_block_count_y
      - .offset:         56
        .size:           4
        .value_kind:     hidden_block_count_z
      - .offset:         60
        .size:           2
        .value_kind:     hidden_group_size_x
      - .offset:         62
        .size:           2
        .value_kind:     hidden_group_size_y
      - .offset:         64
        .size:           2
        .value_kind:     hidden_group_size_z
      - .offset:         66
        .size:           2
        .value_kind:     hidden_remainder_x
      - .offset:         68
        .size:           2
        .value_kind:     hidden_remainder_y
      - .offset:         70
        .size:           2
        .value_kind:     hidden_remainder_z
      - .offset:         88
        .size:           8
        .value_kind:     hidden_global_offset_x
      - .offset:         96
        .size:           8
        .value_kind:     hidden_global_offset_y
      - .offset:         104
        .size:           8
        .value_kind:     hidden_global_offset_z
      - .offset:         112
        .size:           2
        .value_kind:     hidden_grid_dims
    .group_segment_fixed_size: 0
    .kernarg_segment_align: 8
    .kernarg_segment_size: 304
    .language:       OpenCL C
    .language_version:
      - 2
      - 0
    .max_flat_workgroup_size: 1024
    .name:           _ZN9rocsolver6v33100L21syevj_diag_rotate_orgILb1EffPfEEvbiT2_iilPT0_Pi
    .private_segment_fixed_size: 0
    .sgpr_count:     20
    .sgpr_spill_count: 0
    .symbol:         _ZN9rocsolver6v33100L21syevj_diag_rotate_orgILb1EffPfEEvbiT2_iilPT0_Pi.kd
    .uniform_work_group_size: 1
    .uses_dynamic_stack: false
    .vgpr_count:     9
    .vgpr_spill_count: 0
    .wavefront_size: 32
    .workgroup_processor_mode: 1
  - .args:
      - .offset:         0
        .size:           1
        .value_kind:     by_value
      - .offset:         4
        .size:           4
        .value_kind:     by_value
      - .offset:         8
        .size:           4
        .value_kind:     by_value
      - .address_space:  global
        .offset:         16
        .size:           8
        .value_kind:     global_buffer
      - .offset:         24
        .size:           4
        .value_kind:     by_value
      - .offset:         28
        .size:           4
        .value_kind:     by_value
      - .offset:         32
        .size:           8
        .value_kind:     by_value
      - .address_space:  global
        .offset:         40
        .size:           8
        .value_kind:     global_buffer
      - .address_space:  global
        .offset:         48
        .size:           8
        .value_kind:     global_buffer
      - .offset:         56
        .size:           4
        .value_kind:     by_value
      - .offset:         64
        .size:           4
        .value_kind:     hidden_block_count_x
      - .offset:         68
        .size:           4
        .value_kind:     hidden_block_count_y
      - .offset:         72
        .size:           4
        .value_kind:     hidden_block_count_z
      - .offset:         76
        .size:           2
        .value_kind:     hidden_group_size_x
      - .offset:         78
        .size:           2
        .value_kind:     hidden_group_size_y
      - .offset:         80
        .size:           2
        .value_kind:     hidden_group_size_z
      - .offset:         82
        .size:           2
        .value_kind:     hidden_remainder_x
      - .offset:         84
        .size:           2
        .value_kind:     hidden_remainder_y
      - .offset:         86
        .size:           2
        .value_kind:     hidden_remainder_z
      - .offset:         104
        .size:           8
        .value_kind:     hidden_global_offset_x
      - .offset:         112
        .size:           8
        .value_kind:     hidden_global_offset_y
      - .offset:         120
        .size:           8
        .value_kind:     hidden_global_offset_z
      - .offset:         128
        .size:           2
        .value_kind:     hidden_grid_dims
      - .offset:         144
        .size:           8
        .value_kind:     hidden_hostcall_buffer
      - .offset:         184
        .size:           4
        .value_kind:     hidden_dynamic_lds_size
    .group_segment_fixed_size: 0
    .kernarg_segment_align: 8
    .kernarg_segment_size: 320
    .language:       OpenCL C
    .language_version:
      - 2
      - 0
    .max_flat_workgroup_size: 1024
    .name:           _ZN9rocsolver6v33100L17syevj_diag_rotateILb0EffPfEEvbiiT2_iilPT0_Pii
    .private_segment_fixed_size: 64
    .sgpr_count:     62
    .sgpr_spill_count: 0
    .symbol:         _ZN9rocsolver6v33100L17syevj_diag_rotateILb0EffPfEEvbiiT2_iilPT0_Pii.kd
    .uniform_work_group_size: 1
    .uses_dynamic_stack: false
    .vgpr_count:     42
    .vgpr_spill_count: 0
    .wavefront_size: 32
    .workgroup_processor_mode: 1
  - .args:
      - .offset:         0
        .size:           1
        .value_kind:     by_value
      - .offset:         4
        .size:           4
        .value_kind:     by_value
      - .offset:         8
        .size:           4
        .value_kind:     by_value
      - .address_space:  global
        .offset:         16
        .size:           8
        .value_kind:     global_buffer
      - .offset:         24
        .size:           4
        .value_kind:     by_value
      - .offset:         28
        .size:           4
        .value_kind:     by_value
      - .offset:         32
        .size:           8
        .value_kind:     by_value
      - .address_space:  global
        .offset:         40
        .size:           8
        .value_kind:     global_buffer
      - .address_space:  global
        .offset:         48
        .size:           8
        .value_kind:     global_buffer
      - .offset:         56
        .size:           4
        .value_kind:     by_value
      - .offset:         64
        .size:           4
        .value_kind:     hidden_block_count_x
      - .offset:         68
        .size:           4
        .value_kind:     hidden_block_count_y
      - .offset:         72
        .size:           4
        .value_kind:     hidden_block_count_z
      - .offset:         76
        .size:           2
        .value_kind:     hidden_group_size_x
      - .offset:         78
        .size:           2
        .value_kind:     hidden_group_size_y
      - .offset:         80
        .size:           2
        .value_kind:     hidden_group_size_z
      - .offset:         82
        .size:           2
        .value_kind:     hidden_remainder_x
      - .offset:         84
        .size:           2
        .value_kind:     hidden_remainder_y
      - .offset:         86
        .size:           2
        .value_kind:     hidden_remainder_z
      - .offset:         104
        .size:           8
        .value_kind:     hidden_global_offset_x
      - .offset:         112
        .size:           8
        .value_kind:     hidden_global_offset_y
      - .offset:         120
        .size:           8
        .value_kind:     hidden_global_offset_z
      - .offset:         128
        .size:           2
        .value_kind:     hidden_grid_dims
      - .offset:         144
        .size:           8
        .value_kind:     hidden_hostcall_buffer
      - .offset:         184
        .size:           4
        .value_kind:     hidden_dynamic_lds_size
    .group_segment_fixed_size: 0
    .kernarg_segment_align: 8
    .kernarg_segment_size: 320
    .language:       OpenCL C
    .language_version:
      - 2
      - 0
    .max_flat_workgroup_size: 1024
    .name:           _ZN9rocsolver6v33100L17syevj_diag_rotateILb1EffPfEEvbiiT2_iilPT0_Pii
    .private_segment_fixed_size: 64
    .sgpr_count:     60
    .sgpr_spill_count: 0
    .symbol:         _ZN9rocsolver6v33100L17syevj_diag_rotateILb1EffPfEEvbiiT2_iilPT0_Pii.kd
    .uniform_work_group_size: 1
    .uses_dynamic_stack: false
    .vgpr_count:     42
    .vgpr_spill_count: 0
    .wavefront_size: 32
    .workgroup_processor_mode: 1
  - .args:
      - .offset:         0
        .size:           4
        .value_kind:     by_value
      - .offset:         4
        .size:           4
        .value_kind:     by_value
      - .address_space:  global
        .offset:         8
        .size:           8
        .value_kind:     global_buffer
      - .offset:         16
        .size:           4
        .value_kind:     by_value
      - .offset:         20
        .size:           4
        .value_kind:     by_value
      - .offset:         24
        .size:           8
        .value_kind:     by_value
      - .offset:         32
        .size:           4
        .value_kind:     by_value
      - .address_space:  global
        .offset:         40
        .size:           8
        .value_kind:     global_buffer
      - .address_space:  global
        .offset:         48
        .size:           8
        .value_kind:     global_buffer
      - .address_space:  global
        .offset:         56
        .size:           8
        .value_kind:     global_buffer
      - .address_space:  global
        .offset:         64
        .size:           8
        .value_kind:     global_buffer
      - .offset:         72
        .size:           4
        .value_kind:     hidden_block_count_x
      - .offset:         76
        .size:           4
        .value_kind:     hidden_block_count_y
      - .offset:         80
        .size:           4
        .value_kind:     hidden_block_count_z
      - .offset:         84
        .size:           2
        .value_kind:     hidden_group_size_x
      - .offset:         86
        .size:           2
        .value_kind:     hidden_group_size_y
      - .offset:         88
        .size:           2
        .value_kind:     hidden_group_size_z
      - .offset:         90
        .size:           2
        .value_kind:     hidden_remainder_x
      - .offset:         92
        .size:           2
        .value_kind:     hidden_remainder_y
      - .offset:         94
        .size:           2
        .value_kind:     hidden_remainder_z
      - .offset:         112
        .size:           8
        .value_kind:     hidden_global_offset_x
      - .offset:         120
        .size:           8
        .value_kind:     hidden_global_offset_y
      - .offset:         128
        .size:           8
        .value_kind:     hidden_global_offset_z
      - .offset:         136
        .size:           2
        .value_kind:     hidden_grid_dims
      - .offset:         192
        .size:           4
        .value_kind:     hidden_dynamic_lds_size
    .group_segment_fixed_size: 0
    .kernarg_segment_align: 8
    .kernarg_segment_size: 328
    .language:       OpenCL C
    .language_version:
      - 2
      - 0
    .max_flat_workgroup_size: 1024
    .name:           _ZN9rocsolver6v33100L21syevj_offd_kernel_orgIffPfEEviiT1_iilT0_PT_PiS7_S7_
    .private_segment_fixed_size: 0
    .sgpr_count:     23
    .sgpr_spill_count: 0
    .symbol:         _ZN9rocsolver6v33100L21syevj_offd_kernel_orgIffPfEEviiT1_iilT0_PT_PiS7_S7_.kd
    .uniform_work_group_size: 1
    .uses_dynamic_stack: false
    .vgpr_count:     42
    .vgpr_spill_count: 0
    .wavefront_size: 32
    .workgroup_processor_mode: 1
  - .args:
      - .offset:         0
        .size:           4
        .value_kind:     by_value
      - .offset:         4
        .size:           4
        .value_kind:     by_value
      - .address_space:  global
        .offset:         8
        .size:           8
        .value_kind:     global_buffer
      - .offset:         16
        .size:           4
        .value_kind:     by_value
      - .offset:         20
        .size:           4
        .value_kind:     by_value
      - .offset:         24
        .size:           8
        .value_kind:     by_value
      - .offset:         32
        .size:           4
        .value_kind:     by_value
      - .address_space:  global
        .offset:         40
        .size:           8
        .value_kind:     global_buffer
      - .address_space:  global
        .offset:         48
        .size:           8
        .value_kind:     global_buffer
      - .address_space:  global
        .offset:         56
        .size:           8
        .value_kind:     global_buffer
      - .address_space:  global
        .offset:         64
        .size:           8
        .value_kind:     global_buffer
      - .offset:         72
        .size:           4
        .value_kind:     by_value
      - .offset:         80
        .size:           4
        .value_kind:     hidden_block_count_x
      - .offset:         84
        .size:           4
        .value_kind:     hidden_block_count_y
      - .offset:         88
        .size:           4
        .value_kind:     hidden_block_count_z
      - .offset:         92
        .size:           2
        .value_kind:     hidden_group_size_x
      - .offset:         94
        .size:           2
        .value_kind:     hidden_group_size_y
      - .offset:         96
        .size:           2
        .value_kind:     hidden_group_size_z
      - .offset:         98
        .size:           2
        .value_kind:     hidden_remainder_x
      - .offset:         100
        .size:           2
        .value_kind:     hidden_remainder_y
      - .offset:         102
        .size:           2
        .value_kind:     hidden_remainder_z
      - .offset:         120
        .size:           8
        .value_kind:     hidden_global_offset_x
      - .offset:         128
        .size:           8
        .value_kind:     hidden_global_offset_y
      - .offset:         136
        .size:           8
        .value_kind:     hidden_global_offset_z
      - .offset:         144
        .size:           2
        .value_kind:     hidden_grid_dims
      - .offset:         200
        .size:           4
        .value_kind:     hidden_dynamic_lds_size
    .group_segment_fixed_size: 0
    .kernarg_segment_align: 8
    .kernarg_segment_size: 336
    .language:       OpenCL C
    .language_version:
      - 2
      - 0
    .max_flat_workgroup_size: 1024
    .name:           _ZN9rocsolver6v33100L17syevj_offd_kernelIffPfEEviiT1_iilT0_PT_PiS7_S7_i
    .private_segment_fixed_size: 0
    .sgpr_count:     68
    .sgpr_spill_count: 0
    .symbol:         _ZN9rocsolver6v33100L17syevj_offd_kernelIffPfEEviiT1_iilT0_PT_PiS7_S7_i.kd
    .uniform_work_group_size: 1
    .uses_dynamic_stack: false
    .vgpr_count:     38
    .vgpr_spill_count: 0
    .wavefront_size: 32
    .workgroup_processor_mode: 1
  - .args:
      - .offset:         0
        .size:           1
        .value_kind:     by_value
      - .offset:         4
        .size:           4
        .value_kind:     by_value
      - .offset:         8
        .size:           4
        .value_kind:     by_value
      - .address_space:  global
        .offset:         16
        .size:           8
        .value_kind:     global_buffer
      - .offset:         24
        .size:           4
        .value_kind:     by_value
      - .offset:         28
        .size:           4
        .value_kind:     by_value
      - .offset:         32
        .size:           8
        .value_kind:     by_value
      - .address_space:  global
        .offset:         40
        .size:           8
        .value_kind:     global_buffer
      - .address_space:  global
        .offset:         48
        .size:           8
        .value_kind:     global_buffer
      - .address_space:  global
        .offset:         56
        .size:           8
        .value_kind:     global_buffer
      - .address_space:  global
        .offset:         64
        .size:           8
        .value_kind:     global_buffer
      - .offset:         72
        .size:           4
        .value_kind:     hidden_block_count_x
      - .offset:         76
        .size:           4
        .value_kind:     hidden_block_count_y
      - .offset:         80
        .size:           4
        .value_kind:     hidden_block_count_z
      - .offset:         84
        .size:           2
        .value_kind:     hidden_group_size_x
      - .offset:         86
        .size:           2
        .value_kind:     hidden_group_size_y
      - .offset:         88
        .size:           2
        .value_kind:     hidden_group_size_z
      - .offset:         90
        .size:           2
        .value_kind:     hidden_remainder_x
      - .offset:         92
        .size:           2
        .value_kind:     hidden_remainder_y
      - .offset:         94
        .size:           2
        .value_kind:     hidden_remainder_z
      - .offset:         112
        .size:           8
        .value_kind:     hidden_global_offset_x
      - .offset:         120
        .size:           8
        .value_kind:     hidden_global_offset_y
      - .offset:         128
        .size:           8
        .value_kind:     hidden_global_offset_z
      - .offset:         136
        .size:           2
        .value_kind:     hidden_grid_dims
    .group_segment_fixed_size: 0
    .kernarg_segment_align: 8
    .kernarg_segment_size: 328
    .language:       OpenCL C
    .language_version:
      - 2
      - 0
    .max_flat_workgroup_size: 1024
    .name:           _ZN9rocsolver6v33100L21syevj_offd_rotate_orgILb0EffPfEEvbiiT2_iilPT0_PiS6_S6_
    .private_segment_fixed_size: 0
    .sgpr_count:     23
    .sgpr_spill_count: 0
    .symbol:         _ZN9rocsolver6v33100L21syevj_offd_rotate_orgILb0EffPfEEvbiiT2_iilPT0_PiS6_S6_.kd
    .uniform_work_group_size: 1
    .uses_dynamic_stack: false
    .vgpr_count:     13
    .vgpr_spill_count: 0
    .wavefront_size: 32
    .workgroup_processor_mode: 1
  - .args:
      - .offset:         0
        .size:           1
        .value_kind:     by_value
      - .offset:         4
        .size:           4
        .value_kind:     by_value
      - .offset:         8
        .size:           4
        .value_kind:     by_value
      - .address_space:  global
        .offset:         16
        .size:           8
        .value_kind:     global_buffer
      - .offset:         24
        .size:           4
        .value_kind:     by_value
      - .offset:         28
        .size:           4
        .value_kind:     by_value
      - .offset:         32
        .size:           8
        .value_kind:     by_value
      - .address_space:  global
        .offset:         40
        .size:           8
        .value_kind:     global_buffer
      - .address_space:  global
        .offset:         48
        .size:           8
        .value_kind:     global_buffer
      - .address_space:  global
        .offset:         56
        .size:           8
        .value_kind:     global_buffer
      - .address_space:  global
        .offset:         64
        .size:           8
        .value_kind:     global_buffer
      - .offset:         72
        .size:           4
        .value_kind:     by_value
      - .offset:         80
        .size:           4
        .value_kind:     hidden_block_count_x
      - .offset:         84
        .size:           4
        .value_kind:     hidden_block_count_y
      - .offset:         88
        .size:           4
        .value_kind:     hidden_block_count_z
      - .offset:         92
        .size:           2
        .value_kind:     hidden_group_size_x
      - .offset:         94
        .size:           2
        .value_kind:     hidden_group_size_y
      - .offset:         96
        .size:           2
        .value_kind:     hidden_group_size_z
      - .offset:         98
        .size:           2
        .value_kind:     hidden_remainder_x
      - .offset:         100
        .size:           2
        .value_kind:     hidden_remainder_y
      - .offset:         102
        .size:           2
        .value_kind:     hidden_remainder_z
      - .offset:         120
        .size:           8
        .value_kind:     hidden_global_offset_x
      - .offset:         128
        .size:           8
        .value_kind:     hidden_global_offset_y
      - .offset:         136
        .size:           8
        .value_kind:     hidden_global_offset_z
      - .offset:         144
        .size:           2
        .value_kind:     hidden_grid_dims
      - .offset:         200
        .size:           4
        .value_kind:     hidden_dynamic_lds_size
    .group_segment_fixed_size: 0
    .kernarg_segment_align: 8
    .kernarg_segment_size: 336
    .language:       OpenCL C
    .language_version:
      - 2
      - 0
    .max_flat_workgroup_size: 1024
    .name:           _ZN9rocsolver6v33100L17syevj_offd_rotateILb0EffPfEEvbiiT2_iilPT0_PiS6_S6_i
    .private_segment_fixed_size: 0
    .sgpr_count:     72
    .sgpr_spill_count: 0
    .symbol:         _ZN9rocsolver6v33100L17syevj_offd_rotateILb0EffPfEEvbiiT2_iilPT0_PiS6_S6_i.kd
    .uniform_work_group_size: 1
    .uses_dynamic_stack: false
    .vgpr_count:     17
    .vgpr_spill_count: 0
    .wavefront_size: 32
    .workgroup_processor_mode: 1
  - .args:
      - .offset:         0
        .size:           1
        .value_kind:     by_value
      - .offset:         4
        .size:           4
        .value_kind:     by_value
      - .offset:         8
        .size:           4
        .value_kind:     by_value
      - .address_space:  global
        .offset:         16
        .size:           8
        .value_kind:     global_buffer
      - .offset:         24
        .size:           4
        .value_kind:     by_value
      - .offset:         28
        .size:           4
        .value_kind:     by_value
      - .offset:         32
        .size:           8
        .value_kind:     by_value
      - .address_space:  global
        .offset:         40
        .size:           8
        .value_kind:     global_buffer
      - .address_space:  global
        .offset:         48
        .size:           8
        .value_kind:     global_buffer
      - .address_space:  global
        .offset:         56
        .size:           8
        .value_kind:     global_buffer
      - .address_space:  global
        .offset:         64
        .size:           8
        .value_kind:     global_buffer
      - .offset:         72
        .size:           4
        .value_kind:     hidden_block_count_x
      - .offset:         76
        .size:           4
        .value_kind:     hidden_block_count_y
      - .offset:         80
        .size:           4
        .value_kind:     hidden_block_count_z
      - .offset:         84
        .size:           2
        .value_kind:     hidden_group_size_x
      - .offset:         86
        .size:           2
        .value_kind:     hidden_group_size_y
      - .offset:         88
        .size:           2
        .value_kind:     hidden_group_size_z
      - .offset:         90
        .size:           2
        .value_kind:     hidden_remainder_x
      - .offset:         92
        .size:           2
        .value_kind:     hidden_remainder_y
      - .offset:         94
        .size:           2
        .value_kind:     hidden_remainder_z
      - .offset:         112
        .size:           8
        .value_kind:     hidden_global_offset_x
      - .offset:         120
        .size:           8
        .value_kind:     hidden_global_offset_y
      - .offset:         128
        .size:           8
        .value_kind:     hidden_global_offset_z
      - .offset:         136
        .size:           2
        .value_kind:     hidden_grid_dims
    .group_segment_fixed_size: 0
    .kernarg_segment_align: 8
    .kernarg_segment_size: 328
    .language:       OpenCL C
    .language_version:
      - 2
      - 0
    .max_flat_workgroup_size: 1024
    .name:           _ZN9rocsolver6v33100L21syevj_offd_rotate_orgILb1EffPfEEvbiiT2_iilPT0_PiS6_S6_
    .private_segment_fixed_size: 0
    .sgpr_count:     21
    .sgpr_spill_count: 0
    .symbol:         _ZN9rocsolver6v33100L21syevj_offd_rotate_orgILb1EffPfEEvbiiT2_iilPT0_PiS6_S6_.kd
    .uniform_work_group_size: 1
    .uses_dynamic_stack: false
    .vgpr_count:     13
    .vgpr_spill_count: 0
    .wavefront_size: 32
    .workgroup_processor_mode: 1
  - .args:
      - .offset:         0
        .size:           1
        .value_kind:     by_value
      - .offset:         4
        .size:           4
        .value_kind:     by_value
      - .offset:         8
        .size:           4
        .value_kind:     by_value
      - .address_space:  global
        .offset:         16
        .size:           8
        .value_kind:     global_buffer
      - .offset:         24
        .size:           4
        .value_kind:     by_value
      - .offset:         28
        .size:           4
        .value_kind:     by_value
      - .offset:         32
        .size:           8
        .value_kind:     by_value
      - .address_space:  global
        .offset:         40
        .size:           8
        .value_kind:     global_buffer
      - .address_space:  global
        .offset:         48
        .size:           8
        .value_kind:     global_buffer
      - .address_space:  global
        .offset:         56
        .size:           8
        .value_kind:     global_buffer
      - .address_space:  global
        .offset:         64
        .size:           8
        .value_kind:     global_buffer
      - .offset:         72
        .size:           4
        .value_kind:     by_value
      - .offset:         80
        .size:           4
        .value_kind:     hidden_block_count_x
      - .offset:         84
        .size:           4
        .value_kind:     hidden_block_count_y
      - .offset:         88
        .size:           4
        .value_kind:     hidden_block_count_z
      - .offset:         92
        .size:           2
        .value_kind:     hidden_group_size_x
      - .offset:         94
        .size:           2
        .value_kind:     hidden_group_size_y
      - .offset:         96
        .size:           2
        .value_kind:     hidden_group_size_z
      - .offset:         98
        .size:           2
        .value_kind:     hidden_remainder_x
      - .offset:         100
        .size:           2
        .value_kind:     hidden_remainder_y
      - .offset:         102
        .size:           2
        .value_kind:     hidden_remainder_z
      - .offset:         120
        .size:           8
        .value_kind:     hidden_global_offset_x
      - .offset:         128
        .size:           8
        .value_kind:     hidden_global_offset_y
      - .offset:         136
        .size:           8
        .value_kind:     hidden_global_offset_z
      - .offset:         144
        .size:           2
        .value_kind:     hidden_grid_dims
      - .offset:         200
        .size:           4
        .value_kind:     hidden_dynamic_lds_size
    .group_segment_fixed_size: 0
    .kernarg_segment_align: 8
    .kernarg_segment_size: 336
    .language:       OpenCL C
    .language_version:
      - 2
      - 0
    .max_flat_workgroup_size: 1024
    .name:           _ZN9rocsolver6v33100L17syevj_offd_rotateILb1EffPfEEvbiiT2_iilPT0_PiS6_S6_i
    .private_segment_fixed_size: 0
    .sgpr_count:     68
    .sgpr_spill_count: 0
    .symbol:         _ZN9rocsolver6v33100L17syevj_offd_rotateILb1EffPfEEvbiiT2_iilPT0_PiS6_S6_i.kd
    .uniform_work_group_size: 1
    .uses_dynamic_stack: false
    .vgpr_count:     19
    .vgpr_spill_count: 0
    .wavefront_size: 32
    .workgroup_processor_mode: 1
  - .args:
      - .offset:         0
        .size:           4
        .value_kind:     by_value
      - .address_space:  global
        .offset:         8
        .size:           8
        .value_kind:     global_buffer
      - .address_space:  global
        .offset:         16
        .size:           8
        .value_kind:     global_buffer
      - .offset:         24
        .size:           4
        .value_kind:     hidden_block_count_x
      - .offset:         28
        .size:           4
        .value_kind:     hidden_block_count_y
      - .offset:         32
        .size:           4
        .value_kind:     hidden_block_count_z
      - .offset:         36
        .size:           2
        .value_kind:     hidden_group_size_x
      - .offset:         38
        .size:           2
        .value_kind:     hidden_group_size_y
      - .offset:         40
        .size:           2
        .value_kind:     hidden_group_size_z
      - .offset:         42
        .size:           2
        .value_kind:     hidden_remainder_x
      - .offset:         44
        .size:           2
        .value_kind:     hidden_remainder_y
      - .offset:         46
        .size:           2
        .value_kind:     hidden_remainder_z
      - .offset:         64
        .size:           8
        .value_kind:     hidden_global_offset_x
      - .offset:         72
        .size:           8
        .value_kind:     hidden_global_offset_y
      - .offset:         80
        .size:           8
        .value_kind:     hidden_global_offset_z
      - .offset:         88
        .size:           2
        .value_kind:     hidden_grid_dims
    .group_segment_fixed_size: 0
    .kernarg_segment_align: 8
    .kernarg_segment_size: 280
    .language:       OpenCL C
    .language_version:
      - 2
      - 0
    .max_flat_workgroup_size: 1024
    .name:           _ZN9rocsolver6v33100L17syevj_cycle_pairsIfEEviPiS2_
    .private_segment_fixed_size: 0
    .sgpr_count:     18
    .sgpr_spill_count: 0
    .symbol:         _ZN9rocsolver6v33100L17syevj_cycle_pairsIfEEviPiS2_.kd
    .uniform_work_group_size: 1
    .uses_dynamic_stack: false
    .vgpr_count:     9
    .vgpr_spill_count: 0
    .wavefront_size: 32
    .workgroup_processor_mode: 1
  - .args:
      - .offset:         0
        .size:           4
        .value_kind:     by_value
      - .offset:         4
        .size:           4
        .value_kind:     by_value
      - .address_space:  global
        .offset:         8
        .size:           8
        .value_kind:     global_buffer
      - .address_space:  global
        .offset:         16
        .size:           8
        .value_kind:     global_buffer
      - .address_space:  global
        .offset:         24
        .size:           8
        .value_kind:     global_buffer
      - .address_space:  global
        .offset:         32
        .size:           8
        .value_kind:     global_buffer
      - .offset:         40
        .size:           4
        .value_kind:     hidden_block_count_x
      - .offset:         44
        .size:           4
        .value_kind:     hidden_block_count_y
      - .offset:         48
        .size:           4
        .value_kind:     hidden_block_count_z
      - .offset:         52
        .size:           2
        .value_kind:     hidden_group_size_x
      - .offset:         54
        .size:           2
        .value_kind:     hidden_group_size_y
      - .offset:         56
        .size:           2
        .value_kind:     hidden_group_size_z
      - .offset:         58
        .size:           2
        .value_kind:     hidden_remainder_x
      - .offset:         60
        .size:           2
        .value_kind:     hidden_remainder_y
      - .offset:         62
        .size:           2
        .value_kind:     hidden_remainder_z
      - .offset:         80
        .size:           8
        .value_kind:     hidden_global_offset_x
      - .offset:         88
        .size:           8
        .value_kind:     hidden_global_offset_y
      - .offset:         96
        .size:           8
        .value_kind:     hidden_global_offset_z
      - .offset:         104
        .size:           2
        .value_kind:     hidden_grid_dims
      - .offset:         160
        .size:           4
        .value_kind:     hidden_dynamic_lds_size
    .group_segment_fixed_size: 0
    .kernarg_segment_align: 8
    .kernarg_segment_size: 296
    .language:       OpenCL C
    .language_version:
      - 2
      - 0
    .max_flat_workgroup_size: 1024
    .name:           _ZN9rocsolver6v33100L15syevj_calc_normIffEEviiPT0_PT_S3_Pi
    .private_segment_fixed_size: 0
    .sgpr_count:     24
    .sgpr_spill_count: 0
    .symbol:         _ZN9rocsolver6v33100L15syevj_calc_normIffEEviiPT0_PT_S3_Pi.kd
    .uniform_work_group_size: 1
    .uses_dynamic_stack: false
    .vgpr_count:     10
    .vgpr_spill_count: 0
    .wavefront_size: 32
    .workgroup_processor_mode: 1
  - .args:
      - .offset:         0
        .size:           4
        .value_kind:     by_value
      - .offset:         4
        .size:           4
        .value_kind:     by_value
      - .offset:         8
        .size:           4
        .value_kind:     by_value
      - .address_space:  global
        .offset:         16
        .size:           8
        .value_kind:     global_buffer
      - .offset:         24
        .size:           4
        .value_kind:     by_value
      - .offset:         28
        .size:           4
        .value_kind:     by_value
      - .offset:         32
        .size:           8
        .value_kind:     by_value
      - .address_space:  global
        .offset:         40
        .size:           8
        .value_kind:     global_buffer
      - .offset:         48
        .size:           4
        .value_kind:     by_value
      - .address_space:  global
        .offset:         56
        .size:           8
        .value_kind:     global_buffer
      - .address_space:  global
        .offset:         64
        .size:           8
        .value_kind:     global_buffer
      - .offset:         72
        .size:           8
        .value_kind:     by_value
      - .address_space:  global
        .offset:         80
        .size:           8
        .value_kind:     global_buffer
      - .address_space:  global
        .offset:         88
        .size:           8
        .value_kind:     global_buffer
      - .address_space:  global
        .offset:         96
        .size:           8
        .value_kind:     global_buffer
      - .offset:         104
        .size:           4
        .value_kind:     hidden_block_count_x
      - .offset:         108
        .size:           4
        .value_kind:     hidden_block_count_y
      - .offset:         112
        .size:           4
        .value_kind:     hidden_block_count_z
      - .offset:         116
        .size:           2
        .value_kind:     hidden_group_size_x
      - .offset:         118
        .size:           2
        .value_kind:     hidden_group_size_y
      - .offset:         120
        .size:           2
        .value_kind:     hidden_group_size_z
      - .offset:         122
        .size:           2
        .value_kind:     hidden_remainder_x
      - .offset:         124
        .size:           2
        .value_kind:     hidden_remainder_y
      - .offset:         126
        .size:           2
        .value_kind:     hidden_remainder_z
      - .offset:         144
        .size:           8
        .value_kind:     hidden_global_offset_x
      - .offset:         152
        .size:           8
        .value_kind:     hidden_global_offset_y
      - .offset:         160
        .size:           8
        .value_kind:     hidden_global_offset_z
      - .offset:         168
        .size:           2
        .value_kind:     hidden_grid_dims
    .group_segment_fixed_size: 0
    .kernarg_segment_align: 8
    .kernarg_segment_size: 360
    .language:       OpenCL C
    .language_version:
      - 2
      - 0
    .max_flat_workgroup_size: 1024
    .name:           _ZN9rocsolver6v33100L14syevj_finalizeIffPfEEv14rocblas_esort_14rocblas_evect_iT1_iilPT0_iPiS7_lS8_PT_S8_
    .private_segment_fixed_size: 0
    .sgpr_count:     30
    .sgpr_spill_count: 0
    .symbol:         _ZN9rocsolver6v33100L14syevj_finalizeIffPfEEv14rocblas_esort_14rocblas_evect_iT1_iilPT0_iPiS7_lS8_PT_S8_.kd
    .uniform_work_group_size: 1
    .uses_dynamic_stack: false
    .vgpr_count:     9
    .vgpr_spill_count: 0
    .wavefront_size: 32
    .workgroup_processor_mode: 1
  - .args:
      - .offset:         0
        .size:           4
        .value_kind:     by_value
      - .offset:         4
        .size:           4
        .value_kind:     by_value
      - .address_space:  global
        .offset:         8
        .size:           8
        .value_kind:     global_buffer
      - .offset:         16
        .size:           8
        .value_kind:     by_value
      - .offset:         24
        .size:           4
        .value_kind:     by_value
      - .offset:         32
        .size:           8
        .value_kind:     by_value
      - .address_space:  global
        .offset:         40
        .size:           8
        .value_kind:     global_buffer
      - .offset:         48
        .size:           8
        .value_kind:     by_value
      - .address_space:  global
        .offset:         56
        .size:           8
        .value_kind:     global_buffer
      - .offset:         64
        .size:           8
        .value_kind:     by_value
    .group_segment_fixed_size: 0
    .kernarg_segment_align: 8
    .kernarg_segment_size: 72
    .language:       OpenCL C
    .language_version:
      - 2
      - 0
    .max_flat_workgroup_size: 256
    .name:           _ZN9rocsolver6v33100L18geqr2_kernel_smallILi256EfifPfEEvT1_S3_T3_lS3_lPT2_lPT0_l
    .private_segment_fixed_size: 0
    .sgpr_count:     38
    .sgpr_spill_count: 0
    .symbol:         _ZN9rocsolver6v33100L18geqr2_kernel_smallILi256EfifPfEEvT1_S3_T3_lS3_lPT2_lPT0_l.kd
    .uniform_work_group_size: 1
    .uses_dynamic_stack: false
    .vgpr_count:     27
    .vgpr_spill_count: 0
    .wavefront_size: 32
    .workgroup_processor_mode: 1
  - .args:
      - .address_space:  global
        .offset:         0
        .size:           8
        .value_kind:     global_buffer
      - .offset:         8
        .size:           8
        .value_kind:     by_value
      - .offset:         16
        .size:           4
        .value_kind:     by_value
      - .offset:         20
        .size:           4
        .value_kind:     by_value
      - .offset:         24
        .size:           4
        .value_kind:     hidden_block_count_x
      - .offset:         28
        .size:           4
        .value_kind:     hidden_block_count_y
      - .offset:         32
        .size:           4
        .value_kind:     hidden_block_count_z
      - .offset:         36
        .size:           2
        .value_kind:     hidden_group_size_x
      - .offset:         38
        .size:           2
        .value_kind:     hidden_group_size_y
      - .offset:         40
        .size:           2
        .value_kind:     hidden_group_size_z
      - .offset:         42
        .size:           2
        .value_kind:     hidden_remainder_x
      - .offset:         44
        .size:           2
        .value_kind:     hidden_remainder_y
      - .offset:         46
        .size:           2
        .value_kind:     hidden_remainder_z
      - .offset:         64
        .size:           8
        .value_kind:     hidden_global_offset_x
      - .offset:         72
        .size:           8
        .value_kind:     hidden_global_offset_y
      - .offset:         80
        .size:           8
        .value_kind:     hidden_global_offset_z
      - .offset:         88
        .size:           2
        .value_kind:     hidden_grid_dims
    .group_segment_fixed_size: 0
    .kernarg_segment_align: 8
    .kernarg_segment_size: 280
    .language:       OpenCL C
    .language_version:
      - 2
      - 0
    .max_flat_workgroup_size: 1024
    .name:           _ZN9rocsolver6v33100L16reset_batch_infoIfiiPfEEvT2_lT0_T1_
    .private_segment_fixed_size: 0
    .sgpr_count:     18
    .sgpr_spill_count: 0
    .symbol:         _ZN9rocsolver6v33100L16reset_batch_infoIfiiPfEEvT2_lT0_T1_.kd
    .uniform_work_group_size: 1
    .uses_dynamic_stack: false
    .vgpr_count:     3
    .vgpr_spill_count: 0
    .wavefront_size: 32
    .workgroup_processor_mode: 1
  - .args:
      - .address_space:  global
        .offset:         0
        .size:           8
        .value_kind:     global_buffer
      - .offset:         8
        .size:           8
        .value_kind:     by_value
      - .offset:         16
        .size:           8
        .value_kind:     by_value
      - .address_space:  global
        .offset:         24
        .size:           8
        .value_kind:     global_buffer
      - .offset:         32
        .size:           8
        .value_kind:     by_value
      - .offset:         40
        .size:           4
        .value_kind:     by_value
      - .offset:         48
        .size:           8
        .value_kind:     by_value
      - .offset:         56
        .size:           4
        .value_kind:     by_value
      - .offset:         60
        .size:           1
        .value_kind:     by_value
      - .offset:         64
        .size:           4
        .value_kind:     hidden_block_count_x
      - .offset:         68
        .size:           4
        .value_kind:     hidden_block_count_y
      - .offset:         72
        .size:           4
        .value_kind:     hidden_block_count_z
      - .offset:         76
        .size:           2
        .value_kind:     hidden_group_size_x
      - .offset:         78
        .size:           2
        .value_kind:     hidden_group_size_y
      - .offset:         80
        .size:           2
        .value_kind:     hidden_group_size_z
      - .offset:         82
        .size:           2
        .value_kind:     hidden_remainder_x
      - .offset:         84
        .size:           2
        .value_kind:     hidden_remainder_y
      - .offset:         86
        .size:           2
        .value_kind:     hidden_remainder_z
      - .offset:         104
        .size:           8
        .value_kind:     hidden_global_offset_x
      - .offset:         112
        .size:           8
        .value_kind:     hidden_global_offset_y
      - .offset:         120
        .size:           8
        .value_kind:     hidden_global_offset_z
      - .offset:         128
        .size:           2
        .value_kind:     hidden_grid_dims
    .group_segment_fixed_size: 0
    .kernarg_segment_align: 8
    .kernarg_segment_size: 320
    .language:       OpenCL C
    .language_version:
      - 2
      - 0
    .max_flat_workgroup_size: 1024
    .name:           _ZN9rocsolver6v33100L8set_diagIfifPfTnNSt9enable_ifIXoont18rocblas_is_complexIT_E18rocblas_is_complexIT1_EEiE4typeELi0EEEvPS5_llT2_lT0_lSA_b
    .private_segment_fixed_size: 0
    .sgpr_count:     19
    .sgpr_spill_count: 0
    .symbol:         _ZN9rocsolver6v33100L8set_diagIfifPfTnNSt9enable_ifIXoont18rocblas_is_complexIT_E18rocblas_is_complexIT1_EEiE4typeELi0EEEvPS5_llT2_lT0_lSA_b.kd
    .uniform_work_group_size: 1
    .uses_dynamic_stack: false
    .vgpr_count:     6
    .vgpr_spill_count: 0
    .wavefront_size: 32
    .workgroup_processor_mode: 1
  - .args:
      - .address_space:  global
        .offset:         0
        .size:           8
        .value_kind:     global_buffer
      - .offset:         8
        .size:           8
        .value_kind:     by_value
      - .address_space:  global
        .offset:         16
        .size:           8
        .value_kind:     global_buffer
      - .address_space:  global
        .offset:         24
        .size:           8
        .value_kind:     global_buffer
      - .offset:         32
        .size:           8
        .value_kind:     by_value
      - .offset:         40
        .size:           8
        .value_kind:     by_value
      - .address_space:  global
        .offset:         48
        .size:           8
        .value_kind:     global_buffer
      - .offset:         56
        .size:           8
        .value_kind:     by_value
      - .offset:         64
        .size:           8
        .value_kind:     by_value
    .group_segment_fixed_size: 0
    .kernarg_segment_align: 8
    .kernarg_segment_size: 72
    .language:       OpenCL C
    .language_version:
      - 2
      - 0
    .max_flat_workgroup_size: 1024
    .name:           _ZN9rocsolver6v33100L11set_taubetaIfifPfEEvPT_lS4_T2_llPT1_ll
    .private_segment_fixed_size: 0
    .sgpr_count:     24
    .sgpr_spill_count: 0
    .symbol:         _ZN9rocsolver6v33100L11set_taubetaIfifPfEEvPT_lS4_T2_llPT1_ll.kd
    .uniform_work_group_size: 1
    .uses_dynamic_stack: false
    .vgpr_count:     8
    .vgpr_spill_count: 0
    .wavefront_size: 32
    .workgroup_processor_mode: 1
  - .args:
      - .offset:         0
        .size:           4
        .value_kind:     by_value
      - .offset:         4
        .size:           4
        .value_kind:     by_value
      - .address_space:  global
        .offset:         8
        .size:           8
        .value_kind:     global_buffer
      - .offset:         16
        .size:           8
        .value_kind:     by_value
      - .offset:         24
        .size:           4
        .value_kind:     by_value
      - .offset:         32
        .size:           8
        .value_kind:     by_value
    .group_segment_fixed_size: 0
    .kernarg_segment_align: 8
    .kernarg_segment_size: 40
    .language:       OpenCL C
    .language_version:
      - 2
      - 0
    .max_flat_workgroup_size: 1024
    .name:           _ZN9rocsolver6v33100L13conj_in_placeIfiPfTnNSt9enable_ifIXnt18rocblas_is_complexIT_EEiE4typeELi0EEEvT0_S7_T1_lS7_l
    .private_segment_fixed_size: 0
    .sgpr_count:     0
    .sgpr_spill_count: 0
    .symbol:         _ZN9rocsolver6v33100L13conj_in_placeIfiPfTnNSt9enable_ifIXnt18rocblas_is_complexIT_EEiE4typeELi0EEEvT0_S7_T1_lS7_l.kd
    .uniform_work_group_size: 1
    .uses_dynamic_stack: false
    .vgpr_count:     0
    .vgpr_spill_count: 0
    .wavefront_size: 32
    .workgroup_processor_mode: 1
  - .args:
      - .offset:         0
        .size:           4
        .value_kind:     by_value
      - .offset:         4
        .size:           4
        .value_kind:     by_value
      - .address_space:  global
        .offset:         8
        .size:           8
        .value_kind:     global_buffer
      - .offset:         16
        .size:           8
        .value_kind:     by_value
      - .offset:         24
        .size:           4
        .value_kind:     by_value
      - .offset:         32
        .size:           8
        .value_kind:     by_value
      - .address_space:  global
        .offset:         40
        .size:           8
        .value_kind:     global_buffer
      - .offset:         48
        .size:           8
        .value_kind:     by_value
      - .address_space:  global
        .offset:         56
        .size:           8
        .value_kind:     global_buffer
      - .offset:         64
        .size:           8
        .value_kind:     by_value
      - .offset:         72
        .size:           4
        .value_kind:     by_value
      - .offset:         80
        .size:           8
        .value_kind:     by_value
    .group_segment_fixed_size: 0
    .kernarg_segment_align: 8
    .kernarg_segment_size: 88
    .language:       OpenCL C
    .language_version:
      - 2
      - 0
    .max_flat_workgroup_size: 1024
    .name:           _ZN9rocsolver6v33100L16larf_left_kernelILi1024EfiPfEEvT1_S3_T2_lS3_lPKT0_lS4_lS3_l
    .private_segment_fixed_size: 0
    .sgpr_count:     32
    .sgpr_spill_count: 0
    .symbol:         _ZN9rocsolver6v33100L16larf_left_kernelILi1024EfiPfEEvT1_S3_T2_lS3_lPKT0_lS4_lS3_l.kd
    .uniform_work_group_size: 1
    .uses_dynamic_stack: false
    .vgpr_count:     13
    .vgpr_spill_count: 0
    .wavefront_size: 32
    .workgroup_processor_mode: 1
  - .args:
      - .offset:         0
        .size:           4
        .value_kind:     by_value
      - .offset:         4
        .size:           4
        .value_kind:     by_value
      - .address_space:  global
        .offset:         8
        .size:           8
        .value_kind:     global_buffer
      - .offset:         16
        .size:           8
        .value_kind:     by_value
      - .offset:         24
        .size:           4
        .value_kind:     by_value
      - .offset:         32
        .size:           8
        .value_kind:     by_value
      - .address_space:  global
        .offset:         40
        .size:           8
        .value_kind:     global_buffer
      - .offset:         48
        .size:           8
        .value_kind:     by_value
      - .address_space:  global
        .offset:         56
        .size:           8
        .value_kind:     global_buffer
      - .offset:         64
        .size:           8
        .value_kind:     by_value
      - .offset:         72
        .size:           4
        .value_kind:     by_value
      - .offset:         80
        .size:           8
        .value_kind:     by_value
    .group_segment_fixed_size: 0
    .kernarg_segment_align: 8
    .kernarg_segment_size: 88
    .language:       OpenCL C
    .language_version:
      - 2
      - 0
    .max_flat_workgroup_size: 1024
    .name:           _ZN9rocsolver6v33100L17larf_right_kernelILi1024EfiPfEEvT1_S3_T2_lS3_lPKT0_lS4_lS3_l
    .private_segment_fixed_size: 0
    .sgpr_count:     36
    .sgpr_spill_count: 0
    .symbol:         _ZN9rocsolver6v33100L17larf_right_kernelILi1024EfiPfEEvT1_S3_T2_lS3_lPKT0_lS4_lS3_l.kd
    .uniform_work_group_size: 1
    .uses_dynamic_stack: false
    .vgpr_count:     13
    .vgpr_spill_count: 0
    .wavefront_size: 32
    .workgroup_processor_mode: 1
  - .args:
      - .address_space:  global
        .offset:         0
        .size:           8
        .value_kind:     global_buffer
      - .offset:         8
        .size:           8
        .value_kind:     by_value
      - .offset:         16
        .size:           8
        .value_kind:     by_value
      - .address_space:  global
        .offset:         24
        .size:           8
        .value_kind:     global_buffer
      - .offset:         32
        .size:           8
        .value_kind:     by_value
      - .offset:         40
        .size:           4
        .value_kind:     by_value
      - .offset:         48
        .size:           8
        .value_kind:     by_value
      - .offset:         56
        .size:           4
        .value_kind:     by_value
      - .offset:         64
        .size:           4
        .value_kind:     hidden_block_count_x
      - .offset:         68
        .size:           4
        .value_kind:     hidden_block_count_y
      - .offset:         72
        .size:           4
        .value_kind:     hidden_block_count_z
      - .offset:         76
        .size:           2
        .value_kind:     hidden_group_size_x
      - .offset:         78
        .size:           2
        .value_kind:     hidden_group_size_y
      - .offset:         80
        .size:           2
        .value_kind:     hidden_group_size_z
      - .offset:         82
        .size:           2
        .value_kind:     hidden_remainder_x
      - .offset:         84
        .size:           2
        .value_kind:     hidden_remainder_y
      - .offset:         86
        .size:           2
        .value_kind:     hidden_remainder_z
      - .offset:         104
        .size:           8
        .value_kind:     hidden_global_offset_x
      - .offset:         112
        .size:           8
        .value_kind:     hidden_global_offset_y
      - .offset:         120
        .size:           8
        .value_kind:     hidden_global_offset_z
      - .offset:         128
        .size:           2
        .value_kind:     hidden_grid_dims
    .group_segment_fixed_size: 0
    .kernarg_segment_align: 8
    .kernarg_segment_size: 320
    .language:       OpenCL C
    .language_version:
      - 2
      - 0
    .max_flat_workgroup_size: 1024
    .name:           _ZN9rocsolver6v33100L12restore_diagIfifPfEEvPT1_llT2_lT0_lS6_
    .private_segment_fixed_size: 0
    .sgpr_count:     19
    .sgpr_spill_count: 0
    .symbol:         _ZN9rocsolver6v33100L12restore_diagIfifPfEEvPT1_llT2_lT0_lS6_.kd
    .uniform_work_group_size: 1
    .uses_dynamic_stack: false
    .vgpr_count:     5
    .vgpr_spill_count: 0
    .wavefront_size: 32
    .workgroup_processor_mode: 1
  - .args:
      - .offset:         0
        .size:           4
        .value_kind:     by_value
      - .offset:         4
        .size:           4
        .value_kind:     by_value
      - .address_space:  global
        .offset:         8
        .size:           8
        .value_kind:     global_buffer
      - .offset:         16
        .size:           4
        .value_kind:     by_value
      - .offset:         20
        .size:           4
        .value_kind:     by_value
      - .offset:         24
        .size:           8
        .value_kind:     by_value
      - .address_space:  global
        .offset:         32
        .size:           8
        .value_kind:     global_buffer
      - .offset:         40
        .size:           8
        .value_kind:     by_value
      - .address_space:  global
        .offset:         48
        .size:           8
        .value_kind:     global_buffer
      - .offset:         56
        .size:           4
        .value_kind:     by_value
      - .offset:         64
        .size:           8
        .value_kind:     by_value
      - .offset:         72
        .size:           4
        .value_kind:     by_value
      - .offset:         76
        .size:           4
        .value_kind:     by_value
      - .offset:         80
        .size:           1
        .value_kind:     by_value
      - .offset:         88
        .size:           4
        .value_kind:     hidden_block_count_x
      - .offset:         92
        .size:           4
        .value_kind:     hidden_block_count_y
      - .offset:         96
        .size:           4
        .value_kind:     hidden_block_count_z
      - .offset:         100
        .size:           2
        .value_kind:     hidden_group_size_x
      - .offset:         102
        .size:           2
        .value_kind:     hidden_group_size_y
      - .offset:         104
        .size:           2
        .value_kind:     hidden_group_size_z
      - .offset:         106
        .size:           2
        .value_kind:     hidden_remainder_x
      - .offset:         108
        .size:           2
        .value_kind:     hidden_remainder_y
      - .offset:         110
        .size:           2
        .value_kind:     hidden_remainder_z
      - .offset:         128
        .size:           8
        .value_kind:     hidden_global_offset_x
      - .offset:         136
        .size:           8
        .value_kind:     hidden_global_offset_y
      - .offset:         144
        .size:           8
        .value_kind:     hidden_global_offset_z
      - .offset:         152
        .size:           2
        .value_kind:     hidden_grid_dims
    .group_segment_fixed_size: 0
    .kernarg_segment_align: 8
    .kernarg_segment_size: 344
    .language:       OpenCL C
    .language_version:
      - 2
      - 0
    .max_flat_workgroup_size: 1024
    .name:           _ZN9rocsolver6v33100L14set_triangularIfPfTnNSt9enable_ifIXnt18rocblas_is_complexIT_EEiE4typeELi0EEEviiT0_iilPS4_lS8_il15rocblas_direct_15rocblas_storev_b
    .private_segment_fixed_size: 0
    .sgpr_count:     24
    .sgpr_spill_count: 0
    .symbol:         _ZN9rocsolver6v33100L14set_triangularIfPfTnNSt9enable_ifIXnt18rocblas_is_complexIT_EEiE4typeELi0EEEviiT0_iilPS4_lS8_il15rocblas_direct_15rocblas_storev_b.kd
    .uniform_work_group_size: 1
    .uses_dynamic_stack: false
    .vgpr_count:     14
    .vgpr_spill_count: 0
    .wavefront_size: 32
    .workgroup_processor_mode: 1
  - .args:
      - .offset:         0
        .size:           4
        .value_kind:     by_value
      - .address_space:  global
        .offset:         8
        .size:           8
        .value_kind:     global_buffer
      - .offset:         16
        .size:           8
        .value_kind:     by_value
      - .offset:         24
        .size:           4
        .value_kind:     hidden_block_count_x
      - .offset:         28
        .size:           4
        .value_kind:     hidden_block_count_y
      - .offset:         32
        .size:           4
        .value_kind:     hidden_block_count_z
      - .offset:         36
        .size:           2
        .value_kind:     hidden_group_size_x
      - .offset:         38
        .size:           2
        .value_kind:     hidden_group_size_y
      - .offset:         40
        .size:           2
        .value_kind:     hidden_group_size_z
      - .offset:         42
        .size:           2
        .value_kind:     hidden_remainder_x
      - .offset:         44
        .size:           2
        .value_kind:     hidden_remainder_y
      - .offset:         46
        .size:           2
        .value_kind:     hidden_remainder_z
      - .offset:         64
        .size:           8
        .value_kind:     hidden_global_offset_x
      - .offset:         72
        .size:           8
        .value_kind:     hidden_global_offset_y
      - .offset:         80
        .size:           8
        .value_kind:     hidden_global_offset_z
      - .offset:         88
        .size:           2
        .value_kind:     hidden_grid_dims
    .group_segment_fixed_size: 0
    .kernarg_segment_align: 8
    .kernarg_segment_size: 280
    .language:       OpenCL C
    .language_version:
      - 2
      - 0
    .max_flat_workgroup_size: 1024
    .name:           _ZN9rocsolver6v33100L7set_tauIfEEviPT_l
    .private_segment_fixed_size: 0
    .sgpr_count:     18
    .sgpr_spill_count: 0
    .symbol:         _ZN9rocsolver6v33100L7set_tauIfEEviPT_l.kd
    .uniform_work_group_size: 1
    .uses_dynamic_stack: false
    .vgpr_count:     3
    .vgpr_spill_count: 0
    .wavefront_size: 32
    .workgroup_processor_mode: 1
  - .args:
      - .offset:         0
        .size:           4
        .value_kind:     by_value
      - .offset:         4
        .size:           4
        .value_kind:     by_value
      - .offset:         8
        .size:           4
        .value_kind:     by_value
      - .address_space:  global
        .offset:         16
        .size:           8
        .value_kind:     global_buffer
      - .offset:         24
        .size:           4
        .value_kind:     by_value
      - .offset:         28
        .size:           4
        .value_kind:     by_value
      - .offset:         32
        .size:           8
        .value_kind:     by_value
      - .address_space:  global
        .offset:         40
        .size:           8
        .value_kind:     global_buffer
      - .offset:         48
        .size:           8
        .value_kind:     by_value
      - .address_space:  global
        .offset:         56
        .size:           8
        .value_kind:     global_buffer
      - .offset:         64
        .size:           4
        .value_kind:     by_value
      - .offset:         72
        .size:           8
        .value_kind:     by_value
      - .offset:         80
        .size:           4
        .value_kind:     hidden_block_count_x
      - .offset:         84
        .size:           4
        .value_kind:     hidden_block_count_y
      - .offset:         88
        .size:           4
        .value_kind:     hidden_block_count_z
      - .offset:         92
        .size:           2
        .value_kind:     hidden_group_size_x
      - .offset:         94
        .size:           2
        .value_kind:     hidden_group_size_y
      - .offset:         96
        .size:           2
        .value_kind:     hidden_group_size_z
      - .offset:         98
        .size:           2
        .value_kind:     hidden_remainder_x
      - .offset:         100
        .size:           2
        .value_kind:     hidden_remainder_y
      - .offset:         102
        .size:           2
        .value_kind:     hidden_remainder_z
      - .offset:         120
        .size:           8
        .value_kind:     hidden_global_offset_x
      - .offset:         128
        .size:           8
        .value_kind:     hidden_global_offset_y
      - .offset:         136
        .size:           8
        .value_kind:     hidden_global_offset_z
      - .offset:         144
        .size:           2
        .value_kind:     hidden_grid_dims
      - .offset:         200
        .size:           4
        .value_kind:     hidden_dynamic_lds_size
    .group_segment_fixed_size: 0
    .kernarg_segment_align: 8
    .kernarg_segment_size: 336
    .language:       OpenCL C
    .language_version:
      - 2
      - 0
    .max_flat_workgroup_size: 1024
    .name:           _ZN9rocsolver6v33100L20larft_kernel_forwardIfPfEEv15rocblas_storev_iiT0_iilPT_lS6_il
    .private_segment_fixed_size: 0
    .sgpr_count:     44
    .sgpr_spill_count: 0
    .symbol:         _ZN9rocsolver6v33100L20larft_kernel_forwardIfPfEEv15rocblas_storev_iiT0_iilPT_lS6_il.kd
    .uniform_work_group_size: 1
    .uses_dynamic_stack: false
    .vgpr_count:     16
    .vgpr_spill_count: 0
    .wavefront_size: 32
    .workgroup_processor_mode: 1
  - .args:
      - .offset:         0
        .size:           4
        .value_kind:     by_value
      - .offset:         4
        .size:           4
        .value_kind:     by_value
      - .offset:         8
        .size:           4
        .value_kind:     by_value
      - .address_space:  global
        .offset:         16
        .size:           8
        .value_kind:     global_buffer
      - .offset:         24
        .size:           4
        .value_kind:     by_value
      - .offset:         28
        .size:           4
        .value_kind:     by_value
      - .offset:         32
        .size:           8
        .value_kind:     by_value
      - .address_space:  global
        .offset:         40
        .size:           8
        .value_kind:     global_buffer
      - .offset:         48
        .size:           8
        .value_kind:     by_value
      - .address_space:  global
        .offset:         56
        .size:           8
        .value_kind:     global_buffer
      - .offset:         64
        .size:           4
        .value_kind:     by_value
      - .offset:         72
        .size:           8
        .value_kind:     by_value
      - .offset:         80
        .size:           4
        .value_kind:     hidden_block_count_x
      - .offset:         84
        .size:           4
        .value_kind:     hidden_block_count_y
      - .offset:         88
        .size:           4
        .value_kind:     hidden_block_count_z
      - .offset:         92
        .size:           2
        .value_kind:     hidden_group_size_x
      - .offset:         94
        .size:           2
        .value_kind:     hidden_group_size_y
      - .offset:         96
        .size:           2
        .value_kind:     hidden_group_size_z
      - .offset:         98
        .size:           2
        .value_kind:     hidden_remainder_x
      - .offset:         100
        .size:           2
        .value_kind:     hidden_remainder_y
      - .offset:         102
        .size:           2
        .value_kind:     hidden_remainder_z
      - .offset:         120
        .size:           8
        .value_kind:     hidden_global_offset_x
      - .offset:         128
        .size:           8
        .value_kind:     hidden_global_offset_y
      - .offset:         136
        .size:           8
        .value_kind:     hidden_global_offset_z
      - .offset:         144
        .size:           2
        .value_kind:     hidden_grid_dims
      - .offset:         200
        .size:           4
        .value_kind:     hidden_dynamic_lds_size
    .group_segment_fixed_size: 0
    .kernarg_segment_align: 8
    .kernarg_segment_size: 336
    .language:       OpenCL C
    .language_version:
      - 2
      - 0
    .max_flat_workgroup_size: 1024
    .name:           _ZN9rocsolver6v33100L21larft_kernel_backwardIfPfEEv15rocblas_storev_iiT0_iilPT_lS6_il
    .private_segment_fixed_size: 0
    .sgpr_count:     45
    .sgpr_spill_count: 0
    .symbol:         _ZN9rocsolver6v33100L21larft_kernel_backwardIfPfEEv15rocblas_storev_iiT0_iilPT_lS6_il.kd
    .uniform_work_group_size: 1
    .uses_dynamic_stack: false
    .vgpr_count:     13
    .vgpr_spill_count: 0
    .wavefront_size: 32
    .workgroup_processor_mode: 1
  - .args:
      - .offset:         0
        .size:           4
        .value_kind:     by_value
      - .offset:         4
        .size:           4
        .value_kind:     by_value
      - .address_space:  global
        .offset:         8
        .size:           8
        .value_kind:     global_buffer
      - .offset:         16
        .size:           4
        .value_kind:     by_value
      - .offset:         20
        .size:           4
        .value_kind:     by_value
      - .offset:         24
        .size:           8
        .value_kind:     by_value
      - .address_space:  global
        .offset:         32
        .size:           8
        .value_kind:     global_buffer
      - .offset:         40
        .size:           4
        .value_kind:     hidden_block_count_x
      - .offset:         44
        .size:           4
        .value_kind:     hidden_block_count_y
      - .offset:         48
        .size:           4
        .value_kind:     hidden_block_count_z
      - .offset:         52
        .size:           2
        .value_kind:     hidden_group_size_x
      - .offset:         54
        .size:           2
        .value_kind:     hidden_group_size_y
      - .offset:         56
        .size:           2
        .value_kind:     hidden_group_size_z
      - .offset:         58
        .size:           2
        .value_kind:     hidden_remainder_x
      - .offset:         60
        .size:           2
        .value_kind:     hidden_remainder_y
      - .offset:         62
        .size:           2
        .value_kind:     hidden_remainder_z
      - .offset:         80
        .size:           8
        .value_kind:     hidden_global_offset_x
      - .offset:         88
        .size:           8
        .value_kind:     hidden_global_offset_y
      - .offset:         96
        .size:           8
        .value_kind:     hidden_global_offset_z
      - .offset:         104
        .size:           2
        .value_kind:     hidden_grid_dims
    .group_segment_fixed_size: 0
    .kernarg_segment_align: 8
    .kernarg_segment_size: 296
    .language:       OpenCL C
    .language_version:
      - 2
      - 0
    .max_flat_workgroup_size: 1024
    .name:           _ZN9rocsolver6v33100L9copymatA1IfPfEEviiT0_iilPT_
    .private_segment_fixed_size: 0
    .sgpr_count:     18
    .sgpr_spill_count: 0
    .symbol:         _ZN9rocsolver6v33100L9copymatA1IfPfEEviiT0_iilPT_.kd
    .uniform_work_group_size: 1
    .uses_dynamic_stack: false
    .vgpr_count:     6
    .vgpr_spill_count: 0
    .wavefront_size: 32
    .workgroup_processor_mode: 1
  - .args:
      - .offset:         0
        .size:           4
        .value_kind:     by_value
      - .offset:         4
        .size:           4
        .value_kind:     by_value
      - .address_space:  global
        .offset:         8
        .size:           8
        .value_kind:     global_buffer
      - .offset:         16
        .size:           4
        .value_kind:     by_value
      - .offset:         20
        .size:           4
        .value_kind:     by_value
      - .offset:         24
        .size:           8
        .value_kind:     by_value
      - .address_space:  global
        .offset:         32
        .size:           8
        .value_kind:     global_buffer
      - .offset:         40
        .size:           4
        .value_kind:     hidden_block_count_x
      - .offset:         44
        .size:           4
        .value_kind:     hidden_block_count_y
      - .offset:         48
        .size:           4
        .value_kind:     hidden_block_count_z
      - .offset:         52
        .size:           2
        .value_kind:     hidden_group_size_x
      - .offset:         54
        .size:           2
        .value_kind:     hidden_group_size_y
      - .offset:         56
        .size:           2
        .value_kind:     hidden_group_size_z
      - .offset:         58
        .size:           2
        .value_kind:     hidden_remainder_x
      - .offset:         60
        .size:           2
        .value_kind:     hidden_remainder_y
      - .offset:         62
        .size:           2
        .value_kind:     hidden_remainder_z
      - .offset:         80
        .size:           8
        .value_kind:     hidden_global_offset_x
      - .offset:         88
        .size:           8
        .value_kind:     hidden_global_offset_y
      - .offset:         96
        .size:           8
        .value_kind:     hidden_global_offset_z
      - .offset:         104
        .size:           2
        .value_kind:     hidden_grid_dims
    .group_segment_fixed_size: 0
    .kernarg_segment_align: 8
    .kernarg_segment_size: 296
    .language:       OpenCL C
    .language_version:
      - 2
      - 0
    .max_flat_workgroup_size: 1024
    .name:           _ZN9rocsolver6v33100L8addmatA1IfPfEEviiT0_iilPT_
    .private_segment_fixed_size: 0
    .sgpr_count:     18
    .sgpr_spill_count: 0
    .symbol:         _ZN9rocsolver6v33100L8addmatA1IfPfEEviiT0_iilPT_.kd
    .uniform_work_group_size: 1
    .uses_dynamic_stack: false
    .vgpr_count:     6
    .vgpr_spill_count: 0
    .wavefront_size: 32
    .workgroup_processor_mode: 1
  - .args:
      - .offset:         0
        .size:           4
        .value_kind:     by_value
      - .address_space:  global
        .offset:         8
        .size:           8
        .value_kind:     global_buffer
      - .offset:         16
        .size:           8
        .value_kind:     by_value
      - .address_space:  global
        .offset:         24
        .size:           8
        .value_kind:     global_buffer
      - .offset:         32
        .size:           4
        .value_kind:     by_value
      - .offset:         40
        .size:           8
        .value_kind:     by_value
      - .address_space:  global
        .offset:         48
        .size:           8
        .value_kind:     global_buffer
      - .offset:         56
        .size:           4
        .value_kind:     by_value
      - .offset:         64
        .size:           8
        .value_kind:     by_value
      - .offset:         72
        .size:           4
        .value_kind:     hidden_block_count_x
      - .offset:         76
        .size:           4
        .value_kind:     hidden_block_count_y
      - .offset:         80
        .size:           4
        .value_kind:     hidden_block_count_z
      - .offset:         84
        .size:           2
        .value_kind:     hidden_group_size_x
      - .offset:         86
        .size:           2
        .value_kind:     hidden_group_size_y
      - .offset:         88
        .size:           2
        .value_kind:     hidden_group_size_z
      - .offset:         90
        .size:           2
        .value_kind:     hidden_remainder_x
      - .offset:         92
        .size:           2
        .value_kind:     hidden_remainder_y
      - .offset:         94
        .size:           2
        .value_kind:     hidden_remainder_z
      - .offset:         112
        .size:           8
        .value_kind:     hidden_global_offset_x
      - .offset:         120
        .size:           8
        .value_kind:     hidden_global_offset_y
      - .offset:         128
        .size:           8
        .value_kind:     hidden_global_offset_z
      - .offset:         136
        .size:           2
        .value_kind:     hidden_grid_dims
    .group_segment_fixed_size: 0
    .kernarg_segment_align: 8
    .kernarg_segment_size: 328
    .language:       OpenCL C
    .language_version:
      - 2
      - 0
    .max_flat_workgroup_size: 1024
    .name:           _ZN9rocsolver6v33100L15gesvdj_finalizeIffEEviPT0_lPT_ilS5_il
    .private_segment_fixed_size: 0
    .sgpr_count:     24
    .sgpr_spill_count: 0
    .symbol:         _ZN9rocsolver6v33100L15gesvdj_finalizeIffEEviPT0_lPT_ilS5_il.kd
    .uniform_work_group_size: 1
    .uses_dynamic_stack: false
    .vgpr_count:     5
    .vgpr_spill_count: 0
    .wavefront_size: 32
    .workgroup_processor_mode: 1
  - .args:
      - .offset:         0
        .size:           4
        .value_kind:     by_value
      - .offset:         4
        .size:           4
        .value_kind:     by_value
      - .offset:         8
        .size:           4
        .value_kind:     by_value
      - .address_space:  global
        .offset:         16
        .size:           8
        .value_kind:     global_buffer
      - .offset:         24
        .size:           4
        .value_kind:     by_value
      - .offset:         28
        .size:           4
        .value_kind:     by_value
      - .offset:         32
        .size:           8
        .value_kind:     by_value
      - .offset:         40
        .size:           4
        .value_kind:     hidden_block_count_x
      - .offset:         44
        .size:           4
        .value_kind:     hidden_block_count_y
      - .offset:         48
        .size:           4
        .value_kind:     hidden_block_count_z
      - .offset:         52
        .size:           2
        .value_kind:     hidden_group_size_x
      - .offset:         54
        .size:           2
        .value_kind:     hidden_group_size_y
      - .offset:         56
        .size:           2
        .value_kind:     hidden_group_size_z
      - .offset:         58
        .size:           2
        .value_kind:     hidden_remainder_x
      - .offset:         60
        .size:           2
        .value_kind:     hidden_remainder_y
      - .offset:         62
        .size:           2
        .value_kind:     hidden_remainder_z
      - .offset:         80
        .size:           8
        .value_kind:     hidden_global_offset_x
      - .offset:         88
        .size:           8
        .value_kind:     hidden_global_offset_y
      - .offset:         96
        .size:           8
        .value_kind:     hidden_global_offset_z
      - .offset:         104
        .size:           2
        .value_kind:     hidden_grid_dims
    .group_segment_fixed_size: 0
    .kernarg_segment_align: 8
    .kernarg_segment_size: 296
    .language:       OpenCL C
    .language_version:
      - 2
      - 0
    .max_flat_workgroup_size: 1024
    .name:           _ZN9rocsolver6v33100L16org2r_init_identIfPfEEviiiT0_iil
    .private_segment_fixed_size: 0
    .sgpr_count:     18
    .sgpr_spill_count: 0
    .symbol:         _ZN9rocsolver6v33100L16org2r_init_identIfPfEEviiiT0_iil.kd
    .uniform_work_group_size: 1
    .uses_dynamic_stack: false
    .vgpr_count:     6
    .vgpr_spill_count: 0
    .wavefront_size: 32
    .workgroup_processor_mode: 1
  - .args:
      - .offset:         0
        .size:           4
        .value_kind:     by_value
      - .offset:         4
        .size:           4
        .value_kind:     by_value
      - .address_space:  global
        .offset:         8
        .size:           8
        .value_kind:     global_buffer
      - .offset:         16
        .size:           4
        .value_kind:     by_value
      - .offset:         20
        .size:           4
        .value_kind:     by_value
      - .offset:         24
        .size:           8
        .value_kind:     by_value
      - .address_space:  global
        .offset:         32
        .size:           8
        .value_kind:     global_buffer
      - .offset:         40
        .size:           8
        .value_kind:     by_value
    .group_segment_fixed_size: 0
    .kernarg_segment_align: 8
    .kernarg_segment_size: 48
    .language:       OpenCL C
    .language_version:
      - 2
      - 0
    .max_flat_workgroup_size: 1024
    .name:           _ZN9rocsolver6v33100L12subtract_tauIfPfEEviiT0_iilPT_l
    .private_segment_fixed_size: 0
    .sgpr_count:     16
    .sgpr_spill_count: 0
    .symbol:         _ZN9rocsolver6v33100L12subtract_tauIfPfEEviiT0_iilPT_l.kd
    .uniform_work_group_size: 1
    .uses_dynamic_stack: false
    .vgpr_count:     3
    .vgpr_spill_count: 0
    .wavefront_size: 32
    .workgroup_processor_mode: 1
  - .args:
      - .offset:         0
        .size:           4
        .value_kind:     by_value
      - .address_space:  global
        .offset:         8
        .size:           8
        .value_kind:     global_buffer
      - .offset:         16
        .size:           8
        .value_kind:     by_value
      - .offset:         24
        .size:           4
        .value_kind:     hidden_block_count_x
      - .offset:         28
        .size:           4
        .value_kind:     hidden_block_count_y
      - .offset:         32
        .size:           4
        .value_kind:     hidden_block_count_z
      - .offset:         36
        .size:           2
        .value_kind:     hidden_group_size_x
      - .offset:         38
        .size:           2
        .value_kind:     hidden_group_size_y
      - .offset:         40
        .size:           2
        .value_kind:     hidden_group_size_z
      - .offset:         42
        .size:           2
        .value_kind:     hidden_remainder_x
      - .offset:         44
        .size:           2
        .value_kind:     hidden_remainder_y
      - .offset:         46
        .size:           2
        .value_kind:     hidden_remainder_z
      - .offset:         64
        .size:           8
        .value_kind:     hidden_global_offset_x
      - .offset:         72
        .size:           8
        .value_kind:     hidden_global_offset_y
      - .offset:         80
        .size:           8
        .value_kind:     hidden_global_offset_z
      - .offset:         88
        .size:           2
        .value_kind:     hidden_grid_dims
    .group_segment_fixed_size: 0
    .kernarg_segment_align: 8
    .kernarg_segment_size: 280
    .language:       OpenCL C
    .language_version:
      - 2
      - 0
    .max_flat_workgroup_size: 1024
    .name:           _ZN9rocsolver6v33100L6restauIfEEviPT_l
    .private_segment_fixed_size: 0
    .sgpr_count:     18
    .sgpr_spill_count: 0
    .symbol:         _ZN9rocsolver6v33100L6restauIfEEviPT_l.kd
    .uniform_work_group_size: 1
    .uses_dynamic_stack: false
    .vgpr_count:     3
    .vgpr_spill_count: 0
    .wavefront_size: 32
    .workgroup_processor_mode: 1
  - .args:
      - .offset:         0
        .size:           4
        .value_kind:     by_value
      - .offset:         4
        .size:           4
        .value_kind:     by_value
      - .address_space:  global
        .offset:         8
        .size:           8
        .value_kind:     global_buffer
      - .offset:         16
        .size:           4
        .value_kind:     by_value
      - .offset:         20
        .size:           4
        .value_kind:     by_value
      - .offset:         24
        .size:           8
        .value_kind:     by_value
      - .offset:         32
        .size:           4
        .value_kind:     by_value
      - .offset:         40
        .size:           4
        .value_kind:     hidden_block_count_x
      - .offset:         44
        .size:           4
        .value_kind:     hidden_block_count_y
      - .offset:         48
        .size:           4
        .value_kind:     hidden_block_count_z
      - .offset:         52
        .size:           2
        .value_kind:     hidden_group_size_x
      - .offset:         54
        .size:           2
        .value_kind:     hidden_group_size_y
      - .offset:         56
        .size:           2
        .value_kind:     hidden_group_size_z
      - .offset:         58
        .size:           2
        .value_kind:     hidden_remainder_x
      - .offset:         60
        .size:           2
        .value_kind:     hidden_remainder_y
      - .offset:         62
        .size:           2
        .value_kind:     hidden_remainder_z
      - .offset:         80
        .size:           8
        .value_kind:     hidden_global_offset_x
      - .offset:         88
        .size:           8
        .value_kind:     hidden_global_offset_y
      - .offset:         96
        .size:           8
        .value_kind:     hidden_global_offset_z
      - .offset:         104
        .size:           2
        .value_kind:     hidden_grid_dims
    .group_segment_fixed_size: 0
    .kernarg_segment_align: 8
    .kernarg_segment_size: 296
    .language:       OpenCL C
    .language_version:
      - 2
      - 0
    .max_flat_workgroup_size: 1024
    .name:           _ZN9rocsolver6v33100L8set_zeroIfPfEEviiT0_iil13rocblas_fill_
    .private_segment_fixed_size: 0
    .sgpr_count:     18
    .sgpr_spill_count: 0
    .symbol:         _ZN9rocsolver6v33100L8set_zeroIfPfEEviiT0_iil13rocblas_fill_.kd
    .uniform_work_group_size: 1
    .uses_dynamic_stack: false
    .vgpr_count:     5
    .vgpr_spill_count: 0
    .wavefront_size: 32
    .workgroup_processor_mode: 1
  - .args:
      - .address_space:  global
        .offset:         0
        .size:           8
        .value_kind:     global_buffer
      - .offset:         8
        .size:           4
        .value_kind:     by_value
      - .offset:         16
        .size:           8
        .value_kind:     by_value
    .group_segment_fixed_size: 0
    .kernarg_segment_align: 8
    .kernarg_segment_size: 24
    .language:       OpenCL C
    .language_version:
      - 2
      - 0
    .max_flat_workgroup_size: 32
    .name:           _ZN9rocsolver6v33100L6iota_nIdEEvPT_jS2_
    .private_segment_fixed_size: 0
    .sgpr_count:     6
    .sgpr_spill_count: 0
    .symbol:         _ZN9rocsolver6v33100L6iota_nIdEEvPT_jS2_.kd
    .uniform_work_group_size: 1
    .uses_dynamic_stack: false
    .vgpr_count:     3
    .vgpr_spill_count: 0
    .wavefront_size: 32
    .workgroup_processor_mode: 1
  - .args:
      - .address_space:  global
        .offset:         0
        .size:           8
        .value_kind:     global_buffer
      - .offset:         8
        .size:           4
        .value_kind:     by_value
      - .offset:         12
        .size:           4
        .value_kind:     by_value
      - .offset:         16
        .size:           4
        .value_kind:     by_value
      - .offset:         24
        .size:           4
        .value_kind:     hidden_block_count_x
      - .offset:         28
        .size:           4
        .value_kind:     hidden_block_count_y
      - .offset:         32
        .size:           4
        .value_kind:     hidden_block_count_z
      - .offset:         36
        .size:           2
        .value_kind:     hidden_group_size_x
      - .offset:         38
        .size:           2
        .value_kind:     hidden_group_size_y
      - .offset:         40
        .size:           2
        .value_kind:     hidden_group_size_z
      - .offset:         42
        .size:           2
        .value_kind:     hidden_remainder_x
      - .offset:         44
        .size:           2
        .value_kind:     hidden_remainder_y
      - .offset:         46
        .size:           2
        .value_kind:     hidden_remainder_z
      - .offset:         64
        .size:           8
        .value_kind:     hidden_global_offset_x
      - .offset:         72
        .size:           8
        .value_kind:     hidden_global_offset_y
      - .offset:         80
        .size:           8
        .value_kind:     hidden_global_offset_z
      - .offset:         88
        .size:           2
        .value_kind:     hidden_grid_dims
    .group_segment_fixed_size: 0
    .kernarg_segment_align: 8
    .kernarg_segment_size: 280
    .language:       OpenCL C
    .language_version:
      - 2
      - 0
    .max_flat_workgroup_size: 1024
    .name:           _ZN9rocsolver6v33100L10reset_infoIdiiEEvPT_T0_T1_S4_
    .private_segment_fixed_size: 0
    .sgpr_count:     18
    .sgpr_spill_count: 0
    .symbol:         _ZN9rocsolver6v33100L10reset_infoIdiiEEvPT_T0_T1_S4_.kd
    .uniform_work_group_size: 1
    .uses_dynamic_stack: false
    .vgpr_count:     6
    .vgpr_spill_count: 0
    .wavefront_size: 32
    .workgroup_processor_mode: 1
  - .args:
      - .offset:         0
        .size:           4
        .value_kind:     by_value
      - .address_space:  global
        .offset:         8
        .size:           8
        .value_kind:     global_buffer
      - .offset:         16
        .size:           8
        .value_kind:     by_value
      - .address_space:  global
        .offset:         24
        .size:           8
        .value_kind:     global_buffer
      - .offset:         32
        .size:           8
        .value_kind:     by_value
      - .offset:         40
        .size:           4
        .value_kind:     by_value
      - .offset:         48
        .size:           4
        .value_kind:     hidden_block_count_x
      - .offset:         52
        .size:           4
        .value_kind:     hidden_block_count_y
      - .offset:         56
        .size:           4
        .value_kind:     hidden_block_count_z
      - .offset:         60
        .size:           2
        .value_kind:     hidden_group_size_x
      - .offset:         62
        .size:           2
        .value_kind:     hidden_group_size_y
      - .offset:         64
        .size:           2
        .value_kind:     hidden_group_size_z
      - .offset:         66
        .size:           2
        .value_kind:     hidden_remainder_x
      - .offset:         68
        .size:           2
        .value_kind:     hidden_remainder_y
      - .offset:         70
        .size:           2
        .value_kind:     hidden_remainder_z
      - .offset:         88
        .size:           8
        .value_kind:     hidden_global_offset_x
      - .offset:         96
        .size:           8
        .value_kind:     hidden_global_offset_y
      - .offset:         104
        .size:           8
        .value_kind:     hidden_global_offset_z
      - .offset:         112
        .size:           2
        .value_kind:     hidden_grid_dims
    .group_segment_fixed_size: 0
    .kernarg_segment_align: 8
    .kernarg_segment_size: 304
    .language:       OpenCL C
    .language_version:
      - 2
      - 0
    .max_flat_workgroup_size: 1024
    .name:           _ZN9rocsolver6v33100L16syev_scalar_caseIdPdTnNSt9enable_ifIXnt18rocblas_is_complexIT_EEiE4typeELi0EEEv14rocblas_evect_T0_lPS4_li
    .private_segment_fixed_size: 0
    .sgpr_count:     18
    .sgpr_spill_count: 0
    .symbol:         _ZN9rocsolver6v33100L16syev_scalar_caseIdPdTnNSt9enable_ifIXnt18rocblas_is_complexIT_EEiE4typeELi0EEEv14rocblas_evect_T0_lPS4_li.kd
    .uniform_work_group_size: 1
    .uses_dynamic_stack: false
    .vgpr_count:     9
    .vgpr_spill_count: 0
    .wavefront_size: 32
    .workgroup_processor_mode: 1
  - .args:
      - .offset:         0
        .size:           4
        .value_kind:     by_value
      - .offset:         4
        .size:           4
        .value_kind:     by_value
      - .offset:         8
        .size:           4
        .value_kind:     by_value
      - .offset:         12
        .size:           4
        .value_kind:     by_value
      - .address_space:  global
        .offset:         16
        .size:           8
        .value_kind:     global_buffer
      - .offset:         24
        .size:           4
        .value_kind:     by_value
      - .offset:         28
        .size:           4
        .value_kind:     by_value
      - .offset:         32
        .size:           8
        .value_kind:     by_value
      - .offset:         40
        .size:           8
        .value_kind:     by_value
      - .offset:         48
        .size:           8
        .value_kind:     by_value
      - .address_space:  global
        .offset:         56
        .size:           8
        .value_kind:     global_buffer
      - .offset:         64
        .size:           4
        .value_kind:     by_value
      - .address_space:  global
        .offset:         72
        .size:           8
        .value_kind:     global_buffer
      - .address_space:  global
        .offset:         80
        .size:           8
        .value_kind:     global_buffer
      - .offset:         88
        .size:           8
        .value_kind:     by_value
      - .address_space:  global
        .offset:         96
        .size:           8
        .value_kind:     global_buffer
      - .address_space:  global
        .offset:         104
        .size:           8
        .value_kind:     global_buffer
    .group_segment_fixed_size: 0
    .kernarg_segment_align: 8
    .kernarg_segment_size: 112
    .language:       OpenCL C
    .language_version:
      - 2
      - 0
    .max_flat_workgroup_size: 1024
    .name:           _ZN9rocsolver6v33100L18syevj_small_kernelIddPdEEv14rocblas_esort_14rocblas_evect_13rocblas_fill_iT1_iilT0_S7_PS7_iPiS8_lS9_PT_
    .private_segment_fixed_size: 0
    .sgpr_count:     67
    .sgpr_spill_count: 0
    .symbol:         _ZN9rocsolver6v33100L18syevj_small_kernelIddPdEEv14rocblas_esort_14rocblas_evect_13rocblas_fill_iT1_iilT0_S7_PS7_iPiS8_lS9_PT_.kd
    .uniform_work_group_size: 1
    .uses_dynamic_stack: false
    .vgpr_count:     42
    .vgpr_spill_count: 0
    .wavefront_size: 32
    .workgroup_processor_mode: 1
  - .args:
      - .offset:         0
        .size:           4
        .value_kind:     by_value
      - .offset:         4
        .size:           4
        .value_kind:     by_value
      - .offset:         8
        .size:           4
        .value_kind:     by_value
      - .offset:         12
        .size:           4
        .value_kind:     by_value
      - .address_space:  global
        .offset:         16
        .size:           8
        .value_kind:     global_buffer
      - .offset:         24
        .size:           4
        .value_kind:     by_value
      - .offset:         28
        .size:           4
        .value_kind:     by_value
      - .offset:         32
        .size:           8
        .value_kind:     by_value
      - .offset:         40
        .size:           8
        .value_kind:     by_value
      - .address_space:  global
        .offset:         48
        .size:           8
        .value_kind:     global_buffer
      - .address_space:  global
        .offset:         56
        .size:           8
        .value_kind:     global_buffer
      - .address_space:  global
        .offset:         64
        .size:           8
        .value_kind:     global_buffer
      - .address_space:  global
        .offset:         72
        .size:           8
        .value_kind:     global_buffer
      - .address_space:  global
        .offset:         80
        .size:           8
        .value_kind:     global_buffer
      - .address_space:  global
        .offset:         88
        .size:           8
        .value_kind:     global_buffer
      - .offset:         96
        .size:           4
        .value_kind:     hidden_block_count_x
      - .offset:         100
        .size:           4
        .value_kind:     hidden_block_count_y
      - .offset:         104
        .size:           4
        .value_kind:     hidden_block_count_z
      - .offset:         108
        .size:           2
        .value_kind:     hidden_group_size_x
      - .offset:         110
        .size:           2
        .value_kind:     hidden_group_size_y
      - .offset:         112
        .size:           2
        .value_kind:     hidden_group_size_z
      - .offset:         114
        .size:           2
        .value_kind:     hidden_remainder_x
      - .offset:         116
        .size:           2
        .value_kind:     hidden_remainder_y
      - .offset:         118
        .size:           2
        .value_kind:     hidden_remainder_z
      - .offset:         136
        .size:           8
        .value_kind:     hidden_global_offset_x
      - .offset:         144
        .size:           8
        .value_kind:     hidden_global_offset_y
      - .offset:         152
        .size:           8
        .value_kind:     hidden_global_offset_z
      - .offset:         160
        .size:           2
        .value_kind:     hidden_grid_dims
      - .offset:         216
        .size:           4
        .value_kind:     hidden_dynamic_lds_size
    .group_segment_fixed_size: 0
    .kernarg_segment_align: 8
    .kernarg_segment_size: 352
    .language:       OpenCL C
    .language_version:
      - 2
      - 0
    .max_flat_workgroup_size: 1024
    .name:           _ZN9rocsolver6v33100L10syevj_initIddPdEEv14rocblas_evect_13rocblas_fill_iiT1_iilT0_PS6_PT_S7_PiSA_SA_
    .private_segment_fixed_size: 0
    .sgpr_count:     50
    .sgpr_spill_count: 0
    .symbol:         _ZN9rocsolver6v33100L10syevj_initIddPdEEv14rocblas_evect_13rocblas_fill_iiT1_iilT0_PS6_PT_S7_PiSA_SA_.kd
    .uniform_work_group_size: 1
    .uses_dynamic_stack: false
    .vgpr_count:     29
    .vgpr_spill_count: 0
    .wavefront_size: 32
    .workgroup_processor_mode: 1
  - .args:
      - .offset:         0
        .size:           4
        .value_kind:     by_value
      - .address_space:  global
        .offset:         8
        .size:           8
        .value_kind:     global_buffer
      - .offset:         16
        .size:           4
        .value_kind:     by_value
      - .offset:         20
        .size:           4
        .value_kind:     by_value
      - .offset:         24
        .size:           8
        .value_kind:     by_value
      - .offset:         32
        .size:           8
        .value_kind:     by_value
      - .address_space:  global
        .offset:         40
        .size:           8
        .value_kind:     global_buffer
      - .address_space:  global
        .offset:         48
        .size:           8
        .value_kind:     global_buffer
      - .offset:         56
        .size:           4
        .value_kind:     hidden_block_count_x
      - .offset:         60
        .size:           4
        .value_kind:     hidden_block_count_y
      - .offset:         64
        .size:           4
        .value_kind:     hidden_block_count_z
      - .offset:         68
        .size:           2
        .value_kind:     hidden_group_size_x
      - .offset:         70
        .size:           2
        .value_kind:     hidden_group_size_y
      - .offset:         72
        .size:           2
        .value_kind:     hidden_group_size_z
      - .offset:         74
        .size:           2
        .value_kind:     hidden_remainder_x
      - .offset:         76
        .size:           2
        .value_kind:     hidden_remainder_y
      - .offset:         78
        .size:           2
        .value_kind:     hidden_remainder_z
      - .offset:         96
        .size:           8
        .value_kind:     hidden_global_offset_x
      - .offset:         104
        .size:           8
        .value_kind:     hidden_global_offset_y
      - .offset:         112
        .size:           8
        .value_kind:     hidden_global_offset_z
      - .offset:         120
        .size:           2
        .value_kind:     hidden_grid_dims
      - .offset:         176
        .size:           4
        .value_kind:     hidden_dynamic_lds_size
    .group_segment_fixed_size: 0
    .kernarg_segment_align: 8
    .kernarg_segment_size: 312
    .language:       OpenCL C
    .language_version:
      - 2
      - 0
    .max_flat_workgroup_size: 1024
    .name:           _ZN9rocsolver6v33100L17syevj_diag_kernelIddPdEEviT1_iilT0_PT_Pi
    .private_segment_fixed_size: 0
    .sgpr_count:     25
    .sgpr_spill_count: 0
    .symbol:         _ZN9rocsolver6v33100L17syevj_diag_kernelIddPdEEviT1_iilT0_PT_Pi.kd
    .uniform_work_group_size: 1
    .uses_dynamic_stack: false
    .vgpr_count:     34
    .vgpr_spill_count: 0
    .wavefront_size: 32
    .workgroup_processor_mode: 1
  - .args:
      - .offset:         0
        .size:           1
        .value_kind:     by_value
      - .offset:         4
        .size:           4
        .value_kind:     by_value
      - .address_space:  global
        .offset:         8
        .size:           8
        .value_kind:     global_buffer
      - .offset:         16
        .size:           4
        .value_kind:     by_value
      - .offset:         20
        .size:           4
        .value_kind:     by_value
      - .offset:         24
        .size:           8
        .value_kind:     by_value
      - .address_space:  global
        .offset:         32
        .size:           8
        .value_kind:     global_buffer
      - .address_space:  global
        .offset:         40
        .size:           8
        .value_kind:     global_buffer
      - .offset:         48
        .size:           4
        .value_kind:     hidden_block_count_x
      - .offset:         52
        .size:           4
        .value_kind:     hidden_block_count_y
      - .offset:         56
        .size:           4
        .value_kind:     hidden_block_count_z
      - .offset:         60
        .size:           2
        .value_kind:     hidden_group_size_x
      - .offset:         62
        .size:           2
        .value_kind:     hidden_group_size_y
      - .offset:         64
        .size:           2
        .value_kind:     hidden_group_size_z
      - .offset:         66
        .size:           2
        .value_kind:     hidden_remainder_x
      - .offset:         68
        .size:           2
        .value_kind:     hidden_remainder_y
      - .offset:         70
        .size:           2
        .value_kind:     hidden_remainder_z
      - .offset:         88
        .size:           8
        .value_kind:     hidden_global_offset_x
      - .offset:         96
        .size:           8
        .value_kind:     hidden_global_offset_y
      - .offset:         104
        .size:           8
        .value_kind:     hidden_global_offset_z
      - .offset:         112
        .size:           2
        .value_kind:     hidden_grid_dims
    .group_segment_fixed_size: 0
    .kernarg_segment_align: 8
    .kernarg_segment_size: 304
    .language:       OpenCL C
    .language_version:
      - 2
      - 0
    .max_flat_workgroup_size: 1024
    .name:           _ZN9rocsolver6v33100L21syevj_diag_rotate_orgILb0EddPdEEvbiT2_iilPT0_Pi
    .private_segment_fixed_size: 0
    .sgpr_count:     22
    .sgpr_spill_count: 0
    .symbol:         _ZN9rocsolver6v33100L21syevj_diag_rotate_orgILb0EddPdEEvbiT2_iilPT0_Pi.kd
    .uniform_work_group_size: 1
    .uses_dynamic_stack: false
    .vgpr_count:     12
    .vgpr_spill_count: 0
    .wavefront_size: 32
    .workgroup_processor_mode: 1
  - .args:
      - .offset:         0
        .size:           1
        .value_kind:     by_value
      - .offset:         4
        .size:           4
        .value_kind:     by_value
      - .address_space:  global
        .offset:         8
        .size:           8
        .value_kind:     global_buffer
      - .offset:         16
        .size:           4
        .value_kind:     by_value
      - .offset:         20
        .size:           4
        .value_kind:     by_value
      - .offset:         24
        .size:           8
        .value_kind:     by_value
      - .address_space:  global
        .offset:         32
        .size:           8
        .value_kind:     global_buffer
      - .address_space:  global
        .offset:         40
        .size:           8
        .value_kind:     global_buffer
      - .offset:         48
        .size:           4
        .value_kind:     hidden_block_count_x
      - .offset:         52
        .size:           4
        .value_kind:     hidden_block_count_y
      - .offset:         56
        .size:           4
        .value_kind:     hidden_block_count_z
      - .offset:         60
        .size:           2
        .value_kind:     hidden_group_size_x
      - .offset:         62
        .size:           2
        .value_kind:     hidden_group_size_y
      - .offset:         64
        .size:           2
        .value_kind:     hidden_group_size_z
      - .offset:         66
        .size:           2
        .value_kind:     hidden_remainder_x
      - .offset:         68
        .size:           2
        .value_kind:     hidden_remainder_y
      - .offset:         70
        .size:           2
        .value_kind:     hidden_remainder_z
      - .offset:         88
        .size:           8
        .value_kind:     hidden_global_offset_x
      - .offset:         96
        .size:           8
        .value_kind:     hidden_global_offset_y
      - .offset:         104
        .size:           8
        .value_kind:     hidden_global_offset_z
      - .offset:         112
        .size:           2
        .value_kind:     hidden_grid_dims
    .group_segment_fixed_size: 0
    .kernarg_segment_align: 8
    .kernarg_segment_size: 304
    .language:       OpenCL C
    .language_version:
      - 2
      - 0
    .max_flat_workgroup_size: 1024
    .name:           _ZN9rocsolver6v33100L21syevj_diag_rotate_orgILb1EddPdEEvbiT2_iilPT0_Pi
    .private_segment_fixed_size: 0
    .sgpr_count:     20
    .sgpr_spill_count: 0
    .symbol:         _ZN9rocsolver6v33100L21syevj_diag_rotate_orgILb1EddPdEEvbiT2_iilPT0_Pi.kd
    .uniform_work_group_size: 1
    .uses_dynamic_stack: false
    .vgpr_count:     12
    .vgpr_spill_count: 0
    .wavefront_size: 32
    .workgroup_processor_mode: 1
  - .args:
      - .offset:         0
        .size:           1
        .value_kind:     by_value
      - .offset:         4
        .size:           4
        .value_kind:     by_value
      - .offset:         8
        .size:           4
        .value_kind:     by_value
      - .address_space:  global
        .offset:         16
        .size:           8
        .value_kind:     global_buffer
      - .offset:         24
        .size:           4
        .value_kind:     by_value
      - .offset:         28
        .size:           4
        .value_kind:     by_value
      - .offset:         32
        .size:           8
        .value_kind:     by_value
      - .address_space:  global
        .offset:         40
        .size:           8
        .value_kind:     global_buffer
      - .address_space:  global
        .offset:         48
        .size:           8
        .value_kind:     global_buffer
      - .offset:         56
        .size:           4
        .value_kind:     by_value
      - .offset:         64
        .size:           4
        .value_kind:     hidden_block_count_x
      - .offset:         68
        .size:           4
        .value_kind:     hidden_block_count_y
      - .offset:         72
        .size:           4
        .value_kind:     hidden_block_count_z
      - .offset:         76
        .size:           2
        .value_kind:     hidden_group_size_x
      - .offset:         78
        .size:           2
        .value_kind:     hidden_group_size_y
      - .offset:         80
        .size:           2
        .value_kind:     hidden_group_size_z
      - .offset:         82
        .size:           2
        .value_kind:     hidden_remainder_x
      - .offset:         84
        .size:           2
        .value_kind:     hidden_remainder_y
      - .offset:         86
        .size:           2
        .value_kind:     hidden_remainder_z
      - .offset:         104
        .size:           8
        .value_kind:     hidden_global_offset_x
      - .offset:         112
        .size:           8
        .value_kind:     hidden_global_offset_y
      - .offset:         120
        .size:           8
        .value_kind:     hidden_global_offset_z
      - .offset:         128
        .size:           2
        .value_kind:     hidden_grid_dims
      - .offset:         144
        .size:           8
        .value_kind:     hidden_hostcall_buffer
      - .offset:         184
        .size:           4
        .value_kind:     hidden_dynamic_lds_size
    .group_segment_fixed_size: 0
    .kernarg_segment_align: 8
    .kernarg_segment_size: 320
    .language:       OpenCL C
    .language_version:
      - 2
      - 0
    .max_flat_workgroup_size: 1024
    .name:           _ZN9rocsolver6v33100L17syevj_diag_rotateILb0EddPdEEvbiiT2_iilPT0_Pii
    .private_segment_fixed_size: 64
    .sgpr_count:     62
    .sgpr_spill_count: 0
    .symbol:         _ZN9rocsolver6v33100L17syevj_diag_rotateILb0EddPdEEvbiiT2_iilPT0_Pii.kd
    .uniform_work_group_size: 1
    .uses_dynamic_stack: false
    .vgpr_count:     42
    .vgpr_spill_count: 0
    .wavefront_size: 32
    .workgroup_processor_mode: 1
  - .args:
      - .offset:         0
        .size:           1
        .value_kind:     by_value
      - .offset:         4
        .size:           4
        .value_kind:     by_value
      - .offset:         8
        .size:           4
        .value_kind:     by_value
      - .address_space:  global
        .offset:         16
        .size:           8
        .value_kind:     global_buffer
      - .offset:         24
        .size:           4
        .value_kind:     by_value
      - .offset:         28
        .size:           4
        .value_kind:     by_value
      - .offset:         32
        .size:           8
        .value_kind:     by_value
      - .address_space:  global
        .offset:         40
        .size:           8
        .value_kind:     global_buffer
      - .address_space:  global
        .offset:         48
        .size:           8
        .value_kind:     global_buffer
      - .offset:         56
        .size:           4
        .value_kind:     by_value
      - .offset:         64
        .size:           4
        .value_kind:     hidden_block_count_x
      - .offset:         68
        .size:           4
        .value_kind:     hidden_block_count_y
      - .offset:         72
        .size:           4
        .value_kind:     hidden_block_count_z
      - .offset:         76
        .size:           2
        .value_kind:     hidden_group_size_x
      - .offset:         78
        .size:           2
        .value_kind:     hidden_group_size_y
      - .offset:         80
        .size:           2
        .value_kind:     hidden_group_size_z
      - .offset:         82
        .size:           2
        .value_kind:     hidden_remainder_x
      - .offset:         84
        .size:           2
        .value_kind:     hidden_remainder_y
      - .offset:         86
        .size:           2
        .value_kind:     hidden_remainder_z
      - .offset:         104
        .size:           8
        .value_kind:     hidden_global_offset_x
      - .offset:         112
        .size:           8
        .value_kind:     hidden_global_offset_y
      - .offset:         120
        .size:           8
        .value_kind:     hidden_global_offset_z
      - .offset:         128
        .size:           2
        .value_kind:     hidden_grid_dims
      - .offset:         144
        .size:           8
        .value_kind:     hidden_hostcall_buffer
      - .offset:         184
        .size:           4
        .value_kind:     hidden_dynamic_lds_size
    .group_segment_fixed_size: 0
    .kernarg_segment_align: 8
    .kernarg_segment_size: 320
    .language:       OpenCL C
    .language_version:
      - 2
      - 0
    .max_flat_workgroup_size: 1024
    .name:           _ZN9rocsolver6v33100L17syevj_diag_rotateILb1EddPdEEvbiiT2_iilPT0_Pii
    .private_segment_fixed_size: 64
    .sgpr_count:     60
    .sgpr_spill_count: 0
    .symbol:         _ZN9rocsolver6v33100L17syevj_diag_rotateILb1EddPdEEvbiiT2_iilPT0_Pii.kd
    .uniform_work_group_size: 1
    .uses_dynamic_stack: false
    .vgpr_count:     42
    .vgpr_spill_count: 0
    .wavefront_size: 32
    .workgroup_processor_mode: 1
  - .args:
      - .offset:         0
        .size:           4
        .value_kind:     by_value
      - .offset:         4
        .size:           4
        .value_kind:     by_value
      - .address_space:  global
        .offset:         8
        .size:           8
        .value_kind:     global_buffer
      - .offset:         16
        .size:           4
        .value_kind:     by_value
      - .offset:         20
        .size:           4
        .value_kind:     by_value
      - .offset:         24
        .size:           8
        .value_kind:     by_value
      - .offset:         32
        .size:           8
        .value_kind:     by_value
      - .address_space:  global
        .offset:         40
        .size:           8
        .value_kind:     global_buffer
      - .address_space:  global
        .offset:         48
        .size:           8
        .value_kind:     global_buffer
      - .address_space:  global
        .offset:         56
        .size:           8
        .value_kind:     global_buffer
      - .address_space:  global
        .offset:         64
        .size:           8
        .value_kind:     global_buffer
      - .offset:         72
        .size:           4
        .value_kind:     hidden_block_count_x
      - .offset:         76
        .size:           4
        .value_kind:     hidden_block_count_y
      - .offset:         80
        .size:           4
        .value_kind:     hidden_block_count_z
      - .offset:         84
        .size:           2
        .value_kind:     hidden_group_size_x
      - .offset:         86
        .size:           2
        .value_kind:     hidden_group_size_y
      - .offset:         88
        .size:           2
        .value_kind:     hidden_group_size_z
      - .offset:         90
        .size:           2
        .value_kind:     hidden_remainder_x
      - .offset:         92
        .size:           2
        .value_kind:     hidden_remainder_y
      - .offset:         94
        .size:           2
        .value_kind:     hidden_remainder_z
      - .offset:         112
        .size:           8
        .value_kind:     hidden_global_offset_x
      - .offset:         120
        .size:           8
        .value_kind:     hidden_global_offset_y
      - .offset:         128
        .size:           8
        .value_kind:     hidden_global_offset_z
      - .offset:         136
        .size:           2
        .value_kind:     hidden_grid_dims
      - .offset:         192
        .size:           4
        .value_kind:     hidden_dynamic_lds_size
    .group_segment_fixed_size: 0
    .kernarg_segment_align: 8
    .kernarg_segment_size: 328
    .language:       OpenCL C
    .language_version:
      - 2
      - 0
    .max_flat_workgroup_size: 1024
    .name:           _ZN9rocsolver6v33100L21syevj_offd_kernel_orgIddPdEEviiT1_iilT0_PT_PiS7_S7_
    .private_segment_fixed_size: 0
    .sgpr_count:     26
    .sgpr_spill_count: 0
    .symbol:         _ZN9rocsolver6v33100L21syevj_offd_kernel_orgIddPdEEviiT1_iilT0_PT_PiS7_S7_.kd
    .uniform_work_group_size: 1
    .uses_dynamic_stack: false
    .vgpr_count:     52
    .vgpr_spill_count: 0
    .wavefront_size: 32
    .workgroup_processor_mode: 1
  - .args:
      - .offset:         0
        .size:           4
        .value_kind:     by_value
      - .offset:         4
        .size:           4
        .value_kind:     by_value
      - .address_space:  global
        .offset:         8
        .size:           8
        .value_kind:     global_buffer
      - .offset:         16
        .size:           4
        .value_kind:     by_value
      - .offset:         20
        .size:           4
        .value_kind:     by_value
      - .offset:         24
        .size:           8
        .value_kind:     by_value
      - .offset:         32
        .size:           8
        .value_kind:     by_value
      - .address_space:  global
        .offset:         40
        .size:           8
        .value_kind:     global_buffer
      - .address_space:  global
        .offset:         48
        .size:           8
        .value_kind:     global_buffer
      - .address_space:  global
        .offset:         56
        .size:           8
        .value_kind:     global_buffer
      - .address_space:  global
        .offset:         64
        .size:           8
        .value_kind:     global_buffer
      - .offset:         72
        .size:           4
        .value_kind:     by_value
      - .offset:         80
        .size:           4
        .value_kind:     hidden_block_count_x
      - .offset:         84
        .size:           4
        .value_kind:     hidden_block_count_y
      - .offset:         88
        .size:           4
        .value_kind:     hidden_block_count_z
      - .offset:         92
        .size:           2
        .value_kind:     hidden_group_size_x
      - .offset:         94
        .size:           2
        .value_kind:     hidden_group_size_y
      - .offset:         96
        .size:           2
        .value_kind:     hidden_group_size_z
      - .offset:         98
        .size:           2
        .value_kind:     hidden_remainder_x
      - .offset:         100
        .size:           2
        .value_kind:     hidden_remainder_y
      - .offset:         102
        .size:           2
        .value_kind:     hidden_remainder_z
      - .offset:         120
        .size:           8
        .value_kind:     hidden_global_offset_x
      - .offset:         128
        .size:           8
        .value_kind:     hidden_global_offset_y
      - .offset:         136
        .size:           8
        .value_kind:     hidden_global_offset_z
      - .offset:         144
        .size:           2
        .value_kind:     hidden_grid_dims
      - .offset:         200
        .size:           4
        .value_kind:     hidden_dynamic_lds_size
    .group_segment_fixed_size: 0
    .kernarg_segment_align: 8
    .kernarg_segment_size: 336
    .language:       OpenCL C
    .language_version:
      - 2
      - 0
    .max_flat_workgroup_size: 1024
    .name:           _ZN9rocsolver6v33100L17syevj_offd_kernelIddPdEEviiT1_iilT0_PT_PiS7_S7_i
    .private_segment_fixed_size: 0
    .sgpr_count:     68
    .sgpr_spill_count: 0
    .symbol:         _ZN9rocsolver6v33100L17syevj_offd_kernelIddPdEEviiT1_iilT0_PT_PiS7_S7_i.kd
    .uniform_work_group_size: 1
    .uses_dynamic_stack: false
    .vgpr_count:     45
    .vgpr_spill_count: 0
    .wavefront_size: 32
    .workgroup_processor_mode: 1
  - .args:
      - .offset:         0
        .size:           1
        .value_kind:     by_value
      - .offset:         4
        .size:           4
        .value_kind:     by_value
      - .offset:         8
        .size:           4
        .value_kind:     by_value
      - .address_space:  global
        .offset:         16
        .size:           8
        .value_kind:     global_buffer
      - .offset:         24
        .size:           4
        .value_kind:     by_value
      - .offset:         28
        .size:           4
        .value_kind:     by_value
      - .offset:         32
        .size:           8
        .value_kind:     by_value
      - .address_space:  global
        .offset:         40
        .size:           8
        .value_kind:     global_buffer
      - .address_space:  global
        .offset:         48
        .size:           8
        .value_kind:     global_buffer
      - .address_space:  global
        .offset:         56
        .size:           8
        .value_kind:     global_buffer
      - .address_space:  global
        .offset:         64
        .size:           8
        .value_kind:     global_buffer
      - .offset:         72
        .size:           4
        .value_kind:     hidden_block_count_x
      - .offset:         76
        .size:           4
        .value_kind:     hidden_block_count_y
      - .offset:         80
        .size:           4
        .value_kind:     hidden_block_count_z
      - .offset:         84
        .size:           2
        .value_kind:     hidden_group_size_x
      - .offset:         86
        .size:           2
        .value_kind:     hidden_group_size_y
      - .offset:         88
        .size:           2
        .value_kind:     hidden_group_size_z
      - .offset:         90
        .size:           2
        .value_kind:     hidden_remainder_x
      - .offset:         92
        .size:           2
        .value_kind:     hidden_remainder_y
      - .offset:         94
        .size:           2
        .value_kind:     hidden_remainder_z
      - .offset:         112
        .size:           8
        .value_kind:     hidden_global_offset_x
      - .offset:         120
        .size:           8
        .value_kind:     hidden_global_offset_y
      - .offset:         128
        .size:           8
        .value_kind:     hidden_global_offset_z
      - .offset:         136
        .size:           2
        .value_kind:     hidden_grid_dims
    .group_segment_fixed_size: 0
    .kernarg_segment_align: 8
    .kernarg_segment_size: 328
    .language:       OpenCL C
    .language_version:
      - 2
      - 0
    .max_flat_workgroup_size: 1024
    .name:           _ZN9rocsolver6v33100L21syevj_offd_rotate_orgILb0EddPdEEvbiiT2_iilPT0_PiS6_S6_
    .private_segment_fixed_size: 0
    .sgpr_count:     23
    .sgpr_spill_count: 0
    .symbol:         _ZN9rocsolver6v33100L21syevj_offd_rotate_orgILb0EddPdEEvbiiT2_iilPT0_PiS6_S6_.kd
    .uniform_work_group_size: 1
    .uses_dynamic_stack: false
    .vgpr_count:     14
    .vgpr_spill_count: 0
    .wavefront_size: 32
    .workgroup_processor_mode: 1
  - .args:
      - .offset:         0
        .size:           1
        .value_kind:     by_value
      - .offset:         4
        .size:           4
        .value_kind:     by_value
      - .offset:         8
        .size:           4
        .value_kind:     by_value
      - .address_space:  global
        .offset:         16
        .size:           8
        .value_kind:     global_buffer
      - .offset:         24
        .size:           4
        .value_kind:     by_value
      - .offset:         28
        .size:           4
        .value_kind:     by_value
      - .offset:         32
        .size:           8
        .value_kind:     by_value
      - .address_space:  global
        .offset:         40
        .size:           8
        .value_kind:     global_buffer
      - .address_space:  global
        .offset:         48
        .size:           8
        .value_kind:     global_buffer
      - .address_space:  global
        .offset:         56
        .size:           8
        .value_kind:     global_buffer
      - .address_space:  global
        .offset:         64
        .size:           8
        .value_kind:     global_buffer
      - .offset:         72
        .size:           4
        .value_kind:     by_value
      - .offset:         80
        .size:           4
        .value_kind:     hidden_block_count_x
      - .offset:         84
        .size:           4
        .value_kind:     hidden_block_count_y
      - .offset:         88
        .size:           4
        .value_kind:     hidden_block_count_z
      - .offset:         92
        .size:           2
        .value_kind:     hidden_group_size_x
      - .offset:         94
        .size:           2
        .value_kind:     hidden_group_size_y
      - .offset:         96
        .size:           2
        .value_kind:     hidden_group_size_z
      - .offset:         98
        .size:           2
        .value_kind:     hidden_remainder_x
      - .offset:         100
        .size:           2
        .value_kind:     hidden_remainder_y
      - .offset:         102
        .size:           2
        .value_kind:     hidden_remainder_z
      - .offset:         120
        .size:           8
        .value_kind:     hidden_global_offset_x
      - .offset:         128
        .size:           8
        .value_kind:     hidden_global_offset_y
      - .offset:         136
        .size:           8
        .value_kind:     hidden_global_offset_z
      - .offset:         144
        .size:           2
        .value_kind:     hidden_grid_dims
      - .offset:         200
        .size:           4
        .value_kind:     hidden_dynamic_lds_size
    .group_segment_fixed_size: 0
    .kernarg_segment_align: 8
    .kernarg_segment_size: 336
    .language:       OpenCL C
    .language_version:
      - 2
      - 0
    .max_flat_workgroup_size: 1024
    .name:           _ZN9rocsolver6v33100L17syevj_offd_rotateILb0EddPdEEvbiiT2_iilPT0_PiS6_S6_i
    .private_segment_fixed_size: 0
    .sgpr_count:     72
    .sgpr_spill_count: 0
    .symbol:         _ZN9rocsolver6v33100L17syevj_offd_rotateILb0EddPdEEvbiiT2_iilPT0_PiS6_S6_i.kd
    .uniform_work_group_size: 1
    .uses_dynamic_stack: false
    .vgpr_count:     20
    .vgpr_spill_count: 0
    .wavefront_size: 32
    .workgroup_processor_mode: 1
  - .args:
      - .offset:         0
        .size:           1
        .value_kind:     by_value
      - .offset:         4
        .size:           4
        .value_kind:     by_value
      - .offset:         8
        .size:           4
        .value_kind:     by_value
      - .address_space:  global
        .offset:         16
        .size:           8
        .value_kind:     global_buffer
      - .offset:         24
        .size:           4
        .value_kind:     by_value
      - .offset:         28
        .size:           4
        .value_kind:     by_value
      - .offset:         32
        .size:           8
        .value_kind:     by_value
      - .address_space:  global
        .offset:         40
        .size:           8
        .value_kind:     global_buffer
      - .address_space:  global
        .offset:         48
        .size:           8
        .value_kind:     global_buffer
      - .address_space:  global
        .offset:         56
        .size:           8
        .value_kind:     global_buffer
      - .address_space:  global
        .offset:         64
        .size:           8
        .value_kind:     global_buffer
      - .offset:         72
        .size:           4
        .value_kind:     hidden_block_count_x
      - .offset:         76
        .size:           4
        .value_kind:     hidden_block_count_y
      - .offset:         80
        .size:           4
        .value_kind:     hidden_block_count_z
      - .offset:         84
        .size:           2
        .value_kind:     hidden_group_size_x
      - .offset:         86
        .size:           2
        .value_kind:     hidden_group_size_y
      - .offset:         88
        .size:           2
        .value_kind:     hidden_group_size_z
      - .offset:         90
        .size:           2
        .value_kind:     hidden_remainder_x
      - .offset:         92
        .size:           2
        .value_kind:     hidden_remainder_y
      - .offset:         94
        .size:           2
        .value_kind:     hidden_remainder_z
      - .offset:         112
        .size:           8
        .value_kind:     hidden_global_offset_x
      - .offset:         120
        .size:           8
        .value_kind:     hidden_global_offset_y
      - .offset:         128
        .size:           8
        .value_kind:     hidden_global_offset_z
      - .offset:         136
        .size:           2
        .value_kind:     hidden_grid_dims
    .group_segment_fixed_size: 0
    .kernarg_segment_align: 8
    .kernarg_segment_size: 328
    .language:       OpenCL C
    .language_version:
      - 2
      - 0
    .max_flat_workgroup_size: 1024
    .name:           _ZN9rocsolver6v33100L21syevj_offd_rotate_orgILb1EddPdEEvbiiT2_iilPT0_PiS6_S6_
    .private_segment_fixed_size: 0
    .sgpr_count:     21
    .sgpr_spill_count: 0
    .symbol:         _ZN9rocsolver6v33100L21syevj_offd_rotate_orgILb1EddPdEEvbiiT2_iilPT0_PiS6_S6_.kd
    .uniform_work_group_size: 1
    .uses_dynamic_stack: false
    .vgpr_count:     14
    .vgpr_spill_count: 0
    .wavefront_size: 32
    .workgroup_processor_mode: 1
  - .args:
      - .offset:         0
        .size:           1
        .value_kind:     by_value
      - .offset:         4
        .size:           4
        .value_kind:     by_value
      - .offset:         8
        .size:           4
        .value_kind:     by_value
      - .address_space:  global
        .offset:         16
        .size:           8
        .value_kind:     global_buffer
      - .offset:         24
        .size:           4
        .value_kind:     by_value
      - .offset:         28
        .size:           4
        .value_kind:     by_value
      - .offset:         32
        .size:           8
        .value_kind:     by_value
      - .address_space:  global
        .offset:         40
        .size:           8
        .value_kind:     global_buffer
      - .address_space:  global
        .offset:         48
        .size:           8
        .value_kind:     global_buffer
      - .address_space:  global
        .offset:         56
        .size:           8
        .value_kind:     global_buffer
      - .address_space:  global
        .offset:         64
        .size:           8
        .value_kind:     global_buffer
      - .offset:         72
        .size:           4
        .value_kind:     by_value
      - .offset:         80
        .size:           4
        .value_kind:     hidden_block_count_x
      - .offset:         84
        .size:           4
        .value_kind:     hidden_block_count_y
      - .offset:         88
        .size:           4
        .value_kind:     hidden_block_count_z
      - .offset:         92
        .size:           2
        .value_kind:     hidden_group_size_x
      - .offset:         94
        .size:           2
        .value_kind:     hidden_group_size_y
      - .offset:         96
        .size:           2
        .value_kind:     hidden_group_size_z
      - .offset:         98
        .size:           2
        .value_kind:     hidden_remainder_x
      - .offset:         100
        .size:           2
        .value_kind:     hidden_remainder_y
      - .offset:         102
        .size:           2
        .value_kind:     hidden_remainder_z
      - .offset:         120
        .size:           8
        .value_kind:     hidden_global_offset_x
      - .offset:         128
        .size:           8
        .value_kind:     hidden_global_offset_y
      - .offset:         136
        .size:           8
        .value_kind:     hidden_global_offset_z
      - .offset:         144
        .size:           2
        .value_kind:     hidden_grid_dims
      - .offset:         200
        .size:           4
        .value_kind:     hidden_dynamic_lds_size
    .group_segment_fixed_size: 0
    .kernarg_segment_align: 8
    .kernarg_segment_size: 336
    .language:       OpenCL C
    .language_version:
      - 2
      - 0
    .max_flat_workgroup_size: 1024
    .name:           _ZN9rocsolver6v33100L17syevj_offd_rotateILb1EddPdEEvbiiT2_iilPT0_PiS6_S6_i
    .private_segment_fixed_size: 0
    .sgpr_count:     68
    .sgpr_spill_count: 0
    .symbol:         _ZN9rocsolver6v33100L17syevj_offd_rotateILb1EddPdEEvbiiT2_iilPT0_PiS6_S6_i.kd
    .uniform_work_group_size: 1
    .uses_dynamic_stack: false
    .vgpr_count:     22
    .vgpr_spill_count: 0
    .wavefront_size: 32
    .workgroup_processor_mode: 1
  - .args:
      - .offset:         0
        .size:           4
        .value_kind:     by_value
      - .address_space:  global
        .offset:         8
        .size:           8
        .value_kind:     global_buffer
      - .address_space:  global
        .offset:         16
        .size:           8
        .value_kind:     global_buffer
      - .offset:         24
        .size:           4
        .value_kind:     hidden_block_count_x
      - .offset:         28
        .size:           4
        .value_kind:     hidden_block_count_y
      - .offset:         32
        .size:           4
        .value_kind:     hidden_block_count_z
      - .offset:         36
        .size:           2
        .value_kind:     hidden_group_size_x
      - .offset:         38
        .size:           2
        .value_kind:     hidden_group_size_y
      - .offset:         40
        .size:           2
        .value_kind:     hidden_group_size_z
      - .offset:         42
        .size:           2
        .value_kind:     hidden_remainder_x
      - .offset:         44
        .size:           2
        .value_kind:     hidden_remainder_y
      - .offset:         46
        .size:           2
        .value_kind:     hidden_remainder_z
      - .offset:         64
        .size:           8
        .value_kind:     hidden_global_offset_x
      - .offset:         72
        .size:           8
        .value_kind:     hidden_global_offset_y
      - .offset:         80
        .size:           8
        .value_kind:     hidden_global_offset_z
      - .offset:         88
        .size:           2
        .value_kind:     hidden_grid_dims
    .group_segment_fixed_size: 0
    .kernarg_segment_align: 8
    .kernarg_segment_size: 280
    .language:       OpenCL C
    .language_version:
      - 2
      - 0
    .max_flat_workgroup_size: 1024
    .name:           _ZN9rocsolver6v33100L17syevj_cycle_pairsIdEEviPiS2_
    .private_segment_fixed_size: 0
    .sgpr_count:     18
    .sgpr_spill_count: 0
    .symbol:         _ZN9rocsolver6v33100L17syevj_cycle_pairsIdEEviPiS2_.kd
    .uniform_work_group_size: 1
    .uses_dynamic_stack: false
    .vgpr_count:     9
    .vgpr_spill_count: 0
    .wavefront_size: 32
    .workgroup_processor_mode: 1
  - .args:
      - .offset:         0
        .size:           4
        .value_kind:     by_value
      - .offset:         4
        .size:           4
        .value_kind:     by_value
      - .address_space:  global
        .offset:         8
        .size:           8
        .value_kind:     global_buffer
      - .address_space:  global
        .offset:         16
        .size:           8
        .value_kind:     global_buffer
      - .address_space:  global
        .offset:         24
        .size:           8
        .value_kind:     global_buffer
      - .address_space:  global
        .offset:         32
        .size:           8
        .value_kind:     global_buffer
      - .offset:         40
        .size:           4
        .value_kind:     hidden_block_count_x
      - .offset:         44
        .size:           4
        .value_kind:     hidden_block_count_y
      - .offset:         48
        .size:           4
        .value_kind:     hidden_block_count_z
      - .offset:         52
        .size:           2
        .value_kind:     hidden_group_size_x
      - .offset:         54
        .size:           2
        .value_kind:     hidden_group_size_y
      - .offset:         56
        .size:           2
        .value_kind:     hidden_group_size_z
      - .offset:         58
        .size:           2
        .value_kind:     hidden_remainder_x
      - .offset:         60
        .size:           2
        .value_kind:     hidden_remainder_y
      - .offset:         62
        .size:           2
        .value_kind:     hidden_remainder_z
      - .offset:         80
        .size:           8
        .value_kind:     hidden_global_offset_x
      - .offset:         88
        .size:           8
        .value_kind:     hidden_global_offset_y
      - .offset:         96
        .size:           8
        .value_kind:     hidden_global_offset_z
      - .offset:         104
        .size:           2
        .value_kind:     hidden_grid_dims
      - .offset:         160
        .size:           4
        .value_kind:     hidden_dynamic_lds_size
    .group_segment_fixed_size: 0
    .kernarg_segment_align: 8
    .kernarg_segment_size: 296
    .language:       OpenCL C
    .language_version:
      - 2
      - 0
    .max_flat_workgroup_size: 1024
    .name:           _ZN9rocsolver6v33100L15syevj_calc_normIddEEviiPT0_PT_S3_Pi
    .private_segment_fixed_size: 0
    .sgpr_count:     24
    .sgpr_spill_count: 0
    .symbol:         _ZN9rocsolver6v33100L15syevj_calc_normIddEEviiPT0_PT_S3_Pi.kd
    .uniform_work_group_size: 1
    .uses_dynamic_stack: false
    .vgpr_count:     12
    .vgpr_spill_count: 0
    .wavefront_size: 32
    .workgroup_processor_mode: 1
  - .args:
      - .offset:         0
        .size:           4
        .value_kind:     by_value
      - .offset:         4
        .size:           4
        .value_kind:     by_value
      - .offset:         8
        .size:           4
        .value_kind:     by_value
      - .address_space:  global
        .offset:         16
        .size:           8
        .value_kind:     global_buffer
      - .offset:         24
        .size:           4
        .value_kind:     by_value
      - .offset:         28
        .size:           4
        .value_kind:     by_value
      - .offset:         32
        .size:           8
        .value_kind:     by_value
      - .address_space:  global
        .offset:         40
        .size:           8
        .value_kind:     global_buffer
      - .offset:         48
        .size:           4
        .value_kind:     by_value
      - .address_space:  global
        .offset:         56
        .size:           8
        .value_kind:     global_buffer
      - .address_space:  global
        .offset:         64
        .size:           8
        .value_kind:     global_buffer
      - .offset:         72
        .size:           8
        .value_kind:     by_value
      - .address_space:  global
        .offset:         80
        .size:           8
        .value_kind:     global_buffer
      - .address_space:  global
        .offset:         88
        .size:           8
        .value_kind:     global_buffer
      - .address_space:  global
        .offset:         96
        .size:           8
        .value_kind:     global_buffer
      - .offset:         104
        .size:           4
        .value_kind:     hidden_block_count_x
      - .offset:         108
        .size:           4
        .value_kind:     hidden_block_count_y
      - .offset:         112
        .size:           4
        .value_kind:     hidden_block_count_z
      - .offset:         116
        .size:           2
        .value_kind:     hidden_group_size_x
      - .offset:         118
        .size:           2
        .value_kind:     hidden_group_size_y
      - .offset:         120
        .size:           2
        .value_kind:     hidden_group_size_z
      - .offset:         122
        .size:           2
        .value_kind:     hidden_remainder_x
      - .offset:         124
        .size:           2
        .value_kind:     hidden_remainder_y
      - .offset:         126
        .size:           2
        .value_kind:     hidden_remainder_z
      - .offset:         144
        .size:           8
        .value_kind:     hidden_global_offset_x
      - .offset:         152
        .size:           8
        .value_kind:     hidden_global_offset_y
      - .offset:         160
        .size:           8
        .value_kind:     hidden_global_offset_z
      - .offset:         168
        .size:           2
        .value_kind:     hidden_grid_dims
    .group_segment_fixed_size: 0
    .kernarg_segment_align: 8
    .kernarg_segment_size: 360
    .language:       OpenCL C
    .language_version:
      - 2
      - 0
    .max_flat_workgroup_size: 1024
    .name:           _ZN9rocsolver6v33100L14syevj_finalizeIddPdEEv14rocblas_esort_14rocblas_evect_iT1_iilPT0_iPiS7_lS8_PT_S8_
    .private_segment_fixed_size: 0
    .sgpr_count:     30
    .sgpr_spill_count: 0
    .symbol:         _ZN9rocsolver6v33100L14syevj_finalizeIddPdEEv14rocblas_esort_14rocblas_evect_iT1_iilPT0_iPiS7_lS8_PT_S8_.kd
    .uniform_work_group_size: 1
    .uses_dynamic_stack: false
    .vgpr_count:     12
    .vgpr_spill_count: 0
    .wavefront_size: 32
    .workgroup_processor_mode: 1
  - .args:
      - .offset:         0
        .size:           4
        .value_kind:     by_value
      - .offset:         4
        .size:           4
        .value_kind:     by_value
      - .address_space:  global
        .offset:         8
        .size:           8
        .value_kind:     global_buffer
      - .offset:         16
        .size:           8
        .value_kind:     by_value
      - .offset:         24
        .size:           4
        .value_kind:     by_value
      - .offset:         32
        .size:           8
        .value_kind:     by_value
      - .address_space:  global
        .offset:         40
        .size:           8
        .value_kind:     global_buffer
      - .offset:         48
        .size:           8
        .value_kind:     by_value
      - .address_space:  global
        .offset:         56
        .size:           8
        .value_kind:     global_buffer
      - .offset:         64
        .size:           8
        .value_kind:     by_value
    .group_segment_fixed_size: 0
    .kernarg_segment_align: 8
    .kernarg_segment_size: 72
    .language:       OpenCL C
    .language_version:
      - 2
      - 0
    .max_flat_workgroup_size: 256
    .name:           _ZN9rocsolver6v33100L18geqr2_kernel_smallILi256EdidPdEEvT1_S3_T3_lS3_lPT2_lPT0_l
    .private_segment_fixed_size: 0
    .sgpr_count:     42
    .sgpr_spill_count: 0
    .symbol:         _ZN9rocsolver6v33100L18geqr2_kernel_smallILi256EdidPdEEvT1_S3_T3_lS3_lPT2_lPT0_l.kd
    .uniform_work_group_size: 1
    .uses_dynamic_stack: false
    .vgpr_count:     36
    .vgpr_spill_count: 0
    .wavefront_size: 32
    .workgroup_processor_mode: 1
  - .args:
      - .address_space:  global
        .offset:         0
        .size:           8
        .value_kind:     global_buffer
      - .offset:         8
        .size:           8
        .value_kind:     by_value
      - .offset:         16
        .size:           4
        .value_kind:     by_value
      - .offset:         20
        .size:           4
        .value_kind:     by_value
      - .offset:         24
        .size:           4
        .value_kind:     hidden_block_count_x
      - .offset:         28
        .size:           4
        .value_kind:     hidden_block_count_y
      - .offset:         32
        .size:           4
        .value_kind:     hidden_block_count_z
      - .offset:         36
        .size:           2
        .value_kind:     hidden_group_size_x
      - .offset:         38
        .size:           2
        .value_kind:     hidden_group_size_y
      - .offset:         40
        .size:           2
        .value_kind:     hidden_group_size_z
      - .offset:         42
        .size:           2
        .value_kind:     hidden_remainder_x
      - .offset:         44
        .size:           2
        .value_kind:     hidden_remainder_y
      - .offset:         46
        .size:           2
        .value_kind:     hidden_remainder_z
      - .offset:         64
        .size:           8
        .value_kind:     hidden_global_offset_x
      - .offset:         72
        .size:           8
        .value_kind:     hidden_global_offset_y
      - .offset:         80
        .size:           8
        .value_kind:     hidden_global_offset_z
      - .offset:         88
        .size:           2
        .value_kind:     hidden_grid_dims
    .group_segment_fixed_size: 0
    .kernarg_segment_align: 8
    .kernarg_segment_size: 280
    .language:       OpenCL C
    .language_version:
      - 2
      - 0
    .max_flat_workgroup_size: 1024
    .name:           _ZN9rocsolver6v33100L16reset_batch_infoIdiiPdEEvT2_lT0_T1_
    .private_segment_fixed_size: 0
    .sgpr_count:     18
    .sgpr_spill_count: 0
    .symbol:         _ZN9rocsolver6v33100L16reset_batch_infoIdiiPdEEvT2_lT0_T1_.kd
    .uniform_work_group_size: 1
    .uses_dynamic_stack: false
    .vgpr_count:     5
    .vgpr_spill_count: 0
    .wavefront_size: 32
    .workgroup_processor_mode: 1
  - .args:
      - .address_space:  global
        .offset:         0
        .size:           8
        .value_kind:     global_buffer
      - .offset:         8
        .size:           8
        .value_kind:     by_value
      - .offset:         16
        .size:           8
        .value_kind:     by_value
      - .address_space:  global
        .offset:         24
        .size:           8
        .value_kind:     global_buffer
      - .offset:         32
        .size:           8
        .value_kind:     by_value
      - .offset:         40
        .size:           4
        .value_kind:     by_value
      - .offset:         48
        .size:           8
        .value_kind:     by_value
      - .offset:         56
        .size:           4
        .value_kind:     by_value
      - .offset:         60
        .size:           1
        .value_kind:     by_value
      - .offset:         64
        .size:           4
        .value_kind:     hidden_block_count_x
      - .offset:         68
        .size:           4
        .value_kind:     hidden_block_count_y
      - .offset:         72
        .size:           4
        .value_kind:     hidden_block_count_z
      - .offset:         76
        .size:           2
        .value_kind:     hidden_group_size_x
      - .offset:         78
        .size:           2
        .value_kind:     hidden_group_size_y
      - .offset:         80
        .size:           2
        .value_kind:     hidden_group_size_z
      - .offset:         82
        .size:           2
        .value_kind:     hidden_remainder_x
      - .offset:         84
        .size:           2
        .value_kind:     hidden_remainder_y
      - .offset:         86
        .size:           2
        .value_kind:     hidden_remainder_z
      - .offset:         104
        .size:           8
        .value_kind:     hidden_global_offset_x
      - .offset:         112
        .size:           8
        .value_kind:     hidden_global_offset_y
      - .offset:         120
        .size:           8
        .value_kind:     hidden_global_offset_z
      - .offset:         128
        .size:           2
        .value_kind:     hidden_grid_dims
    .group_segment_fixed_size: 0
    .kernarg_segment_align: 8
    .kernarg_segment_size: 320
    .language:       OpenCL C
    .language_version:
      - 2
      - 0
    .max_flat_workgroup_size: 1024
    .name:           _ZN9rocsolver6v33100L8set_diagIdidPdTnNSt9enable_ifIXoont18rocblas_is_complexIT_E18rocblas_is_complexIT1_EEiE4typeELi0EEEvPS5_llT2_lT0_lSA_b
    .private_segment_fixed_size: 0
    .sgpr_count:     19
    .sgpr_spill_count: 0
    .symbol:         _ZN9rocsolver6v33100L8set_diagIdidPdTnNSt9enable_ifIXoont18rocblas_is_complexIT_E18rocblas_is_complexIT1_EEiE4typeELi0EEEvPS5_llT2_lT0_lSA_b.kd
    .uniform_work_group_size: 1
    .uses_dynamic_stack: false
    .vgpr_count:     9
    .vgpr_spill_count: 0
    .wavefront_size: 32
    .workgroup_processor_mode: 1
  - .args:
      - .address_space:  global
        .offset:         0
        .size:           8
        .value_kind:     global_buffer
      - .offset:         8
        .size:           8
        .value_kind:     by_value
      - .address_space:  global
        .offset:         16
        .size:           8
        .value_kind:     global_buffer
      - .address_space:  global
        .offset:         24
        .size:           8
        .value_kind:     global_buffer
      - .offset:         32
        .size:           8
        .value_kind:     by_value
      - .offset:         40
        .size:           8
        .value_kind:     by_value
      - .address_space:  global
        .offset:         48
        .size:           8
        .value_kind:     global_buffer
      - .offset:         56
        .size:           8
        .value_kind:     by_value
      - .offset:         64
        .size:           8
        .value_kind:     by_value
    .group_segment_fixed_size: 0
    .kernarg_segment_align: 8
    .kernarg_segment_size: 72
    .language:       OpenCL C
    .language_version:
      - 2
      - 0
    .max_flat_workgroup_size: 1024
    .name:           _ZN9rocsolver6v33100L11set_taubetaIdidPdEEvPT_lS4_T2_llPT1_ll
    .private_segment_fixed_size: 0
    .sgpr_count:     24
    .sgpr_spill_count: 0
    .symbol:         _ZN9rocsolver6v33100L11set_taubetaIdidPdEEvPT_lS4_T2_llPT1_ll.kd
    .uniform_work_group_size: 1
    .uses_dynamic_stack: false
    .vgpr_count:     13
    .vgpr_spill_count: 0
    .wavefront_size: 32
    .workgroup_processor_mode: 1
  - .args:
      - .offset:         0
        .size:           4
        .value_kind:     by_value
      - .offset:         4
        .size:           4
        .value_kind:     by_value
      - .address_space:  global
        .offset:         8
        .size:           8
        .value_kind:     global_buffer
      - .offset:         16
        .size:           8
        .value_kind:     by_value
      - .offset:         24
        .size:           4
        .value_kind:     by_value
      - .offset:         32
        .size:           8
        .value_kind:     by_value
    .group_segment_fixed_size: 0
    .kernarg_segment_align: 8
    .kernarg_segment_size: 40
    .language:       OpenCL C
    .language_version:
      - 2
      - 0
    .max_flat_workgroup_size: 1024
    .name:           _ZN9rocsolver6v33100L13conj_in_placeIdiPdTnNSt9enable_ifIXnt18rocblas_is_complexIT_EEiE4typeELi0EEEvT0_S7_T1_lS7_l
    .private_segment_fixed_size: 0
    .sgpr_count:     0
    .sgpr_spill_count: 0
    .symbol:         _ZN9rocsolver6v33100L13conj_in_placeIdiPdTnNSt9enable_ifIXnt18rocblas_is_complexIT_EEiE4typeELi0EEEvT0_S7_T1_lS7_l.kd
    .uniform_work_group_size: 1
    .uses_dynamic_stack: false
    .vgpr_count:     0
    .vgpr_spill_count: 0
    .wavefront_size: 32
    .workgroup_processor_mode: 1
  - .args:
      - .offset:         0
        .size:           4
        .value_kind:     by_value
      - .offset:         4
        .size:           4
        .value_kind:     by_value
      - .address_space:  global
        .offset:         8
        .size:           8
        .value_kind:     global_buffer
      - .offset:         16
        .size:           8
        .value_kind:     by_value
      - .offset:         24
        .size:           4
        .value_kind:     by_value
      - .offset:         32
        .size:           8
        .value_kind:     by_value
      - .address_space:  global
        .offset:         40
        .size:           8
        .value_kind:     global_buffer
      - .offset:         48
        .size:           8
        .value_kind:     by_value
      - .address_space:  global
        .offset:         56
        .size:           8
        .value_kind:     global_buffer
      - .offset:         64
        .size:           8
        .value_kind:     by_value
      - .offset:         72
        .size:           4
        .value_kind:     by_value
      - .offset:         80
        .size:           8
        .value_kind:     by_value
    .group_segment_fixed_size: 0
    .kernarg_segment_align: 8
    .kernarg_segment_size: 88
    .language:       OpenCL C
    .language_version:
      - 2
      - 0
    .max_flat_workgroup_size: 1024
    .name:           _ZN9rocsolver6v33100L16larf_left_kernelILi1024EdiPdEEvT1_S3_T2_lS3_lPKT0_lS4_lS3_l
    .private_segment_fixed_size: 0
    .sgpr_count:     32
    .sgpr_spill_count: 0
    .symbol:         _ZN9rocsolver6v33100L16larf_left_kernelILi1024EdiPdEEvT1_S3_T2_lS3_lPKT0_lS4_lS3_l.kd
    .uniform_work_group_size: 1
    .uses_dynamic_stack: false
    .vgpr_count:     15
    .vgpr_spill_count: 0
    .wavefront_size: 32
    .workgroup_processor_mode: 1
  - .args:
      - .offset:         0
        .size:           4
        .value_kind:     by_value
      - .offset:         4
        .size:           4
        .value_kind:     by_value
      - .address_space:  global
        .offset:         8
        .size:           8
        .value_kind:     global_buffer
      - .offset:         16
        .size:           8
        .value_kind:     by_value
      - .offset:         24
        .size:           4
        .value_kind:     by_value
      - .offset:         32
        .size:           8
        .value_kind:     by_value
      - .address_space:  global
        .offset:         40
        .size:           8
        .value_kind:     global_buffer
      - .offset:         48
        .size:           8
        .value_kind:     by_value
      - .address_space:  global
        .offset:         56
        .size:           8
        .value_kind:     global_buffer
      - .offset:         64
        .size:           8
        .value_kind:     by_value
      - .offset:         72
        .size:           4
        .value_kind:     by_value
      - .offset:         80
        .size:           8
        .value_kind:     by_value
    .group_segment_fixed_size: 0
    .kernarg_segment_align: 8
    .kernarg_segment_size: 88
    .language:       OpenCL C
    .language_version:
      - 2
      - 0
    .max_flat_workgroup_size: 1024
    .name:           _ZN9rocsolver6v33100L17larf_right_kernelILi1024EdiPdEEvT1_S3_T2_lS3_lPKT0_lS4_lS3_l
    .private_segment_fixed_size: 0
    .sgpr_count:     36
    .sgpr_spill_count: 0
    .symbol:         _ZN9rocsolver6v33100L17larf_right_kernelILi1024EdiPdEEvT1_S3_T2_lS3_lPKT0_lS4_lS3_l.kd
    .uniform_work_group_size: 1
    .uses_dynamic_stack: false
    .vgpr_count:     15
    .vgpr_spill_count: 0
    .wavefront_size: 32
    .workgroup_processor_mode: 1
  - .args:
      - .address_space:  global
        .offset:         0
        .size:           8
        .value_kind:     global_buffer
      - .offset:         8
        .size:           8
        .value_kind:     by_value
      - .offset:         16
        .size:           8
        .value_kind:     by_value
      - .address_space:  global
        .offset:         24
        .size:           8
        .value_kind:     global_buffer
      - .offset:         32
        .size:           8
        .value_kind:     by_value
      - .offset:         40
        .size:           4
        .value_kind:     by_value
      - .offset:         48
        .size:           8
        .value_kind:     by_value
      - .offset:         56
        .size:           4
        .value_kind:     by_value
      - .offset:         64
        .size:           4
        .value_kind:     hidden_block_count_x
      - .offset:         68
        .size:           4
        .value_kind:     hidden_block_count_y
      - .offset:         72
        .size:           4
        .value_kind:     hidden_block_count_z
      - .offset:         76
        .size:           2
        .value_kind:     hidden_group_size_x
      - .offset:         78
        .size:           2
        .value_kind:     hidden_group_size_y
      - .offset:         80
        .size:           2
        .value_kind:     hidden_group_size_z
      - .offset:         82
        .size:           2
        .value_kind:     hidden_remainder_x
      - .offset:         84
        .size:           2
        .value_kind:     hidden_remainder_y
      - .offset:         86
        .size:           2
        .value_kind:     hidden_remainder_z
      - .offset:         104
        .size:           8
        .value_kind:     hidden_global_offset_x
      - .offset:         112
        .size:           8
        .value_kind:     hidden_global_offset_y
      - .offset:         120
        .size:           8
        .value_kind:     hidden_global_offset_z
      - .offset:         128
        .size:           2
        .value_kind:     hidden_grid_dims
    .group_segment_fixed_size: 0
    .kernarg_segment_align: 8
    .kernarg_segment_size: 320
    .language:       OpenCL C
    .language_version:
      - 2
      - 0
    .max_flat_workgroup_size: 1024
    .name:           _ZN9rocsolver6v33100L12restore_diagIdidPdEEvPT1_llT2_lT0_lS6_
    .private_segment_fixed_size: 0
    .sgpr_count:     19
    .sgpr_spill_count: 0
    .symbol:         _ZN9rocsolver6v33100L12restore_diagIdidPdEEvPT1_llT2_lT0_lS6_.kd
    .uniform_work_group_size: 1
    .uses_dynamic_stack: false
    .vgpr_count:     4
    .vgpr_spill_count: 0
    .wavefront_size: 32
    .workgroup_processor_mode: 1
  - .args:
      - .offset:         0
        .size:           4
        .value_kind:     by_value
      - .offset:         4
        .size:           4
        .value_kind:     by_value
      - .address_space:  global
        .offset:         8
        .size:           8
        .value_kind:     global_buffer
      - .offset:         16
        .size:           4
        .value_kind:     by_value
      - .offset:         20
        .size:           4
        .value_kind:     by_value
      - .offset:         24
        .size:           8
        .value_kind:     by_value
      - .address_space:  global
        .offset:         32
        .size:           8
        .value_kind:     global_buffer
      - .offset:         40
        .size:           8
        .value_kind:     by_value
      - .address_space:  global
        .offset:         48
        .size:           8
        .value_kind:     global_buffer
      - .offset:         56
        .size:           4
        .value_kind:     by_value
      - .offset:         64
        .size:           8
        .value_kind:     by_value
      - .offset:         72
        .size:           4
        .value_kind:     by_value
      - .offset:         76
        .size:           4
        .value_kind:     by_value
      - .offset:         80
        .size:           1
        .value_kind:     by_value
      - .offset:         88
        .size:           4
        .value_kind:     hidden_block_count_x
      - .offset:         92
        .size:           4
        .value_kind:     hidden_block_count_y
      - .offset:         96
        .size:           4
        .value_kind:     hidden_block_count_z
      - .offset:         100
        .size:           2
        .value_kind:     hidden_group_size_x
      - .offset:         102
        .size:           2
        .value_kind:     hidden_group_size_y
      - .offset:         104
        .size:           2
        .value_kind:     hidden_group_size_z
      - .offset:         106
        .size:           2
        .value_kind:     hidden_remainder_x
      - .offset:         108
        .size:           2
        .value_kind:     hidden_remainder_y
      - .offset:         110
        .size:           2
        .value_kind:     hidden_remainder_z
      - .offset:         128
        .size:           8
        .value_kind:     hidden_global_offset_x
      - .offset:         136
        .size:           8
        .value_kind:     hidden_global_offset_y
      - .offset:         144
        .size:           8
        .value_kind:     hidden_global_offset_z
      - .offset:         152
        .size:           2
        .value_kind:     hidden_grid_dims
    .group_segment_fixed_size: 0
    .kernarg_segment_align: 8
    .kernarg_segment_size: 344
    .language:       OpenCL C
    .language_version:
      - 2
      - 0
    .max_flat_workgroup_size: 1024
    .name:           _ZN9rocsolver6v33100L14set_triangularIdPdTnNSt9enable_ifIXnt18rocblas_is_complexIT_EEiE4typeELi0EEEviiT0_iilPS4_lS8_il15rocblas_direct_15rocblas_storev_b
    .private_segment_fixed_size: 0
    .sgpr_count:     24
    .sgpr_spill_count: 0
    .symbol:         _ZN9rocsolver6v33100L14set_triangularIdPdTnNSt9enable_ifIXnt18rocblas_is_complexIT_EEiE4typeELi0EEEviiT0_iilPS4_lS8_il15rocblas_direct_15rocblas_storev_b.kd
    .uniform_work_group_size: 1
    .uses_dynamic_stack: false
    .vgpr_count:     15
    .vgpr_spill_count: 0
    .wavefront_size: 32
    .workgroup_processor_mode: 1
  - .args:
      - .offset:         0
        .size:           4
        .value_kind:     by_value
      - .address_space:  global
        .offset:         8
        .size:           8
        .value_kind:     global_buffer
      - .offset:         16
        .size:           8
        .value_kind:     by_value
      - .offset:         24
        .size:           4
        .value_kind:     hidden_block_count_x
      - .offset:         28
        .size:           4
        .value_kind:     hidden_block_count_y
      - .offset:         32
        .size:           4
        .value_kind:     hidden_block_count_z
      - .offset:         36
        .size:           2
        .value_kind:     hidden_group_size_x
      - .offset:         38
        .size:           2
        .value_kind:     hidden_group_size_y
      - .offset:         40
        .size:           2
        .value_kind:     hidden_group_size_z
      - .offset:         42
        .size:           2
        .value_kind:     hidden_remainder_x
      - .offset:         44
        .size:           2
        .value_kind:     hidden_remainder_y
      - .offset:         46
        .size:           2
        .value_kind:     hidden_remainder_z
      - .offset:         64
        .size:           8
        .value_kind:     hidden_global_offset_x
      - .offset:         72
        .size:           8
        .value_kind:     hidden_global_offset_y
      - .offset:         80
        .size:           8
        .value_kind:     hidden_global_offset_z
      - .offset:         88
        .size:           2
        .value_kind:     hidden_grid_dims
    .group_segment_fixed_size: 0
    .kernarg_segment_align: 8
    .kernarg_segment_size: 280
    .language:       OpenCL C
    .language_version:
      - 2
      - 0
    .max_flat_workgroup_size: 1024
    .name:           _ZN9rocsolver6v33100L7set_tauIdEEviPT_l
    .private_segment_fixed_size: 0
    .sgpr_count:     18
    .sgpr_spill_count: 0
    .symbol:         _ZN9rocsolver6v33100L7set_tauIdEEviPT_l.kd
    .uniform_work_group_size: 1
    .uses_dynamic_stack: false
    .vgpr_count:     4
    .vgpr_spill_count: 0
    .wavefront_size: 32
    .workgroup_processor_mode: 1
  - .args:
      - .offset:         0
        .size:           4
        .value_kind:     by_value
      - .offset:         4
        .size:           4
        .value_kind:     by_value
      - .offset:         8
        .size:           4
        .value_kind:     by_value
      - .address_space:  global
        .offset:         16
        .size:           8
        .value_kind:     global_buffer
      - .offset:         24
        .size:           4
        .value_kind:     by_value
      - .offset:         28
        .size:           4
        .value_kind:     by_value
      - .offset:         32
        .size:           8
        .value_kind:     by_value
      - .address_space:  global
        .offset:         40
        .size:           8
        .value_kind:     global_buffer
      - .offset:         48
        .size:           8
        .value_kind:     by_value
      - .address_space:  global
        .offset:         56
        .size:           8
        .value_kind:     global_buffer
      - .offset:         64
        .size:           4
        .value_kind:     by_value
      - .offset:         72
        .size:           8
        .value_kind:     by_value
      - .offset:         80
        .size:           4
        .value_kind:     hidden_block_count_x
      - .offset:         84
        .size:           4
        .value_kind:     hidden_block_count_y
      - .offset:         88
        .size:           4
        .value_kind:     hidden_block_count_z
      - .offset:         92
        .size:           2
        .value_kind:     hidden_group_size_x
      - .offset:         94
        .size:           2
        .value_kind:     hidden_group_size_y
      - .offset:         96
        .size:           2
        .value_kind:     hidden_group_size_z
      - .offset:         98
        .size:           2
        .value_kind:     hidden_remainder_x
      - .offset:         100
        .size:           2
        .value_kind:     hidden_remainder_y
      - .offset:         102
        .size:           2
        .value_kind:     hidden_remainder_z
      - .offset:         120
        .size:           8
        .value_kind:     hidden_global_offset_x
      - .offset:         128
        .size:           8
        .value_kind:     hidden_global_offset_y
      - .offset:         136
        .size:           8
        .value_kind:     hidden_global_offset_z
      - .offset:         144
        .size:           2
        .value_kind:     hidden_grid_dims
      - .offset:         200
        .size:           4
        .value_kind:     hidden_dynamic_lds_size
    .group_segment_fixed_size: 0
    .kernarg_segment_align: 8
    .kernarg_segment_size: 336
    .language:       OpenCL C
    .language_version:
      - 2
      - 0
    .max_flat_workgroup_size: 1024
    .name:           _ZN9rocsolver6v33100L20larft_kernel_forwardIdPdEEv15rocblas_storev_iiT0_iilPT_lS6_il
    .private_segment_fixed_size: 0
    .sgpr_count:     46
    .sgpr_spill_count: 0
    .symbol:         _ZN9rocsolver6v33100L20larft_kernel_forwardIdPdEEv15rocblas_storev_iiT0_iilPT_lS6_il.kd
    .uniform_work_group_size: 1
    .uses_dynamic_stack: false
    .vgpr_count:     19
    .vgpr_spill_count: 0
    .wavefront_size: 32
    .workgroup_processor_mode: 1
  - .args:
      - .offset:         0
        .size:           4
        .value_kind:     by_value
      - .offset:         4
        .size:           4
        .value_kind:     by_value
      - .offset:         8
        .size:           4
        .value_kind:     by_value
      - .address_space:  global
        .offset:         16
        .size:           8
        .value_kind:     global_buffer
      - .offset:         24
        .size:           4
        .value_kind:     by_value
      - .offset:         28
        .size:           4
        .value_kind:     by_value
      - .offset:         32
        .size:           8
        .value_kind:     by_value
      - .address_space:  global
        .offset:         40
        .size:           8
        .value_kind:     global_buffer
      - .offset:         48
        .size:           8
        .value_kind:     by_value
      - .address_space:  global
        .offset:         56
        .size:           8
        .value_kind:     global_buffer
      - .offset:         64
        .size:           4
        .value_kind:     by_value
      - .offset:         72
        .size:           8
        .value_kind:     by_value
      - .offset:         80
        .size:           4
        .value_kind:     hidden_block_count_x
      - .offset:         84
        .size:           4
        .value_kind:     hidden_block_count_y
      - .offset:         88
        .size:           4
        .value_kind:     hidden_block_count_z
      - .offset:         92
        .size:           2
        .value_kind:     hidden_group_size_x
      - .offset:         94
        .size:           2
        .value_kind:     hidden_group_size_y
      - .offset:         96
        .size:           2
        .value_kind:     hidden_group_size_z
      - .offset:         98
        .size:           2
        .value_kind:     hidden_remainder_x
      - .offset:         100
        .size:           2
        .value_kind:     hidden_remainder_y
      - .offset:         102
        .size:           2
        .value_kind:     hidden_remainder_z
      - .offset:         120
        .size:           8
        .value_kind:     hidden_global_offset_x
      - .offset:         128
        .size:           8
        .value_kind:     hidden_global_offset_y
      - .offset:         136
        .size:           8
        .value_kind:     hidden_global_offset_z
      - .offset:         144
        .size:           2
        .value_kind:     hidden_grid_dims
      - .offset:         200
        .size:           4
        .value_kind:     hidden_dynamic_lds_size
    .group_segment_fixed_size: 0
    .kernarg_segment_align: 8
    .kernarg_segment_size: 336
    .language:       OpenCL C
    .language_version:
      - 2
      - 0
    .max_flat_workgroup_size: 1024
    .name:           _ZN9rocsolver6v33100L21larft_kernel_backwardIdPdEEv15rocblas_storev_iiT0_iilPT_lS6_il
    .private_segment_fixed_size: 0
    .sgpr_count:     48
    .sgpr_spill_count: 0
    .symbol:         _ZN9rocsolver6v33100L21larft_kernel_backwardIdPdEEv15rocblas_storev_iiT0_iilPT_lS6_il.kd
    .uniform_work_group_size: 1
    .uses_dynamic_stack: false
    .vgpr_count:     16
    .vgpr_spill_count: 0
    .wavefront_size: 32
    .workgroup_processor_mode: 1
  - .args:
      - .offset:         0
        .size:           4
        .value_kind:     by_value
      - .offset:         4
        .size:           4
        .value_kind:     by_value
      - .address_space:  global
        .offset:         8
        .size:           8
        .value_kind:     global_buffer
      - .offset:         16
        .size:           4
        .value_kind:     by_value
      - .offset:         20
        .size:           4
        .value_kind:     by_value
      - .offset:         24
        .size:           8
        .value_kind:     by_value
      - .address_space:  global
        .offset:         32
        .size:           8
        .value_kind:     global_buffer
      - .offset:         40
        .size:           4
        .value_kind:     hidden_block_count_x
      - .offset:         44
        .size:           4
        .value_kind:     hidden_block_count_y
      - .offset:         48
        .size:           4
        .value_kind:     hidden_block_count_z
      - .offset:         52
        .size:           2
        .value_kind:     hidden_group_size_x
      - .offset:         54
        .size:           2
        .value_kind:     hidden_group_size_y
      - .offset:         56
        .size:           2
        .value_kind:     hidden_group_size_z
      - .offset:         58
        .size:           2
        .value_kind:     hidden_remainder_x
      - .offset:         60
        .size:           2
        .value_kind:     hidden_remainder_y
      - .offset:         62
        .size:           2
        .value_kind:     hidden_remainder_z
      - .offset:         80
        .size:           8
        .value_kind:     hidden_global_offset_x
      - .offset:         88
        .size:           8
        .value_kind:     hidden_global_offset_y
      - .offset:         96
        .size:           8
        .value_kind:     hidden_global_offset_z
      - .offset:         104
        .size:           2
        .value_kind:     hidden_grid_dims
    .group_segment_fixed_size: 0
    .kernarg_segment_align: 8
    .kernarg_segment_size: 296
    .language:       OpenCL C
    .language_version:
      - 2
      - 0
    .max_flat_workgroup_size: 1024
    .name:           _ZN9rocsolver6v33100L9copymatA1IdPdEEviiT0_iilPT_
    .private_segment_fixed_size: 0
    .sgpr_count:     18
    .sgpr_spill_count: 0
    .symbol:         _ZN9rocsolver6v33100L9copymatA1IdPdEEviiT0_iilPT_.kd
    .uniform_work_group_size: 1
    .uses_dynamic_stack: false
    .vgpr_count:     8
    .vgpr_spill_count: 0
    .wavefront_size: 32
    .workgroup_processor_mode: 1
  - .args:
      - .offset:         0
        .size:           4
        .value_kind:     by_value
      - .offset:         4
        .size:           4
        .value_kind:     by_value
      - .address_space:  global
        .offset:         8
        .size:           8
        .value_kind:     global_buffer
      - .offset:         16
        .size:           4
        .value_kind:     by_value
      - .offset:         20
        .size:           4
        .value_kind:     by_value
      - .offset:         24
        .size:           8
        .value_kind:     by_value
      - .address_space:  global
        .offset:         32
        .size:           8
        .value_kind:     global_buffer
      - .offset:         40
        .size:           4
        .value_kind:     hidden_block_count_x
      - .offset:         44
        .size:           4
        .value_kind:     hidden_block_count_y
      - .offset:         48
        .size:           4
        .value_kind:     hidden_block_count_z
      - .offset:         52
        .size:           2
        .value_kind:     hidden_group_size_x
      - .offset:         54
        .size:           2
        .value_kind:     hidden_group_size_y
      - .offset:         56
        .size:           2
        .value_kind:     hidden_group_size_z
      - .offset:         58
        .size:           2
        .value_kind:     hidden_remainder_x
      - .offset:         60
        .size:           2
        .value_kind:     hidden_remainder_y
      - .offset:         62
        .size:           2
        .value_kind:     hidden_remainder_z
      - .offset:         80
        .size:           8
        .value_kind:     hidden_global_offset_x
      - .offset:         88
        .size:           8
        .value_kind:     hidden_global_offset_y
      - .offset:         96
        .size:           8
        .value_kind:     hidden_global_offset_z
      - .offset:         104
        .size:           2
        .value_kind:     hidden_grid_dims
    .group_segment_fixed_size: 0
    .kernarg_segment_align: 8
    .kernarg_segment_size: 296
    .language:       OpenCL C
    .language_version:
      - 2
      - 0
    .max_flat_workgroup_size: 1024
    .name:           _ZN9rocsolver6v33100L8addmatA1IdPdEEviiT0_iilPT_
    .private_segment_fixed_size: 0
    .sgpr_count:     18
    .sgpr_spill_count: 0
    .symbol:         _ZN9rocsolver6v33100L8addmatA1IdPdEEviiT0_iilPT_.kd
    .uniform_work_group_size: 1
    .uses_dynamic_stack: false
    .vgpr_count:     6
    .vgpr_spill_count: 0
    .wavefront_size: 32
    .workgroup_processor_mode: 1
  - .args:
      - .offset:         0
        .size:           4
        .value_kind:     by_value
      - .address_space:  global
        .offset:         8
        .size:           8
        .value_kind:     global_buffer
      - .offset:         16
        .size:           8
        .value_kind:     by_value
      - .address_space:  global
        .offset:         24
        .size:           8
        .value_kind:     global_buffer
      - .offset:         32
        .size:           4
        .value_kind:     by_value
      - .offset:         40
        .size:           8
        .value_kind:     by_value
      - .address_space:  global
        .offset:         48
        .size:           8
        .value_kind:     global_buffer
      - .offset:         56
        .size:           4
        .value_kind:     by_value
      - .offset:         64
        .size:           8
        .value_kind:     by_value
      - .offset:         72
        .size:           4
        .value_kind:     hidden_block_count_x
      - .offset:         76
        .size:           4
        .value_kind:     hidden_block_count_y
      - .offset:         80
        .size:           4
        .value_kind:     hidden_block_count_z
      - .offset:         84
        .size:           2
        .value_kind:     hidden_group_size_x
      - .offset:         86
        .size:           2
        .value_kind:     hidden_group_size_y
      - .offset:         88
        .size:           2
        .value_kind:     hidden_group_size_z
      - .offset:         90
        .size:           2
        .value_kind:     hidden_remainder_x
      - .offset:         92
        .size:           2
        .value_kind:     hidden_remainder_y
      - .offset:         94
        .size:           2
        .value_kind:     hidden_remainder_z
      - .offset:         112
        .size:           8
        .value_kind:     hidden_global_offset_x
      - .offset:         120
        .size:           8
        .value_kind:     hidden_global_offset_y
      - .offset:         128
        .size:           8
        .value_kind:     hidden_global_offset_z
      - .offset:         136
        .size:           2
        .value_kind:     hidden_grid_dims
    .group_segment_fixed_size: 0
    .kernarg_segment_align: 8
    .kernarg_segment_size: 328
    .language:       OpenCL C
    .language_version:
      - 2
      - 0
    .max_flat_workgroup_size: 1024
    .name:           _ZN9rocsolver6v33100L15gesvdj_finalizeIddEEviPT0_lPT_ilS5_il
    .private_segment_fixed_size: 0
    .sgpr_count:     24
    .sgpr_spill_count: 0
    .symbol:         _ZN9rocsolver6v33100L15gesvdj_finalizeIddEEviPT0_lPT_ilS5_il.kd
    .uniform_work_group_size: 1
    .uses_dynamic_stack: false
    .vgpr_count:     6
    .vgpr_spill_count: 0
    .wavefront_size: 32
    .workgroup_processor_mode: 1
  - .args:
      - .offset:         0
        .size:           4
        .value_kind:     by_value
      - .offset:         4
        .size:           4
        .value_kind:     by_value
      - .offset:         8
        .size:           4
        .value_kind:     by_value
      - .address_space:  global
        .offset:         16
        .size:           8
        .value_kind:     global_buffer
      - .offset:         24
        .size:           4
        .value_kind:     by_value
      - .offset:         28
        .size:           4
        .value_kind:     by_value
      - .offset:         32
        .size:           8
        .value_kind:     by_value
      - .offset:         40
        .size:           4
        .value_kind:     hidden_block_count_x
      - .offset:         44
        .size:           4
        .value_kind:     hidden_block_count_y
      - .offset:         48
        .size:           4
        .value_kind:     hidden_block_count_z
      - .offset:         52
        .size:           2
        .value_kind:     hidden_group_size_x
      - .offset:         54
        .size:           2
        .value_kind:     hidden_group_size_y
      - .offset:         56
        .size:           2
        .value_kind:     hidden_group_size_z
      - .offset:         58
        .size:           2
        .value_kind:     hidden_remainder_x
      - .offset:         60
        .size:           2
        .value_kind:     hidden_remainder_y
      - .offset:         62
        .size:           2
        .value_kind:     hidden_remainder_z
      - .offset:         80
        .size:           8
        .value_kind:     hidden_global_offset_x
      - .offset:         88
        .size:           8
        .value_kind:     hidden_global_offset_y
      - .offset:         96
        .size:           8
        .value_kind:     hidden_global_offset_z
      - .offset:         104
        .size:           2
        .value_kind:     hidden_grid_dims
    .group_segment_fixed_size: 0
    .kernarg_segment_align: 8
    .kernarg_segment_size: 296
    .language:       OpenCL C
    .language_version:
      - 2
      - 0
    .max_flat_workgroup_size: 1024
    .name:           _ZN9rocsolver6v33100L16org2r_init_identIdPdEEviiiT0_iil
    .private_segment_fixed_size: 0
    .sgpr_count:     18
    .sgpr_spill_count: 0
    .symbol:         _ZN9rocsolver6v33100L16org2r_init_identIdPdEEviiiT0_iil.kd
    .uniform_work_group_size: 1
    .uses_dynamic_stack: false
    .vgpr_count:     8
    .vgpr_spill_count: 0
    .wavefront_size: 32
    .workgroup_processor_mode: 1
  - .args:
      - .offset:         0
        .size:           4
        .value_kind:     by_value
      - .offset:         4
        .size:           4
        .value_kind:     by_value
      - .address_space:  global
        .offset:         8
        .size:           8
        .value_kind:     global_buffer
      - .offset:         16
        .size:           4
        .value_kind:     by_value
      - .offset:         20
        .size:           4
        .value_kind:     by_value
      - .offset:         24
        .size:           8
        .value_kind:     by_value
      - .address_space:  global
        .offset:         32
        .size:           8
        .value_kind:     global_buffer
      - .offset:         40
        .size:           8
        .value_kind:     by_value
    .group_segment_fixed_size: 0
    .kernarg_segment_align: 8
    .kernarg_segment_size: 48
    .language:       OpenCL C
    .language_version:
      - 2
      - 0
    .max_flat_workgroup_size: 1024
    .name:           _ZN9rocsolver6v33100L12subtract_tauIdPdEEviiT0_iilPT_l
    .private_segment_fixed_size: 0
    .sgpr_count:     16
    .sgpr_spill_count: 0
    .symbol:         _ZN9rocsolver6v33100L12subtract_tauIdPdEEviiT0_iilPT_l.kd
    .uniform_work_group_size: 1
    .uses_dynamic_stack: false
    .vgpr_count:     5
    .vgpr_spill_count: 0
    .wavefront_size: 32
    .workgroup_processor_mode: 1
  - .args:
      - .offset:         0
        .size:           4
        .value_kind:     by_value
      - .address_space:  global
        .offset:         8
        .size:           8
        .value_kind:     global_buffer
      - .offset:         16
        .size:           8
        .value_kind:     by_value
      - .offset:         24
        .size:           4
        .value_kind:     hidden_block_count_x
      - .offset:         28
        .size:           4
        .value_kind:     hidden_block_count_y
      - .offset:         32
        .size:           4
        .value_kind:     hidden_block_count_z
      - .offset:         36
        .size:           2
        .value_kind:     hidden_group_size_x
      - .offset:         38
        .size:           2
        .value_kind:     hidden_group_size_y
      - .offset:         40
        .size:           2
        .value_kind:     hidden_group_size_z
      - .offset:         42
        .size:           2
        .value_kind:     hidden_remainder_x
      - .offset:         44
        .size:           2
        .value_kind:     hidden_remainder_y
      - .offset:         46
        .size:           2
        .value_kind:     hidden_remainder_z
      - .offset:         64
        .size:           8
        .value_kind:     hidden_global_offset_x
      - .offset:         72
        .size:           8
        .value_kind:     hidden_global_offset_y
      - .offset:         80
        .size:           8
        .value_kind:     hidden_global_offset_z
      - .offset:         88
        .size:           2
        .value_kind:     hidden_grid_dims
    .group_segment_fixed_size: 0
    .kernarg_segment_align: 8
    .kernarg_segment_size: 280
    .language:       OpenCL C
    .language_version:
      - 2
      - 0
    .max_flat_workgroup_size: 1024
    .name:           _ZN9rocsolver6v33100L6restauIdEEviPT_l
    .private_segment_fixed_size: 0
    .sgpr_count:     18
    .sgpr_spill_count: 0
    .symbol:         _ZN9rocsolver6v33100L6restauIdEEviPT_l.kd
    .uniform_work_group_size: 1
    .uses_dynamic_stack: false
    .vgpr_count:     4
    .vgpr_spill_count: 0
    .wavefront_size: 32
    .workgroup_processor_mode: 1
  - .args:
      - .offset:         0
        .size:           4
        .value_kind:     by_value
      - .offset:         4
        .size:           4
        .value_kind:     by_value
      - .address_space:  global
        .offset:         8
        .size:           8
        .value_kind:     global_buffer
      - .offset:         16
        .size:           4
        .value_kind:     by_value
      - .offset:         20
        .size:           4
        .value_kind:     by_value
      - .offset:         24
        .size:           8
        .value_kind:     by_value
      - .offset:         32
        .size:           4
        .value_kind:     by_value
      - .offset:         40
        .size:           4
        .value_kind:     hidden_block_count_x
      - .offset:         44
        .size:           4
        .value_kind:     hidden_block_count_y
      - .offset:         48
        .size:           4
        .value_kind:     hidden_block_count_z
      - .offset:         52
        .size:           2
        .value_kind:     hidden_group_size_x
      - .offset:         54
        .size:           2
        .value_kind:     hidden_group_size_y
      - .offset:         56
        .size:           2
        .value_kind:     hidden_group_size_z
      - .offset:         58
        .size:           2
        .value_kind:     hidden_remainder_x
      - .offset:         60
        .size:           2
        .value_kind:     hidden_remainder_y
      - .offset:         62
        .size:           2
        .value_kind:     hidden_remainder_z
      - .offset:         80
        .size:           8
        .value_kind:     hidden_global_offset_x
      - .offset:         88
        .size:           8
        .value_kind:     hidden_global_offset_y
      - .offset:         96
        .size:           8
        .value_kind:     hidden_global_offset_z
      - .offset:         104
        .size:           2
        .value_kind:     hidden_grid_dims
    .group_segment_fixed_size: 0
    .kernarg_segment_align: 8
    .kernarg_segment_size: 296
    .language:       OpenCL C
    .language_version:
      - 2
      - 0
    .max_flat_workgroup_size: 1024
    .name:           _ZN9rocsolver6v33100L8set_zeroIdPdEEviiT0_iil13rocblas_fill_
    .private_segment_fixed_size: 0
    .sgpr_count:     18
    .sgpr_spill_count: 0
    .symbol:         _ZN9rocsolver6v33100L8set_zeroIdPdEEviiT0_iil13rocblas_fill_.kd
    .uniform_work_group_size: 1
    .uses_dynamic_stack: false
    .vgpr_count:     5
    .vgpr_spill_count: 0
    .wavefront_size: 32
    .workgroup_processor_mode: 1
  - .args:
      - .address_space:  global
        .offset:         0
        .size:           8
        .value_kind:     global_buffer
      - .offset:         8
        .size:           4
        .value_kind:     by_value
      - .offset:         12
        .size:           8
        .value_kind:     by_value
    .group_segment_fixed_size: 0
    .kernarg_segment_align: 8
    .kernarg_segment_size: 20
    .language:       OpenCL C
    .language_version:
      - 2
      - 0
    .max_flat_workgroup_size: 32
    .name:           _ZN9rocsolver6v33100L6iota_nI19rocblas_complex_numIfEEEvPT_jS4_
    .private_segment_fixed_size: 0
    .sgpr_count:     6
    .sgpr_spill_count: 0
    .symbol:         _ZN9rocsolver6v33100L6iota_nI19rocblas_complex_numIfEEEvPT_jS4_.kd
    .uniform_work_group_size: 1
    .uses_dynamic_stack: false
    .vgpr_count:     3
    .vgpr_spill_count: 0
    .wavefront_size: 32
    .workgroup_processor_mode: 1
  - .args:
      - .offset:         0
        .size:           4
        .value_kind:     by_value
      - .address_space:  global
        .offset:         8
        .size:           8
        .value_kind:     global_buffer
      - .offset:         16
        .size:           8
        .value_kind:     by_value
      - .address_space:  global
        .offset:         24
        .size:           8
        .value_kind:     global_buffer
      - .offset:         32
        .size:           8
        .value_kind:     by_value
      - .offset:         40
        .size:           4
        .value_kind:     by_value
      - .offset:         48
        .size:           4
        .value_kind:     hidden_block_count_x
      - .offset:         52
        .size:           4
        .value_kind:     hidden_block_count_y
      - .offset:         56
        .size:           4
        .value_kind:     hidden_block_count_z
      - .offset:         60
        .size:           2
        .value_kind:     hidden_group_size_x
      - .offset:         62
        .size:           2
        .value_kind:     hidden_group_size_y
      - .offset:         64
        .size:           2
        .value_kind:     hidden_group_size_z
      - .offset:         66
        .size:           2
        .value_kind:     hidden_remainder_x
      - .offset:         68
        .size:           2
        .value_kind:     hidden_remainder_y
      - .offset:         70
        .size:           2
        .value_kind:     hidden_remainder_z
      - .offset:         88
        .size:           8
        .value_kind:     hidden_global_offset_x
      - .offset:         96
        .size:           8
        .value_kind:     hidden_global_offset_y
      - .offset:         104
        .size:           8
        .value_kind:     hidden_global_offset_z
      - .offset:         112
        .size:           2
        .value_kind:     hidden_grid_dims
    .group_segment_fixed_size: 0
    .kernarg_segment_align: 8
    .kernarg_segment_size: 304
    .language:       OpenCL C
    .language_version:
      - 2
      - 0
    .max_flat_workgroup_size: 1024
    .name:           _ZN9rocsolver6v33100L16syev_scalar_caseI19rocblas_complex_numIfEfPS3_TnNSt9enable_ifIX18rocblas_is_complexIT_EEiE4typeELi0EEEv14rocblas_evect_T1_lPT0_li
    .private_segment_fixed_size: 0
    .sgpr_count:     18
    .sgpr_spill_count: 0
    .symbol:         _ZN9rocsolver6v33100L16syev_scalar_caseI19rocblas_complex_numIfEfPS3_TnNSt9enable_ifIX18rocblas_is_complexIT_EEiE4typeELi0EEEv14rocblas_evect_T1_lPT0_li.kd
    .uniform_work_group_size: 1
    .uses_dynamic_stack: false
    .vgpr_count:     8
    .vgpr_spill_count: 0
    .wavefront_size: 32
    .workgroup_processor_mode: 1
  - .args:
      - .offset:         0
        .size:           4
        .value_kind:     by_value
      - .offset:         4
        .size:           4
        .value_kind:     by_value
      - .offset:         8
        .size:           4
        .value_kind:     by_value
      - .offset:         12
        .size:           4
        .value_kind:     by_value
      - .address_space:  global
        .offset:         16
        .size:           8
        .value_kind:     global_buffer
      - .offset:         24
        .size:           4
        .value_kind:     by_value
      - .offset:         28
        .size:           4
        .value_kind:     by_value
      - .offset:         32
        .size:           8
        .value_kind:     by_value
      - .offset:         40
        .size:           4
        .value_kind:     by_value
      - .offset:         44
        .size:           4
        .value_kind:     by_value
      - .address_space:  global
        .offset:         48
        .size:           8
        .value_kind:     global_buffer
      - .offset:         56
        .size:           4
        .value_kind:     by_value
      - .address_space:  global
        .offset:         64
        .size:           8
        .value_kind:     global_buffer
      - .address_space:  global
        .offset:         72
        .size:           8
        .value_kind:     global_buffer
      - .offset:         80
        .size:           8
        .value_kind:     by_value
      - .address_space:  global
        .offset:         88
        .size:           8
        .value_kind:     global_buffer
      - .address_space:  global
        .offset:         96
        .size:           8
        .value_kind:     global_buffer
    .group_segment_fixed_size: 0
    .kernarg_segment_align: 8
    .kernarg_segment_size: 104
    .language:       OpenCL C
    .language_version:
      - 2
      - 0
    .max_flat_workgroup_size: 1024
    .name:           _ZN9rocsolver6v33100L18syevj_small_kernelI19rocblas_complex_numIfEfPS3_EEv14rocblas_esort_14rocblas_evect_13rocblas_fill_iT1_iilT0_S9_PS9_iPiSA_lSB_PT_
    .private_segment_fixed_size: 0
    .sgpr_count:     67
    .sgpr_spill_count: 0
    .symbol:         _ZN9rocsolver6v33100L18syevj_small_kernelI19rocblas_complex_numIfEfPS3_EEv14rocblas_esort_14rocblas_evect_13rocblas_fill_iT1_iilT0_S9_PS9_iPiSA_lSB_PT_.kd
    .uniform_work_group_size: 1
    .uses_dynamic_stack: false
    .vgpr_count:     39
    .vgpr_spill_count: 0
    .wavefront_size: 32
    .workgroup_processor_mode: 1
  - .args:
      - .offset:         0
        .size:           4
        .value_kind:     by_value
      - .offset:         4
        .size:           4
        .value_kind:     by_value
      - .offset:         8
        .size:           4
        .value_kind:     by_value
      - .offset:         12
        .size:           4
        .value_kind:     by_value
      - .address_space:  global
        .offset:         16
        .size:           8
        .value_kind:     global_buffer
      - .offset:         24
        .size:           4
        .value_kind:     by_value
      - .offset:         28
        .size:           4
        .value_kind:     by_value
      - .offset:         32
        .size:           8
        .value_kind:     by_value
      - .offset:         40
        .size:           4
        .value_kind:     by_value
      - .address_space:  global
        .offset:         48
        .size:           8
        .value_kind:     global_buffer
      - .address_space:  global
        .offset:         56
        .size:           8
        .value_kind:     global_buffer
      - .address_space:  global
        .offset:         64
        .size:           8
        .value_kind:     global_buffer
      - .address_space:  global
        .offset:         72
        .size:           8
        .value_kind:     global_buffer
      - .address_space:  global
        .offset:         80
        .size:           8
        .value_kind:     global_buffer
      - .address_space:  global
        .offset:         88
        .size:           8
        .value_kind:     global_buffer
      - .offset:         96
        .size:           4
        .value_kind:     hidden_block_count_x
      - .offset:         100
        .size:           4
        .value_kind:     hidden_block_count_y
      - .offset:         104
        .size:           4
        .value_kind:     hidden_block_count_z
      - .offset:         108
        .size:           2
        .value_kind:     hidden_group_size_x
      - .offset:         110
        .size:           2
        .value_kind:     hidden_group_size_y
      - .offset:         112
        .size:           2
        .value_kind:     hidden_group_size_z
      - .offset:         114
        .size:           2
        .value_kind:     hidden_remainder_x
      - .offset:         116
        .size:           2
        .value_kind:     hidden_remainder_y
      - .offset:         118
        .size:           2
        .value_kind:     hidden_remainder_z
      - .offset:         136
        .size:           8
        .value_kind:     hidden_global_offset_x
      - .offset:         144
        .size:           8
        .value_kind:     hidden_global_offset_y
      - .offset:         152
        .size:           8
        .value_kind:     hidden_global_offset_z
      - .offset:         160
        .size:           2
        .value_kind:     hidden_grid_dims
      - .offset:         216
        .size:           4
        .value_kind:     hidden_dynamic_lds_size
    .group_segment_fixed_size: 0
    .kernarg_segment_align: 8
    .kernarg_segment_size: 352
    .language:       OpenCL C
    .language_version:
      - 2
      - 0
    .max_flat_workgroup_size: 1024
    .name:           _ZN9rocsolver6v33100L10syevj_initI19rocblas_complex_numIfEfPS3_EEv14rocblas_evect_13rocblas_fill_iiT1_iilT0_PS8_PT_S9_PiSC_SC_
    .private_segment_fixed_size: 0
    .sgpr_count:     51
    .sgpr_spill_count: 0
    .symbol:         _ZN9rocsolver6v33100L10syevj_initI19rocblas_complex_numIfEfPS3_EEv14rocblas_evect_13rocblas_fill_iiT1_iilT0_PS8_PT_S9_PiSC_SC_.kd
    .uniform_work_group_size: 1
    .uses_dynamic_stack: false
    .vgpr_count:     27
    .vgpr_spill_count: 0
    .wavefront_size: 32
    .workgroup_processor_mode: 1
  - .args:
      - .offset:         0
        .size:           4
        .value_kind:     by_value
      - .address_space:  global
        .offset:         8
        .size:           8
        .value_kind:     global_buffer
      - .offset:         16
        .size:           4
        .value_kind:     by_value
      - .offset:         20
        .size:           4
        .value_kind:     by_value
      - .offset:         24
        .size:           8
        .value_kind:     by_value
      - .offset:         32
        .size:           4
        .value_kind:     by_value
      - .address_space:  global
        .offset:         40
        .size:           8
        .value_kind:     global_buffer
      - .address_space:  global
        .offset:         48
        .size:           8
        .value_kind:     global_buffer
      - .offset:         56
        .size:           4
        .value_kind:     hidden_block_count_x
      - .offset:         60
        .size:           4
        .value_kind:     hidden_block_count_y
      - .offset:         64
        .size:           4
        .value_kind:     hidden_block_count_z
      - .offset:         68
        .size:           2
        .value_kind:     hidden_group_size_x
      - .offset:         70
        .size:           2
        .value_kind:     hidden_group_size_y
      - .offset:         72
        .size:           2
        .value_kind:     hidden_group_size_z
      - .offset:         74
        .size:           2
        .value_kind:     hidden_remainder_x
      - .offset:         76
        .size:           2
        .value_kind:     hidden_remainder_y
      - .offset:         78
        .size:           2
        .value_kind:     hidden_remainder_z
      - .offset:         96
        .size:           8
        .value_kind:     hidden_global_offset_x
      - .offset:         104
        .size:           8
        .value_kind:     hidden_global_offset_y
      - .offset:         112
        .size:           8
        .value_kind:     hidden_global_offset_z
      - .offset:         120
        .size:           2
        .value_kind:     hidden_grid_dims
      - .offset:         176
        .size:           4
        .value_kind:     hidden_dynamic_lds_size
    .group_segment_fixed_size: 0
    .kernarg_segment_align: 8
    .kernarg_segment_size: 312
    .language:       OpenCL C
    .language_version:
      - 2
      - 0
    .max_flat_workgroup_size: 1024
    .name:           _ZN9rocsolver6v33100L17syevj_diag_kernelI19rocblas_complex_numIfEfPS3_EEviT1_iilT0_PT_Pi
    .private_segment_fixed_size: 0
    .sgpr_count:     25
    .sgpr_spill_count: 0
    .symbol:         _ZN9rocsolver6v33100L17syevj_diag_kernelI19rocblas_complex_numIfEfPS3_EEviT1_iilT0_PT_Pi.kd
    .uniform_work_group_size: 1
    .uses_dynamic_stack: false
    .vgpr_count:     32
    .vgpr_spill_count: 0
    .wavefront_size: 32
    .workgroup_processor_mode: 1
  - .args:
      - .offset:         0
        .size:           1
        .value_kind:     by_value
      - .offset:         4
        .size:           4
        .value_kind:     by_value
      - .address_space:  global
        .offset:         8
        .size:           8
        .value_kind:     global_buffer
      - .offset:         16
        .size:           4
        .value_kind:     by_value
      - .offset:         20
        .size:           4
        .value_kind:     by_value
      - .offset:         24
        .size:           8
        .value_kind:     by_value
      - .address_space:  global
        .offset:         32
        .size:           8
        .value_kind:     global_buffer
      - .address_space:  global
        .offset:         40
        .size:           8
        .value_kind:     global_buffer
      - .offset:         48
        .size:           4
        .value_kind:     hidden_block_count_x
      - .offset:         52
        .size:           4
        .value_kind:     hidden_block_count_y
      - .offset:         56
        .size:           4
        .value_kind:     hidden_block_count_z
      - .offset:         60
        .size:           2
        .value_kind:     hidden_group_size_x
      - .offset:         62
        .size:           2
        .value_kind:     hidden_group_size_y
      - .offset:         64
        .size:           2
        .value_kind:     hidden_group_size_z
      - .offset:         66
        .size:           2
        .value_kind:     hidden_remainder_x
      - .offset:         68
        .size:           2
        .value_kind:     hidden_remainder_y
      - .offset:         70
        .size:           2
        .value_kind:     hidden_remainder_z
      - .offset:         88
        .size:           8
        .value_kind:     hidden_global_offset_x
      - .offset:         96
        .size:           8
        .value_kind:     hidden_global_offset_y
      - .offset:         104
        .size:           8
        .value_kind:     hidden_global_offset_z
      - .offset:         112
        .size:           2
        .value_kind:     hidden_grid_dims
    .group_segment_fixed_size: 0
    .kernarg_segment_align: 8
    .kernarg_segment_size: 304
    .language:       OpenCL C
    .language_version:
      - 2
      - 0
    .max_flat_workgroup_size: 1024
    .name:           _ZN9rocsolver6v33100L21syevj_diag_rotate_orgILb0E19rocblas_complex_numIfEfPS3_EEvbiT2_iilPT0_Pi
    .private_segment_fixed_size: 0
    .sgpr_count:     20
    .sgpr_spill_count: 0
    .symbol:         _ZN9rocsolver6v33100L21syevj_diag_rotate_orgILb0E19rocblas_complex_numIfEfPS3_EEvbiT2_iilPT0_Pi.kd
    .uniform_work_group_size: 1
    .uses_dynamic_stack: false
    .vgpr_count:     13
    .vgpr_spill_count: 0
    .wavefront_size: 32
    .workgroup_processor_mode: 1
  - .args:
      - .offset:         0
        .size:           1
        .value_kind:     by_value
      - .offset:         4
        .size:           4
        .value_kind:     by_value
      - .address_space:  global
        .offset:         8
        .size:           8
        .value_kind:     global_buffer
      - .offset:         16
        .size:           4
        .value_kind:     by_value
      - .offset:         20
        .size:           4
        .value_kind:     by_value
      - .offset:         24
        .size:           8
        .value_kind:     by_value
      - .address_space:  global
        .offset:         32
        .size:           8
        .value_kind:     global_buffer
      - .address_space:  global
        .offset:         40
        .size:           8
        .value_kind:     global_buffer
      - .offset:         48
        .size:           4
        .value_kind:     hidden_block_count_x
      - .offset:         52
        .size:           4
        .value_kind:     hidden_block_count_y
      - .offset:         56
        .size:           4
        .value_kind:     hidden_block_count_z
      - .offset:         60
        .size:           2
        .value_kind:     hidden_group_size_x
      - .offset:         62
        .size:           2
        .value_kind:     hidden_group_size_y
      - .offset:         64
        .size:           2
        .value_kind:     hidden_group_size_z
      - .offset:         66
        .size:           2
        .value_kind:     hidden_remainder_x
      - .offset:         68
        .size:           2
        .value_kind:     hidden_remainder_y
      - .offset:         70
        .size:           2
        .value_kind:     hidden_remainder_z
      - .offset:         88
        .size:           8
        .value_kind:     hidden_global_offset_x
      - .offset:         96
        .size:           8
        .value_kind:     hidden_global_offset_y
      - .offset:         104
        .size:           8
        .value_kind:     hidden_global_offset_z
      - .offset:         112
        .size:           2
        .value_kind:     hidden_grid_dims
    .group_segment_fixed_size: 0
    .kernarg_segment_align: 8
    .kernarg_segment_size: 304
    .language:       OpenCL C
    .language_version:
      - 2
      - 0
    .max_flat_workgroup_size: 1024
    .name:           _ZN9rocsolver6v33100L21syevj_diag_rotate_orgILb1E19rocblas_complex_numIfEfPS3_EEvbiT2_iilPT0_Pi
    .private_segment_fixed_size: 0
    .sgpr_count:     20
    .sgpr_spill_count: 0
    .symbol:         _ZN9rocsolver6v33100L21syevj_diag_rotate_orgILb1E19rocblas_complex_numIfEfPS3_EEvbiT2_iilPT0_Pi.kd
    .uniform_work_group_size: 1
    .uses_dynamic_stack: false
    .vgpr_count:     12
    .vgpr_spill_count: 0
    .wavefront_size: 32
    .workgroup_processor_mode: 1
  - .args:
      - .offset:         0
        .size:           1
        .value_kind:     by_value
      - .offset:         4
        .size:           4
        .value_kind:     by_value
      - .offset:         8
        .size:           4
        .value_kind:     by_value
      - .address_space:  global
        .offset:         16
        .size:           8
        .value_kind:     global_buffer
      - .offset:         24
        .size:           4
        .value_kind:     by_value
      - .offset:         28
        .size:           4
        .value_kind:     by_value
      - .offset:         32
        .size:           8
        .value_kind:     by_value
      - .address_space:  global
        .offset:         40
        .size:           8
        .value_kind:     global_buffer
      - .address_space:  global
        .offset:         48
        .size:           8
        .value_kind:     global_buffer
      - .offset:         56
        .size:           4
        .value_kind:     by_value
      - .offset:         64
        .size:           4
        .value_kind:     hidden_block_count_x
      - .offset:         68
        .size:           4
        .value_kind:     hidden_block_count_y
      - .offset:         72
        .size:           4
        .value_kind:     hidden_block_count_z
      - .offset:         76
        .size:           2
        .value_kind:     hidden_group_size_x
      - .offset:         78
        .size:           2
        .value_kind:     hidden_group_size_y
      - .offset:         80
        .size:           2
        .value_kind:     hidden_group_size_z
      - .offset:         82
        .size:           2
        .value_kind:     hidden_remainder_x
      - .offset:         84
        .size:           2
        .value_kind:     hidden_remainder_y
      - .offset:         86
        .size:           2
        .value_kind:     hidden_remainder_z
      - .offset:         104
        .size:           8
        .value_kind:     hidden_global_offset_x
      - .offset:         112
        .size:           8
        .value_kind:     hidden_global_offset_y
      - .offset:         120
        .size:           8
        .value_kind:     hidden_global_offset_z
      - .offset:         128
        .size:           2
        .value_kind:     hidden_grid_dims
      - .offset:         144
        .size:           8
        .value_kind:     hidden_hostcall_buffer
      - .offset:         184
        .size:           4
        .value_kind:     hidden_dynamic_lds_size
    .group_segment_fixed_size: 0
    .kernarg_segment_align: 8
    .kernarg_segment_size: 320
    .language:       OpenCL C
    .language_version:
      - 2
      - 0
    .max_flat_workgroup_size: 1024
    .name:           _ZN9rocsolver6v33100L17syevj_diag_rotateILb0E19rocblas_complex_numIfEfPS3_EEvbiiT2_iilPT0_Pii
    .private_segment_fixed_size: 64
    .sgpr_count:     62
    .sgpr_spill_count: 0
    .symbol:         _ZN9rocsolver6v33100L17syevj_diag_rotateILb0E19rocblas_complex_numIfEfPS3_EEvbiiT2_iilPT0_Pii.kd
    .uniform_work_group_size: 1
    .uses_dynamic_stack: false
    .vgpr_count:     42
    .vgpr_spill_count: 0
    .wavefront_size: 32
    .workgroup_processor_mode: 1
  - .args:
      - .offset:         0
        .size:           1
        .value_kind:     by_value
      - .offset:         4
        .size:           4
        .value_kind:     by_value
      - .offset:         8
        .size:           4
        .value_kind:     by_value
      - .address_space:  global
        .offset:         16
        .size:           8
        .value_kind:     global_buffer
      - .offset:         24
        .size:           4
        .value_kind:     by_value
      - .offset:         28
        .size:           4
        .value_kind:     by_value
      - .offset:         32
        .size:           8
        .value_kind:     by_value
      - .address_space:  global
        .offset:         40
        .size:           8
        .value_kind:     global_buffer
      - .address_space:  global
        .offset:         48
        .size:           8
        .value_kind:     global_buffer
      - .offset:         56
        .size:           4
        .value_kind:     by_value
      - .offset:         64
        .size:           4
        .value_kind:     hidden_block_count_x
      - .offset:         68
        .size:           4
        .value_kind:     hidden_block_count_y
      - .offset:         72
        .size:           4
        .value_kind:     hidden_block_count_z
      - .offset:         76
        .size:           2
        .value_kind:     hidden_group_size_x
      - .offset:         78
        .size:           2
        .value_kind:     hidden_group_size_y
      - .offset:         80
        .size:           2
        .value_kind:     hidden_group_size_z
      - .offset:         82
        .size:           2
        .value_kind:     hidden_remainder_x
      - .offset:         84
        .size:           2
        .value_kind:     hidden_remainder_y
      - .offset:         86
        .size:           2
        .value_kind:     hidden_remainder_z
      - .offset:         104
        .size:           8
        .value_kind:     hidden_global_offset_x
      - .offset:         112
        .size:           8
        .value_kind:     hidden_global_offset_y
      - .offset:         120
        .size:           8
        .value_kind:     hidden_global_offset_z
      - .offset:         128
        .size:           2
        .value_kind:     hidden_grid_dims
      - .offset:         144
        .size:           8
        .value_kind:     hidden_hostcall_buffer
      - .offset:         184
        .size:           4
        .value_kind:     hidden_dynamic_lds_size
    .group_segment_fixed_size: 0
    .kernarg_segment_align: 8
    .kernarg_segment_size: 320
    .language:       OpenCL C
    .language_version:
      - 2
      - 0
    .max_flat_workgroup_size: 1024
    .name:           _ZN9rocsolver6v33100L17syevj_diag_rotateILb1E19rocblas_complex_numIfEfPS3_EEvbiiT2_iilPT0_Pii
    .private_segment_fixed_size: 64
    .sgpr_count:     60
    .sgpr_spill_count: 0
    .symbol:         _ZN9rocsolver6v33100L17syevj_diag_rotateILb1E19rocblas_complex_numIfEfPS3_EEvbiiT2_iilPT0_Pii.kd
    .uniform_work_group_size: 1
    .uses_dynamic_stack: false
    .vgpr_count:     42
    .vgpr_spill_count: 0
    .wavefront_size: 32
    .workgroup_processor_mode: 1
  - .args:
      - .offset:         0
        .size:           4
        .value_kind:     by_value
      - .offset:         4
        .size:           4
        .value_kind:     by_value
      - .address_space:  global
        .offset:         8
        .size:           8
        .value_kind:     global_buffer
      - .offset:         16
        .size:           4
        .value_kind:     by_value
      - .offset:         20
        .size:           4
        .value_kind:     by_value
      - .offset:         24
        .size:           8
        .value_kind:     by_value
      - .offset:         32
        .size:           4
        .value_kind:     by_value
      - .address_space:  global
        .offset:         40
        .size:           8
        .value_kind:     global_buffer
      - .address_space:  global
        .offset:         48
        .size:           8
        .value_kind:     global_buffer
      - .address_space:  global
        .offset:         56
        .size:           8
        .value_kind:     global_buffer
      - .address_space:  global
        .offset:         64
        .size:           8
        .value_kind:     global_buffer
      - .offset:         72
        .size:           4
        .value_kind:     hidden_block_count_x
      - .offset:         76
        .size:           4
        .value_kind:     hidden_block_count_y
      - .offset:         80
        .size:           4
        .value_kind:     hidden_block_count_z
      - .offset:         84
        .size:           2
        .value_kind:     hidden_group_size_x
      - .offset:         86
        .size:           2
        .value_kind:     hidden_group_size_y
      - .offset:         88
        .size:           2
        .value_kind:     hidden_group_size_z
      - .offset:         90
        .size:           2
        .value_kind:     hidden_remainder_x
      - .offset:         92
        .size:           2
        .value_kind:     hidden_remainder_y
      - .offset:         94
        .size:           2
        .value_kind:     hidden_remainder_z
      - .offset:         112
        .size:           8
        .value_kind:     hidden_global_offset_x
      - .offset:         120
        .size:           8
        .value_kind:     hidden_global_offset_y
      - .offset:         128
        .size:           8
        .value_kind:     hidden_global_offset_z
      - .offset:         136
        .size:           2
        .value_kind:     hidden_grid_dims
      - .offset:         192
        .size:           4
        .value_kind:     hidden_dynamic_lds_size
    .group_segment_fixed_size: 0
    .kernarg_segment_align: 8
    .kernarg_segment_size: 328
    .language:       OpenCL C
    .language_version:
      - 2
      - 0
    .max_flat_workgroup_size: 1024
    .name:           _ZN9rocsolver6v33100L21syevj_offd_kernel_orgI19rocblas_complex_numIfEfPS3_EEviiT1_iilT0_PT_PiS9_S9_
    .private_segment_fixed_size: 0
    .sgpr_count:     24
    .sgpr_spill_count: 0
    .symbol:         _ZN9rocsolver6v33100L21syevj_offd_kernel_orgI19rocblas_complex_numIfEfPS3_EEviiT1_iilT0_PT_PiS9_S9_.kd
    .uniform_work_group_size: 1
    .uses_dynamic_stack: false
    .vgpr_count:     49
    .vgpr_spill_count: 0
    .wavefront_size: 32
    .workgroup_processor_mode: 1
  - .args:
      - .offset:         0
        .size:           4
        .value_kind:     by_value
      - .offset:         4
        .size:           4
        .value_kind:     by_value
      - .address_space:  global
        .offset:         8
        .size:           8
        .value_kind:     global_buffer
      - .offset:         16
        .size:           4
        .value_kind:     by_value
      - .offset:         20
        .size:           4
        .value_kind:     by_value
      - .offset:         24
        .size:           8
        .value_kind:     by_value
      - .offset:         32
        .size:           4
        .value_kind:     by_value
      - .address_space:  global
        .offset:         40
        .size:           8
        .value_kind:     global_buffer
      - .address_space:  global
        .offset:         48
        .size:           8
        .value_kind:     global_buffer
      - .address_space:  global
        .offset:         56
        .size:           8
        .value_kind:     global_buffer
      - .address_space:  global
        .offset:         64
        .size:           8
        .value_kind:     global_buffer
      - .offset:         72
        .size:           4
        .value_kind:     by_value
      - .offset:         80
        .size:           4
        .value_kind:     hidden_block_count_x
      - .offset:         84
        .size:           4
        .value_kind:     hidden_block_count_y
      - .offset:         88
        .size:           4
        .value_kind:     hidden_block_count_z
      - .offset:         92
        .size:           2
        .value_kind:     hidden_group_size_x
      - .offset:         94
        .size:           2
        .value_kind:     hidden_group_size_y
      - .offset:         96
        .size:           2
        .value_kind:     hidden_group_size_z
      - .offset:         98
        .size:           2
        .value_kind:     hidden_remainder_x
      - .offset:         100
        .size:           2
        .value_kind:     hidden_remainder_y
      - .offset:         102
        .size:           2
        .value_kind:     hidden_remainder_z
      - .offset:         120
        .size:           8
        .value_kind:     hidden_global_offset_x
      - .offset:         128
        .size:           8
        .value_kind:     hidden_global_offset_y
      - .offset:         136
        .size:           8
        .value_kind:     hidden_global_offset_z
      - .offset:         144
        .size:           2
        .value_kind:     hidden_grid_dims
      - .offset:         200
        .size:           4
        .value_kind:     hidden_dynamic_lds_size
    .group_segment_fixed_size: 0
    .kernarg_segment_align: 8
    .kernarg_segment_size: 336
    .language:       OpenCL C
    .language_version:
      - 2
      - 0
    .max_flat_workgroup_size: 1024
    .name:           _ZN9rocsolver6v33100L17syevj_offd_kernelI19rocblas_complex_numIfEfPS3_EEviiT1_iilT0_PT_PiS9_S9_i
    .private_segment_fixed_size: 0
    .sgpr_count:     67
    .sgpr_spill_count: 0
    .symbol:         _ZN9rocsolver6v33100L17syevj_offd_kernelI19rocblas_complex_numIfEfPS3_EEviiT1_iilT0_PT_PiS9_S9_i.kd
    .uniform_work_group_size: 1
    .uses_dynamic_stack: false
    .vgpr_count:     45
    .vgpr_spill_count: 0
    .wavefront_size: 32
    .workgroup_processor_mode: 1
  - .args:
      - .offset:         0
        .size:           1
        .value_kind:     by_value
      - .offset:         4
        .size:           4
        .value_kind:     by_value
      - .offset:         8
        .size:           4
        .value_kind:     by_value
      - .address_space:  global
        .offset:         16
        .size:           8
        .value_kind:     global_buffer
      - .offset:         24
        .size:           4
        .value_kind:     by_value
      - .offset:         28
        .size:           4
        .value_kind:     by_value
      - .offset:         32
        .size:           8
        .value_kind:     by_value
      - .address_space:  global
        .offset:         40
        .size:           8
        .value_kind:     global_buffer
      - .address_space:  global
        .offset:         48
        .size:           8
        .value_kind:     global_buffer
      - .address_space:  global
        .offset:         56
        .size:           8
        .value_kind:     global_buffer
      - .address_space:  global
        .offset:         64
        .size:           8
        .value_kind:     global_buffer
      - .offset:         72
        .size:           4
        .value_kind:     hidden_block_count_x
      - .offset:         76
        .size:           4
        .value_kind:     hidden_block_count_y
      - .offset:         80
        .size:           4
        .value_kind:     hidden_block_count_z
      - .offset:         84
        .size:           2
        .value_kind:     hidden_group_size_x
      - .offset:         86
        .size:           2
        .value_kind:     hidden_group_size_y
      - .offset:         88
        .size:           2
        .value_kind:     hidden_group_size_z
      - .offset:         90
        .size:           2
        .value_kind:     hidden_remainder_x
      - .offset:         92
        .size:           2
        .value_kind:     hidden_remainder_y
      - .offset:         94
        .size:           2
        .value_kind:     hidden_remainder_z
      - .offset:         112
        .size:           8
        .value_kind:     hidden_global_offset_x
      - .offset:         120
        .size:           8
        .value_kind:     hidden_global_offset_y
      - .offset:         128
        .size:           8
        .value_kind:     hidden_global_offset_z
      - .offset:         136
        .size:           2
        .value_kind:     hidden_grid_dims
    .group_segment_fixed_size: 0
    .kernarg_segment_align: 8
    .kernarg_segment_size: 328
    .language:       OpenCL C
    .language_version:
      - 2
      - 0
    .max_flat_workgroup_size: 1024
    .name:           _ZN9rocsolver6v33100L21syevj_offd_rotate_orgILb0E19rocblas_complex_numIfEfPS3_EEvbiiT2_iilPT0_PiS8_S8_
    .private_segment_fixed_size: 0
    .sgpr_count:     23
    .sgpr_spill_count: 0
    .symbol:         _ZN9rocsolver6v33100L21syevj_offd_rotate_orgILb0E19rocblas_complex_numIfEfPS3_EEvbiiT2_iilPT0_PiS8_S8_.kd
    .uniform_work_group_size: 1
    .uses_dynamic_stack: false
    .vgpr_count:     14
    .vgpr_spill_count: 0
    .wavefront_size: 32
    .workgroup_processor_mode: 1
  - .args:
      - .offset:         0
        .size:           1
        .value_kind:     by_value
      - .offset:         4
        .size:           4
        .value_kind:     by_value
      - .offset:         8
        .size:           4
        .value_kind:     by_value
      - .address_space:  global
        .offset:         16
        .size:           8
        .value_kind:     global_buffer
      - .offset:         24
        .size:           4
        .value_kind:     by_value
      - .offset:         28
        .size:           4
        .value_kind:     by_value
      - .offset:         32
        .size:           8
        .value_kind:     by_value
      - .address_space:  global
        .offset:         40
        .size:           8
        .value_kind:     global_buffer
      - .address_space:  global
        .offset:         48
        .size:           8
        .value_kind:     global_buffer
      - .address_space:  global
        .offset:         56
        .size:           8
        .value_kind:     global_buffer
      - .address_space:  global
        .offset:         64
        .size:           8
        .value_kind:     global_buffer
      - .offset:         72
        .size:           4
        .value_kind:     by_value
      - .offset:         80
        .size:           4
        .value_kind:     hidden_block_count_x
      - .offset:         84
        .size:           4
        .value_kind:     hidden_block_count_y
      - .offset:         88
        .size:           4
        .value_kind:     hidden_block_count_z
      - .offset:         92
        .size:           2
        .value_kind:     hidden_group_size_x
      - .offset:         94
        .size:           2
        .value_kind:     hidden_group_size_y
      - .offset:         96
        .size:           2
        .value_kind:     hidden_group_size_z
      - .offset:         98
        .size:           2
        .value_kind:     hidden_remainder_x
      - .offset:         100
        .size:           2
        .value_kind:     hidden_remainder_y
      - .offset:         102
        .size:           2
        .value_kind:     hidden_remainder_z
      - .offset:         120
        .size:           8
        .value_kind:     hidden_global_offset_x
      - .offset:         128
        .size:           8
        .value_kind:     hidden_global_offset_y
      - .offset:         136
        .size:           8
        .value_kind:     hidden_global_offset_z
      - .offset:         144
        .size:           2
        .value_kind:     hidden_grid_dims
      - .offset:         200
        .size:           4
        .value_kind:     hidden_dynamic_lds_size
    .group_segment_fixed_size: 0
    .kernarg_segment_align: 8
    .kernarg_segment_size: 336
    .language:       OpenCL C
    .language_version:
      - 2
      - 0
    .max_flat_workgroup_size: 1024
    .name:           _ZN9rocsolver6v33100L17syevj_offd_rotateILb0E19rocblas_complex_numIfEfPS3_EEvbiiT2_iilPT0_PiS8_S8_i
    .private_segment_fixed_size: 0
    .sgpr_count:     72
    .sgpr_spill_count: 0
    .symbol:         _ZN9rocsolver6v33100L17syevj_offd_rotateILb0E19rocblas_complex_numIfEfPS3_EEvbiiT2_iilPT0_PiS8_S8_i.kd
    .uniform_work_group_size: 1
    .uses_dynamic_stack: false
    .vgpr_count:     21
    .vgpr_spill_count: 0
    .wavefront_size: 32
    .workgroup_processor_mode: 1
  - .args:
      - .offset:         0
        .size:           1
        .value_kind:     by_value
      - .offset:         4
        .size:           4
        .value_kind:     by_value
      - .offset:         8
        .size:           4
        .value_kind:     by_value
      - .address_space:  global
        .offset:         16
        .size:           8
        .value_kind:     global_buffer
      - .offset:         24
        .size:           4
        .value_kind:     by_value
      - .offset:         28
        .size:           4
        .value_kind:     by_value
      - .offset:         32
        .size:           8
        .value_kind:     by_value
      - .address_space:  global
        .offset:         40
        .size:           8
        .value_kind:     global_buffer
      - .address_space:  global
        .offset:         48
        .size:           8
        .value_kind:     global_buffer
      - .address_space:  global
        .offset:         56
        .size:           8
        .value_kind:     global_buffer
      - .address_space:  global
        .offset:         64
        .size:           8
        .value_kind:     global_buffer
      - .offset:         72
        .size:           4
        .value_kind:     hidden_block_count_x
      - .offset:         76
        .size:           4
        .value_kind:     hidden_block_count_y
      - .offset:         80
        .size:           4
        .value_kind:     hidden_block_count_z
      - .offset:         84
        .size:           2
        .value_kind:     hidden_group_size_x
      - .offset:         86
        .size:           2
        .value_kind:     hidden_group_size_y
      - .offset:         88
        .size:           2
        .value_kind:     hidden_group_size_z
      - .offset:         90
        .size:           2
        .value_kind:     hidden_remainder_x
      - .offset:         92
        .size:           2
        .value_kind:     hidden_remainder_y
      - .offset:         94
        .size:           2
        .value_kind:     hidden_remainder_z
      - .offset:         112
        .size:           8
        .value_kind:     hidden_global_offset_x
      - .offset:         120
        .size:           8
        .value_kind:     hidden_global_offset_y
      - .offset:         128
        .size:           8
        .value_kind:     hidden_global_offset_z
      - .offset:         136
        .size:           2
        .value_kind:     hidden_grid_dims
    .group_segment_fixed_size: 0
    .kernarg_segment_align: 8
    .kernarg_segment_size: 328
    .language:       OpenCL C
    .language_version:
      - 2
      - 0
    .max_flat_workgroup_size: 1024
    .name:           _ZN9rocsolver6v33100L21syevj_offd_rotate_orgILb1E19rocblas_complex_numIfEfPS3_EEvbiiT2_iilPT0_PiS8_S8_
    .private_segment_fixed_size: 0
    .sgpr_count:     21
    .sgpr_spill_count: 0
    .symbol:         _ZN9rocsolver6v33100L21syevj_offd_rotate_orgILb1E19rocblas_complex_numIfEfPS3_EEvbiiT2_iilPT0_PiS8_S8_.kd
    .uniform_work_group_size: 1
    .uses_dynamic_stack: false
    .vgpr_count:     14
    .vgpr_spill_count: 0
    .wavefront_size: 32
    .workgroup_processor_mode: 1
  - .args:
      - .offset:         0
        .size:           1
        .value_kind:     by_value
      - .offset:         4
        .size:           4
        .value_kind:     by_value
      - .offset:         8
        .size:           4
        .value_kind:     by_value
      - .address_space:  global
        .offset:         16
        .size:           8
        .value_kind:     global_buffer
      - .offset:         24
        .size:           4
        .value_kind:     by_value
      - .offset:         28
        .size:           4
        .value_kind:     by_value
      - .offset:         32
        .size:           8
        .value_kind:     by_value
      - .address_space:  global
        .offset:         40
        .size:           8
        .value_kind:     global_buffer
      - .address_space:  global
        .offset:         48
        .size:           8
        .value_kind:     global_buffer
      - .address_space:  global
        .offset:         56
        .size:           8
        .value_kind:     global_buffer
      - .address_space:  global
        .offset:         64
        .size:           8
        .value_kind:     global_buffer
      - .offset:         72
        .size:           4
        .value_kind:     by_value
      - .offset:         80
        .size:           4
        .value_kind:     hidden_block_count_x
      - .offset:         84
        .size:           4
        .value_kind:     hidden_block_count_y
      - .offset:         88
        .size:           4
        .value_kind:     hidden_block_count_z
      - .offset:         92
        .size:           2
        .value_kind:     hidden_group_size_x
      - .offset:         94
        .size:           2
        .value_kind:     hidden_group_size_y
      - .offset:         96
        .size:           2
        .value_kind:     hidden_group_size_z
      - .offset:         98
        .size:           2
        .value_kind:     hidden_remainder_x
      - .offset:         100
        .size:           2
        .value_kind:     hidden_remainder_y
      - .offset:         102
        .size:           2
        .value_kind:     hidden_remainder_z
      - .offset:         120
        .size:           8
        .value_kind:     hidden_global_offset_x
      - .offset:         128
        .size:           8
        .value_kind:     hidden_global_offset_y
      - .offset:         136
        .size:           8
        .value_kind:     hidden_global_offset_z
      - .offset:         144
        .size:           2
        .value_kind:     hidden_grid_dims
      - .offset:         200
        .size:           4
        .value_kind:     hidden_dynamic_lds_size
    .group_segment_fixed_size: 0
    .kernarg_segment_align: 8
    .kernarg_segment_size: 336
    .language:       OpenCL C
    .language_version:
      - 2
      - 0
    .max_flat_workgroup_size: 1024
    .name:           _ZN9rocsolver6v33100L17syevj_offd_rotateILb1E19rocblas_complex_numIfEfPS3_EEvbiiT2_iilPT0_PiS8_S8_i
    .private_segment_fixed_size: 0
    .sgpr_count:     68
    .sgpr_spill_count: 0
    .symbol:         _ZN9rocsolver6v33100L17syevj_offd_rotateILb1E19rocblas_complex_numIfEfPS3_EEvbiiT2_iilPT0_PiS8_S8_i.kd
    .uniform_work_group_size: 1
    .uses_dynamic_stack: false
    .vgpr_count:     23
    .vgpr_spill_count: 0
    .wavefront_size: 32
    .workgroup_processor_mode: 1
  - .args:
      - .offset:         0
        .size:           4
        .value_kind:     by_value
      - .address_space:  global
        .offset:         8
        .size:           8
        .value_kind:     global_buffer
      - .address_space:  global
        .offset:         16
        .size:           8
        .value_kind:     global_buffer
      - .offset:         24
        .size:           4
        .value_kind:     hidden_block_count_x
      - .offset:         28
        .size:           4
        .value_kind:     hidden_block_count_y
      - .offset:         32
        .size:           4
        .value_kind:     hidden_block_count_z
      - .offset:         36
        .size:           2
        .value_kind:     hidden_group_size_x
      - .offset:         38
        .size:           2
        .value_kind:     hidden_group_size_y
      - .offset:         40
        .size:           2
        .value_kind:     hidden_group_size_z
      - .offset:         42
        .size:           2
        .value_kind:     hidden_remainder_x
      - .offset:         44
        .size:           2
        .value_kind:     hidden_remainder_y
      - .offset:         46
        .size:           2
        .value_kind:     hidden_remainder_z
      - .offset:         64
        .size:           8
        .value_kind:     hidden_global_offset_x
      - .offset:         72
        .size:           8
        .value_kind:     hidden_global_offset_y
      - .offset:         80
        .size:           8
        .value_kind:     hidden_global_offset_z
      - .offset:         88
        .size:           2
        .value_kind:     hidden_grid_dims
    .group_segment_fixed_size: 0
    .kernarg_segment_align: 8
    .kernarg_segment_size: 280
    .language:       OpenCL C
    .language_version:
      - 2
      - 0
    .max_flat_workgroup_size: 1024
    .name:           _ZN9rocsolver6v33100L17syevj_cycle_pairsI19rocblas_complex_numIfEEEviPiS4_
    .private_segment_fixed_size: 0
    .sgpr_count:     18
    .sgpr_spill_count: 0
    .symbol:         _ZN9rocsolver6v33100L17syevj_cycle_pairsI19rocblas_complex_numIfEEEviPiS4_.kd
    .uniform_work_group_size: 1
    .uses_dynamic_stack: false
    .vgpr_count:     9
    .vgpr_spill_count: 0
    .wavefront_size: 32
    .workgroup_processor_mode: 1
  - .args:
      - .offset:         0
        .size:           4
        .value_kind:     by_value
      - .offset:         4
        .size:           4
        .value_kind:     by_value
      - .address_space:  global
        .offset:         8
        .size:           8
        .value_kind:     global_buffer
      - .address_space:  global
        .offset:         16
        .size:           8
        .value_kind:     global_buffer
      - .address_space:  global
        .offset:         24
        .size:           8
        .value_kind:     global_buffer
      - .address_space:  global
        .offset:         32
        .size:           8
        .value_kind:     global_buffer
      - .offset:         40
        .size:           4
        .value_kind:     hidden_block_count_x
      - .offset:         44
        .size:           4
        .value_kind:     hidden_block_count_y
      - .offset:         48
        .size:           4
        .value_kind:     hidden_block_count_z
      - .offset:         52
        .size:           2
        .value_kind:     hidden_group_size_x
      - .offset:         54
        .size:           2
        .value_kind:     hidden_group_size_y
      - .offset:         56
        .size:           2
        .value_kind:     hidden_group_size_z
      - .offset:         58
        .size:           2
        .value_kind:     hidden_remainder_x
      - .offset:         60
        .size:           2
        .value_kind:     hidden_remainder_y
      - .offset:         62
        .size:           2
        .value_kind:     hidden_remainder_z
      - .offset:         80
        .size:           8
        .value_kind:     hidden_global_offset_x
      - .offset:         88
        .size:           8
        .value_kind:     hidden_global_offset_y
      - .offset:         96
        .size:           8
        .value_kind:     hidden_global_offset_z
      - .offset:         104
        .size:           2
        .value_kind:     hidden_grid_dims
      - .offset:         160
        .size:           4
        .value_kind:     hidden_dynamic_lds_size
    .group_segment_fixed_size: 0
    .kernarg_segment_align: 8
    .kernarg_segment_size: 296
    .language:       OpenCL C
    .language_version:
      - 2
      - 0
    .max_flat_workgroup_size: 1024
    .name:           _ZN9rocsolver6v33100L15syevj_calc_normI19rocblas_complex_numIfEfEEviiPT0_PT_S5_Pi
    .private_segment_fixed_size: 0
    .sgpr_count:     24
    .sgpr_spill_count: 0
    .symbol:         _ZN9rocsolver6v33100L15syevj_calc_normI19rocblas_complex_numIfEfEEviiPT0_PT_S5_Pi.kd
    .uniform_work_group_size: 1
    .uses_dynamic_stack: false
    .vgpr_count:     10
    .vgpr_spill_count: 0
    .wavefront_size: 32
    .workgroup_processor_mode: 1
  - .args:
      - .offset:         0
        .size:           4
        .value_kind:     by_value
      - .offset:         4
        .size:           4
        .value_kind:     by_value
      - .offset:         8
        .size:           4
        .value_kind:     by_value
      - .address_space:  global
        .offset:         16
        .size:           8
        .value_kind:     global_buffer
      - .offset:         24
        .size:           4
        .value_kind:     by_value
      - .offset:         28
        .size:           4
        .value_kind:     by_value
      - .offset:         32
        .size:           8
        .value_kind:     by_value
      - .address_space:  global
        .offset:         40
        .size:           8
        .value_kind:     global_buffer
      - .offset:         48
        .size:           4
        .value_kind:     by_value
      - .address_space:  global
        .offset:         56
        .size:           8
        .value_kind:     global_buffer
      - .address_space:  global
        .offset:         64
        .size:           8
        .value_kind:     global_buffer
      - .offset:         72
        .size:           8
        .value_kind:     by_value
      - .address_space:  global
        .offset:         80
        .size:           8
        .value_kind:     global_buffer
      - .address_space:  global
        .offset:         88
        .size:           8
        .value_kind:     global_buffer
      - .address_space:  global
        .offset:         96
        .size:           8
        .value_kind:     global_buffer
      - .offset:         104
        .size:           4
        .value_kind:     hidden_block_count_x
      - .offset:         108
        .size:           4
        .value_kind:     hidden_block_count_y
      - .offset:         112
        .size:           4
        .value_kind:     hidden_block_count_z
      - .offset:         116
        .size:           2
        .value_kind:     hidden_group_size_x
      - .offset:         118
        .size:           2
        .value_kind:     hidden_group_size_y
      - .offset:         120
        .size:           2
        .value_kind:     hidden_group_size_z
      - .offset:         122
        .size:           2
        .value_kind:     hidden_remainder_x
      - .offset:         124
        .size:           2
        .value_kind:     hidden_remainder_y
      - .offset:         126
        .size:           2
        .value_kind:     hidden_remainder_z
      - .offset:         144
        .size:           8
        .value_kind:     hidden_global_offset_x
      - .offset:         152
        .size:           8
        .value_kind:     hidden_global_offset_y
      - .offset:         160
        .size:           8
        .value_kind:     hidden_global_offset_z
      - .offset:         168
        .size:           2
        .value_kind:     hidden_grid_dims
    .group_segment_fixed_size: 0
    .kernarg_segment_align: 8
    .kernarg_segment_size: 360
    .language:       OpenCL C
    .language_version:
      - 2
      - 0
    .max_flat_workgroup_size: 1024
    .name:           _ZN9rocsolver6v33100L14syevj_finalizeI19rocblas_complex_numIfEfPS3_EEv14rocblas_esort_14rocblas_evect_iT1_iilPT0_iPiS9_lSA_PT_SA_
    .private_segment_fixed_size: 0
    .sgpr_count:     30
    .sgpr_spill_count: 0
    .symbol:         _ZN9rocsolver6v33100L14syevj_finalizeI19rocblas_complex_numIfEfPS3_EEv14rocblas_esort_14rocblas_evect_iT1_iilPT0_iPiS9_lSA_PT_SA_.kd
    .uniform_work_group_size: 1
    .uses_dynamic_stack: false
    .vgpr_count:     11
    .vgpr_spill_count: 0
    .wavefront_size: 32
    .workgroup_processor_mode: 1
  - .args:
      - .offset:         0
        .size:           4
        .value_kind:     by_value
      - .offset:         4
        .size:           4
        .value_kind:     by_value
      - .address_space:  global
        .offset:         8
        .size:           8
        .value_kind:     global_buffer
      - .offset:         16
        .size:           8
        .value_kind:     by_value
      - .offset:         24
        .size:           4
        .value_kind:     by_value
      - .offset:         32
        .size:           8
        .value_kind:     by_value
      - .address_space:  global
        .offset:         40
        .size:           8
        .value_kind:     global_buffer
      - .offset:         48
        .size:           8
        .value_kind:     by_value
      - .address_space:  global
        .offset:         56
        .size:           8
        .value_kind:     global_buffer
      - .offset:         64
        .size:           8
        .value_kind:     by_value
    .group_segment_fixed_size: 0
    .kernarg_segment_align: 8
    .kernarg_segment_size: 72
    .language:       OpenCL C
    .language_version:
      - 2
      - 0
    .max_flat_workgroup_size: 256
    .name:           _ZN9rocsolver6v33100L18geqr2_kernel_smallILi256E19rocblas_complex_numIfEifPS3_EEvT1_S5_T3_lS5_lPT2_lPT0_l
    .private_segment_fixed_size: 0
    .sgpr_count:     39
    .sgpr_spill_count: 0
    .symbol:         _ZN9rocsolver6v33100L18geqr2_kernel_smallILi256E19rocblas_complex_numIfEifPS3_EEvT1_S5_T3_lS5_lPT2_lPT0_l.kd
    .uniform_work_group_size: 1
    .uses_dynamic_stack: false
    .vgpr_count:     40
    .vgpr_spill_count: 0
    .wavefront_size: 32
    .workgroup_processor_mode: 1
  - .args:
      - .address_space:  global
        .offset:         0
        .size:           8
        .value_kind:     global_buffer
      - .offset:         8
        .size:           8
        .value_kind:     by_value
      - .offset:         16
        .size:           4
        .value_kind:     by_value
      - .offset:         20
        .size:           4
        .value_kind:     by_value
      - .offset:         24
        .size:           4
        .value_kind:     hidden_block_count_x
      - .offset:         28
        .size:           4
        .value_kind:     hidden_block_count_y
      - .offset:         32
        .size:           4
        .value_kind:     hidden_block_count_z
      - .offset:         36
        .size:           2
        .value_kind:     hidden_group_size_x
      - .offset:         38
        .size:           2
        .value_kind:     hidden_group_size_y
      - .offset:         40
        .size:           2
        .value_kind:     hidden_group_size_z
      - .offset:         42
        .size:           2
        .value_kind:     hidden_remainder_x
      - .offset:         44
        .size:           2
        .value_kind:     hidden_remainder_y
      - .offset:         46
        .size:           2
        .value_kind:     hidden_remainder_z
      - .offset:         64
        .size:           8
        .value_kind:     hidden_global_offset_x
      - .offset:         72
        .size:           8
        .value_kind:     hidden_global_offset_y
      - .offset:         80
        .size:           8
        .value_kind:     hidden_global_offset_z
      - .offset:         88
        .size:           2
        .value_kind:     hidden_grid_dims
    .group_segment_fixed_size: 0
    .kernarg_segment_align: 8
    .kernarg_segment_size: 280
    .language:       OpenCL C
    .language_version:
      - 2
      - 0
    .max_flat_workgroup_size: 1024
    .name:           _ZN9rocsolver6v33100L16reset_batch_infoI19rocblas_complex_numIfEiiPS3_EEvT2_lT0_T1_
    .private_segment_fixed_size: 0
    .sgpr_count:     18
    .sgpr_spill_count: 0
    .symbol:         _ZN9rocsolver6v33100L16reset_batch_infoI19rocblas_complex_numIfEiiPS3_EEvT2_lT0_T1_.kd
    .uniform_work_group_size: 1
    .uses_dynamic_stack: false
    .vgpr_count:     4
    .vgpr_spill_count: 0
    .wavefront_size: 32
    .workgroup_processor_mode: 1
  - .args:
      - .address_space:  global
        .offset:         0
        .size:           8
        .value_kind:     global_buffer
      - .offset:         8
        .size:           8
        .value_kind:     by_value
      - .offset:         16
        .size:           8
        .value_kind:     by_value
      - .address_space:  global
        .offset:         24
        .size:           8
        .value_kind:     global_buffer
      - .offset:         32
        .size:           8
        .value_kind:     by_value
      - .offset:         40
        .size:           4
        .value_kind:     by_value
      - .offset:         48
        .size:           8
        .value_kind:     by_value
      - .offset:         56
        .size:           4
        .value_kind:     by_value
      - .offset:         60
        .size:           1
        .value_kind:     by_value
      - .offset:         64
        .size:           4
        .value_kind:     hidden_block_count_x
      - .offset:         68
        .size:           4
        .value_kind:     hidden_block_count_y
      - .offset:         72
        .size:           4
        .value_kind:     hidden_block_count_z
      - .offset:         76
        .size:           2
        .value_kind:     hidden_group_size_x
      - .offset:         78
        .size:           2
        .value_kind:     hidden_group_size_y
      - .offset:         80
        .size:           2
        .value_kind:     hidden_group_size_z
      - .offset:         82
        .size:           2
        .value_kind:     hidden_remainder_x
      - .offset:         84
        .size:           2
        .value_kind:     hidden_remainder_y
      - .offset:         86
        .size:           2
        .value_kind:     hidden_remainder_z
      - .offset:         104
        .size:           8
        .value_kind:     hidden_global_offset_x
      - .offset:         112
        .size:           8
        .value_kind:     hidden_global_offset_y
      - .offset:         120
        .size:           8
        .value_kind:     hidden_global_offset_z
      - .offset:         128
        .size:           2
        .value_kind:     hidden_grid_dims
    .group_segment_fixed_size: 0
    .kernarg_segment_align: 8
    .kernarg_segment_size: 320
    .language:       OpenCL C
    .language_version:
      - 2
      - 0
    .max_flat_workgroup_size: 1024
    .name:           _ZN9rocsolver6v33100L8set_diagI19rocblas_complex_numIfEifPS3_TnNSt9enable_ifIXaa18rocblas_is_complexIT_Ent18rocblas_is_complexIT1_EEiE4typeELi0EEEvPS7_llT2_lT0_lSC_b
    .private_segment_fixed_size: 0
    .sgpr_count:     19
    .sgpr_spill_count: 0
    .symbol:         _ZN9rocsolver6v33100L8set_diagI19rocblas_complex_numIfEifPS3_TnNSt9enable_ifIXaa18rocblas_is_complexIT_Ent18rocblas_is_complexIT1_EEiE4typeELi0EEEvPS7_llT2_lT0_lSC_b.kd
    .uniform_work_group_size: 1
    .uses_dynamic_stack: false
    .vgpr_count:     6
    .vgpr_spill_count: 0
    .wavefront_size: 32
    .workgroup_processor_mode: 1
  - .args:
      - .address_space:  global
        .offset:         0
        .size:           8
        .value_kind:     global_buffer
      - .offset:         8
        .size:           8
        .value_kind:     by_value
      - .address_space:  global
        .offset:         16
        .size:           8
        .value_kind:     global_buffer
      - .address_space:  global
        .offset:         24
        .size:           8
        .value_kind:     global_buffer
      - .offset:         32
        .size:           8
        .value_kind:     by_value
      - .offset:         40
        .size:           8
        .value_kind:     by_value
      - .address_space:  global
        .offset:         48
        .size:           8
        .value_kind:     global_buffer
      - .offset:         56
        .size:           8
        .value_kind:     by_value
      - .offset:         64
        .size:           8
        .value_kind:     by_value
    .group_segment_fixed_size: 0
    .kernarg_segment_align: 8
    .kernarg_segment_size: 72
    .language:       OpenCL C
    .language_version:
      - 2
      - 0
    .max_flat_workgroup_size: 1024
    .name:           _ZN9rocsolver6v33100L11set_taubetaI19rocblas_complex_numIfEifPS3_EEvPT_lS6_T2_llPT1_ll
    .private_segment_fixed_size: 0
    .sgpr_count:     24
    .sgpr_spill_count: 0
    .symbol:         _ZN9rocsolver6v33100L11set_taubetaI19rocblas_complex_numIfEifPS3_EEvPT_lS6_T2_llPT1_ll.kd
    .uniform_work_group_size: 1
    .uses_dynamic_stack: false
    .vgpr_count:     24
    .vgpr_spill_count: 0
    .wavefront_size: 32
    .workgroup_processor_mode: 1
  - .args:
      - .offset:         0
        .size:           4
        .value_kind:     by_value
      - .offset:         4
        .size:           4
        .value_kind:     by_value
      - .address_space:  global
        .offset:         8
        .size:           8
        .value_kind:     global_buffer
      - .offset:         16
        .size:           8
        .value_kind:     by_value
      - .offset:         24
        .size:           4
        .value_kind:     by_value
      - .offset:         32
        .size:           8
        .value_kind:     by_value
      - .offset:         40
        .size:           4
        .value_kind:     hidden_block_count_x
      - .offset:         44
        .size:           4
        .value_kind:     hidden_block_count_y
      - .offset:         48
        .size:           4
        .value_kind:     hidden_block_count_z
      - .offset:         52
        .size:           2
        .value_kind:     hidden_group_size_x
      - .offset:         54
        .size:           2
        .value_kind:     hidden_group_size_y
      - .offset:         56
        .size:           2
        .value_kind:     hidden_group_size_z
      - .offset:         58
        .size:           2
        .value_kind:     hidden_remainder_x
      - .offset:         60
        .size:           2
        .value_kind:     hidden_remainder_y
      - .offset:         62
        .size:           2
        .value_kind:     hidden_remainder_z
      - .offset:         80
        .size:           8
        .value_kind:     hidden_global_offset_x
      - .offset:         88
        .size:           8
        .value_kind:     hidden_global_offset_y
      - .offset:         96
        .size:           8
        .value_kind:     hidden_global_offset_z
      - .offset:         104
        .size:           2
        .value_kind:     hidden_grid_dims
    .group_segment_fixed_size: 0
    .kernarg_segment_align: 8
    .kernarg_segment_size: 296
    .language:       OpenCL C
    .language_version:
      - 2
      - 0
    .max_flat_workgroup_size: 1024
    .name:           _ZN9rocsolver6v33100L13conj_in_placeI19rocblas_complex_numIfEiPS3_TnNSt9enable_ifIX18rocblas_is_complexIT_EEiE4typeELi0EEEvT0_S9_T1_lS9_l
    .private_segment_fixed_size: 0
    .sgpr_count:     18
    .sgpr_spill_count: 0
    .symbol:         _ZN9rocsolver6v33100L13conj_in_placeI19rocblas_complex_numIfEiPS3_TnNSt9enable_ifIX18rocblas_is_complexIT_EEiE4typeELi0EEEvT0_S9_T1_lS9_l.kd
    .uniform_work_group_size: 1
    .uses_dynamic_stack: false
    .vgpr_count:     7
    .vgpr_spill_count: 0
    .wavefront_size: 32
    .workgroup_processor_mode: 1
  - .args:
      - .offset:         0
        .size:           4
        .value_kind:     by_value
      - .offset:         4
        .size:           4
        .value_kind:     by_value
      - .address_space:  global
        .offset:         8
        .size:           8
        .value_kind:     global_buffer
      - .offset:         16
        .size:           8
        .value_kind:     by_value
      - .offset:         24
        .size:           4
        .value_kind:     by_value
      - .offset:         32
        .size:           8
        .value_kind:     by_value
      - .address_space:  global
        .offset:         40
        .size:           8
        .value_kind:     global_buffer
      - .offset:         48
        .size:           8
        .value_kind:     by_value
      - .address_space:  global
        .offset:         56
        .size:           8
        .value_kind:     global_buffer
      - .offset:         64
        .size:           8
        .value_kind:     by_value
      - .offset:         72
        .size:           4
        .value_kind:     by_value
      - .offset:         80
        .size:           8
        .value_kind:     by_value
    .group_segment_fixed_size: 0
    .kernarg_segment_align: 8
    .kernarg_segment_size: 88
    .language:       OpenCL C
    .language_version:
      - 2
      - 0
    .max_flat_workgroup_size: 1024
    .name:           _ZN9rocsolver6v33100L16larf_left_kernelILi1024E19rocblas_complex_numIfEiPS3_EEvT1_S5_T2_lS5_lPKT0_lS6_lS5_l
    .private_segment_fixed_size: 0
    .sgpr_count:     33
    .sgpr_spill_count: 0
    .symbol:         _ZN9rocsolver6v33100L16larf_left_kernelILi1024E19rocblas_complex_numIfEiPS3_EEvT1_S5_T2_lS5_lPKT0_lS6_lS5_l.kd
    .uniform_work_group_size: 1
    .uses_dynamic_stack: false
    .vgpr_count:     17
    .vgpr_spill_count: 0
    .wavefront_size: 32
    .workgroup_processor_mode: 1
  - .args:
      - .offset:         0
        .size:           4
        .value_kind:     by_value
      - .offset:         4
        .size:           4
        .value_kind:     by_value
      - .address_space:  global
        .offset:         8
        .size:           8
        .value_kind:     global_buffer
      - .offset:         16
        .size:           8
        .value_kind:     by_value
      - .offset:         24
        .size:           4
        .value_kind:     by_value
      - .offset:         32
        .size:           8
        .value_kind:     by_value
      - .address_space:  global
        .offset:         40
        .size:           8
        .value_kind:     global_buffer
      - .offset:         48
        .size:           8
        .value_kind:     by_value
      - .address_space:  global
        .offset:         56
        .size:           8
        .value_kind:     global_buffer
      - .offset:         64
        .size:           8
        .value_kind:     by_value
      - .offset:         72
        .size:           4
        .value_kind:     by_value
      - .offset:         80
        .size:           8
        .value_kind:     by_value
    .group_segment_fixed_size: 0
    .kernarg_segment_align: 8
    .kernarg_segment_size: 88
    .language:       OpenCL C
    .language_version:
      - 2
      - 0
    .max_flat_workgroup_size: 1024
    .name:           _ZN9rocsolver6v33100L17larf_right_kernelILi1024E19rocblas_complex_numIfEiPS3_EEvT1_S5_T2_lS5_lPKT0_lS6_lS5_l
    .private_segment_fixed_size: 0
    .sgpr_count:     37
    .sgpr_spill_count: 0
    .symbol:         _ZN9rocsolver6v33100L17larf_right_kernelILi1024E19rocblas_complex_numIfEiPS3_EEvT1_S5_T2_lS5_lPKT0_lS6_lS5_l.kd
    .uniform_work_group_size: 1
    .uses_dynamic_stack: false
    .vgpr_count:     17
    .vgpr_spill_count: 0
    .wavefront_size: 32
    .workgroup_processor_mode: 1
  - .args:
      - .address_space:  global
        .offset:         0
        .size:           8
        .value_kind:     global_buffer
      - .offset:         8
        .size:           8
        .value_kind:     by_value
      - .offset:         16
        .size:           8
        .value_kind:     by_value
      - .address_space:  global
        .offset:         24
        .size:           8
        .value_kind:     global_buffer
      - .offset:         32
        .size:           8
        .value_kind:     by_value
      - .offset:         40
        .size:           4
        .value_kind:     by_value
      - .offset:         48
        .size:           8
        .value_kind:     by_value
      - .offset:         56
        .size:           4
        .value_kind:     by_value
      - .offset:         64
        .size:           4
        .value_kind:     hidden_block_count_x
      - .offset:         68
        .size:           4
        .value_kind:     hidden_block_count_y
      - .offset:         72
        .size:           4
        .value_kind:     hidden_block_count_z
      - .offset:         76
        .size:           2
        .value_kind:     hidden_group_size_x
      - .offset:         78
        .size:           2
        .value_kind:     hidden_group_size_y
      - .offset:         80
        .size:           2
        .value_kind:     hidden_group_size_z
      - .offset:         82
        .size:           2
        .value_kind:     hidden_remainder_x
      - .offset:         84
        .size:           2
        .value_kind:     hidden_remainder_y
      - .offset:         86
        .size:           2
        .value_kind:     hidden_remainder_z
      - .offset:         104
        .size:           8
        .value_kind:     hidden_global_offset_x
      - .offset:         112
        .size:           8
        .value_kind:     hidden_global_offset_y
      - .offset:         120
        .size:           8
        .value_kind:     hidden_global_offset_z
      - .offset:         128
        .size:           2
        .value_kind:     hidden_grid_dims
    .group_segment_fixed_size: 0
    .kernarg_segment_align: 8
    .kernarg_segment_size: 320
    .language:       OpenCL C
    .language_version:
      - 2
      - 0
    .max_flat_workgroup_size: 1024
    .name:           _ZN9rocsolver6v33100L12restore_diagI19rocblas_complex_numIfEifPS3_EEvPT1_llT2_lT0_lS8_
    .private_segment_fixed_size: 0
    .sgpr_count:     19
    .sgpr_spill_count: 0
    .symbol:         _ZN9rocsolver6v33100L12restore_diagI19rocblas_complex_numIfEifPS3_EEvPT1_llT2_lT0_lS8_.kd
    .uniform_work_group_size: 1
    .uses_dynamic_stack: false
    .vgpr_count:     5
    .vgpr_spill_count: 0
    .wavefront_size: 32
    .workgroup_processor_mode: 1
  - .args:
      - .offset:         0
        .size:           4
        .value_kind:     by_value
      - .offset:         4
        .size:           4
        .value_kind:     by_value
      - .address_space:  global
        .offset:         8
        .size:           8
        .value_kind:     global_buffer
      - .offset:         16
        .size:           4
        .value_kind:     by_value
      - .offset:         20
        .size:           4
        .value_kind:     by_value
      - .offset:         24
        .size:           8
        .value_kind:     by_value
      - .address_space:  global
        .offset:         32
        .size:           8
        .value_kind:     global_buffer
      - .offset:         40
        .size:           8
        .value_kind:     by_value
      - .address_space:  global
        .offset:         48
        .size:           8
        .value_kind:     global_buffer
      - .offset:         56
        .size:           4
        .value_kind:     by_value
      - .offset:         64
        .size:           8
        .value_kind:     by_value
      - .offset:         72
        .size:           4
        .value_kind:     by_value
      - .offset:         76
        .size:           4
        .value_kind:     by_value
      - .offset:         80
        .size:           1
        .value_kind:     by_value
      - .offset:         88
        .size:           4
        .value_kind:     hidden_block_count_x
      - .offset:         92
        .size:           4
        .value_kind:     hidden_block_count_y
      - .offset:         96
        .size:           4
        .value_kind:     hidden_block_count_z
      - .offset:         100
        .size:           2
        .value_kind:     hidden_group_size_x
      - .offset:         102
        .size:           2
        .value_kind:     hidden_group_size_y
      - .offset:         104
        .size:           2
        .value_kind:     hidden_group_size_z
      - .offset:         106
        .size:           2
        .value_kind:     hidden_remainder_x
      - .offset:         108
        .size:           2
        .value_kind:     hidden_remainder_y
      - .offset:         110
        .size:           2
        .value_kind:     hidden_remainder_z
      - .offset:         128
        .size:           8
        .value_kind:     hidden_global_offset_x
      - .offset:         136
        .size:           8
        .value_kind:     hidden_global_offset_y
      - .offset:         144
        .size:           8
        .value_kind:     hidden_global_offset_z
      - .offset:         152
        .size:           2
        .value_kind:     hidden_grid_dims
    .group_segment_fixed_size: 0
    .kernarg_segment_align: 8
    .kernarg_segment_size: 344
    .language:       OpenCL C
    .language_version:
      - 2
      - 0
    .max_flat_workgroup_size: 1024
    .name:           _ZN9rocsolver6v33100L14set_triangularI19rocblas_complex_numIfEPS3_TnNSt9enable_ifIX18rocblas_is_complexIT_EEiE4typeELi0EEEviiT0_iilPS6_lSA_il15rocblas_direct_15rocblas_storev_b
    .private_segment_fixed_size: 0
    .sgpr_count:     24
    .sgpr_spill_count: 0
    .symbol:         _ZN9rocsolver6v33100L14set_triangularI19rocblas_complex_numIfEPS3_TnNSt9enable_ifIX18rocblas_is_complexIT_EEiE4typeELi0EEEviiT0_iilPS6_lSA_il15rocblas_direct_15rocblas_storev_b.kd
    .uniform_work_group_size: 1
    .uses_dynamic_stack: false
    .vgpr_count:     16
    .vgpr_spill_count: 0
    .wavefront_size: 32
    .workgroup_processor_mode: 1
  - .args:
      - .offset:         0
        .size:           4
        .value_kind:     by_value
      - .address_space:  global
        .offset:         8
        .size:           8
        .value_kind:     global_buffer
      - .offset:         16
        .size:           8
        .value_kind:     by_value
      - .offset:         24
        .size:           4
        .value_kind:     hidden_block_count_x
      - .offset:         28
        .size:           4
        .value_kind:     hidden_block_count_y
      - .offset:         32
        .size:           4
        .value_kind:     hidden_block_count_z
      - .offset:         36
        .size:           2
        .value_kind:     hidden_group_size_x
      - .offset:         38
        .size:           2
        .value_kind:     hidden_group_size_y
      - .offset:         40
        .size:           2
        .value_kind:     hidden_group_size_z
      - .offset:         42
        .size:           2
        .value_kind:     hidden_remainder_x
      - .offset:         44
        .size:           2
        .value_kind:     hidden_remainder_y
      - .offset:         46
        .size:           2
        .value_kind:     hidden_remainder_z
      - .offset:         64
        .size:           8
        .value_kind:     hidden_global_offset_x
      - .offset:         72
        .size:           8
        .value_kind:     hidden_global_offset_y
      - .offset:         80
        .size:           8
        .value_kind:     hidden_global_offset_z
      - .offset:         88
        .size:           2
        .value_kind:     hidden_grid_dims
    .group_segment_fixed_size: 0
    .kernarg_segment_align: 8
    .kernarg_segment_size: 280
    .language:       OpenCL C
    .language_version:
      - 2
      - 0
    .max_flat_workgroup_size: 1024
    .name:           _ZN9rocsolver6v33100L7set_tauI19rocblas_complex_numIfEEEviPT_l
    .private_segment_fixed_size: 0
    .sgpr_count:     18
    .sgpr_spill_count: 0
    .symbol:         _ZN9rocsolver6v33100L7set_tauI19rocblas_complex_numIfEEEviPT_l.kd
    .uniform_work_group_size: 1
    .uses_dynamic_stack: false
    .vgpr_count:     4
    .vgpr_spill_count: 0
    .wavefront_size: 32
    .workgroup_processor_mode: 1
  - .args:
      - .offset:         0
        .size:           4
        .value_kind:     by_value
      - .offset:         4
        .size:           4
        .value_kind:     by_value
      - .offset:         8
        .size:           4
        .value_kind:     by_value
      - .address_space:  global
        .offset:         16
        .size:           8
        .value_kind:     global_buffer
      - .offset:         24
        .size:           4
        .value_kind:     by_value
      - .offset:         28
        .size:           4
        .value_kind:     by_value
      - .offset:         32
        .size:           8
        .value_kind:     by_value
      - .address_space:  global
        .offset:         40
        .size:           8
        .value_kind:     global_buffer
      - .offset:         48
        .size:           8
        .value_kind:     by_value
      - .address_space:  global
        .offset:         56
        .size:           8
        .value_kind:     global_buffer
      - .offset:         64
        .size:           4
        .value_kind:     by_value
      - .offset:         72
        .size:           8
        .value_kind:     by_value
      - .offset:         80
        .size:           4
        .value_kind:     hidden_block_count_x
      - .offset:         84
        .size:           4
        .value_kind:     hidden_block_count_y
      - .offset:         88
        .size:           4
        .value_kind:     hidden_block_count_z
      - .offset:         92
        .size:           2
        .value_kind:     hidden_group_size_x
      - .offset:         94
        .size:           2
        .value_kind:     hidden_group_size_y
      - .offset:         96
        .size:           2
        .value_kind:     hidden_group_size_z
      - .offset:         98
        .size:           2
        .value_kind:     hidden_remainder_x
      - .offset:         100
        .size:           2
        .value_kind:     hidden_remainder_y
      - .offset:         102
        .size:           2
        .value_kind:     hidden_remainder_z
      - .offset:         120
        .size:           8
        .value_kind:     hidden_global_offset_x
      - .offset:         128
        .size:           8
        .value_kind:     hidden_global_offset_y
      - .offset:         136
        .size:           8
        .value_kind:     hidden_global_offset_z
      - .offset:         144
        .size:           2
        .value_kind:     hidden_grid_dims
      - .offset:         200
        .size:           4
        .value_kind:     hidden_dynamic_lds_size
    .group_segment_fixed_size: 0
    .kernarg_segment_align: 8
    .kernarg_segment_size: 336
    .language:       OpenCL C
    .language_version:
      - 2
      - 0
    .max_flat_workgroup_size: 1024
    .name:           _ZN9rocsolver6v33100L20larft_kernel_forwardI19rocblas_complex_numIfEPS3_EEv15rocblas_storev_iiT0_iilPT_lS8_il
    .private_segment_fixed_size: 0
    .sgpr_count:     46
    .sgpr_spill_count: 0
    .symbol:         _ZN9rocsolver6v33100L20larft_kernel_forwardI19rocblas_complex_numIfEPS3_EEv15rocblas_storev_iiT0_iilPT_lS8_il.kd
    .uniform_work_group_size: 1
    .uses_dynamic_stack: false
    .vgpr_count:     20
    .vgpr_spill_count: 0
    .wavefront_size: 32
    .workgroup_processor_mode: 1
  - .args:
      - .offset:         0
        .size:           4
        .value_kind:     by_value
      - .offset:         4
        .size:           4
        .value_kind:     by_value
      - .offset:         8
        .size:           4
        .value_kind:     by_value
      - .address_space:  global
        .offset:         16
        .size:           8
        .value_kind:     global_buffer
      - .offset:         24
        .size:           4
        .value_kind:     by_value
      - .offset:         28
        .size:           4
        .value_kind:     by_value
      - .offset:         32
        .size:           8
        .value_kind:     by_value
      - .address_space:  global
        .offset:         40
        .size:           8
        .value_kind:     global_buffer
      - .offset:         48
        .size:           8
        .value_kind:     by_value
      - .address_space:  global
        .offset:         56
        .size:           8
        .value_kind:     global_buffer
      - .offset:         64
        .size:           4
        .value_kind:     by_value
      - .offset:         72
        .size:           8
        .value_kind:     by_value
      - .offset:         80
        .size:           4
        .value_kind:     hidden_block_count_x
      - .offset:         84
        .size:           4
        .value_kind:     hidden_block_count_y
      - .offset:         88
        .size:           4
        .value_kind:     hidden_block_count_z
      - .offset:         92
        .size:           2
        .value_kind:     hidden_group_size_x
      - .offset:         94
        .size:           2
        .value_kind:     hidden_group_size_y
      - .offset:         96
        .size:           2
        .value_kind:     hidden_group_size_z
      - .offset:         98
        .size:           2
        .value_kind:     hidden_remainder_x
      - .offset:         100
        .size:           2
        .value_kind:     hidden_remainder_y
      - .offset:         102
        .size:           2
        .value_kind:     hidden_remainder_z
      - .offset:         120
        .size:           8
        .value_kind:     hidden_global_offset_x
      - .offset:         128
        .size:           8
        .value_kind:     hidden_global_offset_y
      - .offset:         136
        .size:           8
        .value_kind:     hidden_global_offset_z
      - .offset:         144
        .size:           2
        .value_kind:     hidden_grid_dims
      - .offset:         200
        .size:           4
        .value_kind:     hidden_dynamic_lds_size
    .group_segment_fixed_size: 0
    .kernarg_segment_align: 8
    .kernarg_segment_size: 336
    .language:       OpenCL C
    .language_version:
      - 2
      - 0
    .max_flat_workgroup_size: 1024
    .name:           _ZN9rocsolver6v33100L21larft_kernel_backwardI19rocblas_complex_numIfEPS3_EEv15rocblas_storev_iiT0_iilPT_lS8_il
    .private_segment_fixed_size: 0
    .sgpr_count:     48
    .sgpr_spill_count: 0
    .symbol:         _ZN9rocsolver6v33100L21larft_kernel_backwardI19rocblas_complex_numIfEPS3_EEv15rocblas_storev_iiT0_iilPT_lS8_il.kd
    .uniform_work_group_size: 1
    .uses_dynamic_stack: false
    .vgpr_count:     17
    .vgpr_spill_count: 0
    .wavefront_size: 32
    .workgroup_processor_mode: 1
  - .args:
      - .offset:         0
        .size:           4
        .value_kind:     by_value
      - .offset:         4
        .size:           4
        .value_kind:     by_value
      - .address_space:  global
        .offset:         8
        .size:           8
        .value_kind:     global_buffer
      - .offset:         16
        .size:           4
        .value_kind:     by_value
      - .offset:         20
        .size:           4
        .value_kind:     by_value
      - .offset:         24
        .size:           8
        .value_kind:     by_value
      - .address_space:  global
        .offset:         32
        .size:           8
        .value_kind:     global_buffer
      - .offset:         40
        .size:           4
        .value_kind:     hidden_block_count_x
      - .offset:         44
        .size:           4
        .value_kind:     hidden_block_count_y
      - .offset:         48
        .size:           4
        .value_kind:     hidden_block_count_z
      - .offset:         52
        .size:           2
        .value_kind:     hidden_group_size_x
      - .offset:         54
        .size:           2
        .value_kind:     hidden_group_size_y
      - .offset:         56
        .size:           2
        .value_kind:     hidden_group_size_z
      - .offset:         58
        .size:           2
        .value_kind:     hidden_remainder_x
      - .offset:         60
        .size:           2
        .value_kind:     hidden_remainder_y
      - .offset:         62
        .size:           2
        .value_kind:     hidden_remainder_z
      - .offset:         80
        .size:           8
        .value_kind:     hidden_global_offset_x
      - .offset:         88
        .size:           8
        .value_kind:     hidden_global_offset_y
      - .offset:         96
        .size:           8
        .value_kind:     hidden_global_offset_z
      - .offset:         104
        .size:           2
        .value_kind:     hidden_grid_dims
    .group_segment_fixed_size: 0
    .kernarg_segment_align: 8
    .kernarg_segment_size: 296
    .language:       OpenCL C
    .language_version:
      - 2
      - 0
    .max_flat_workgroup_size: 1024
    .name:           _ZN9rocsolver6v33100L9copymatA1I19rocblas_complex_numIfEPS3_EEviiT0_iilPT_
    .private_segment_fixed_size: 0
    .sgpr_count:     18
    .sgpr_spill_count: 0
    .symbol:         _ZN9rocsolver6v33100L9copymatA1I19rocblas_complex_numIfEPS3_EEviiT0_iilPT_.kd
    .uniform_work_group_size: 1
    .uses_dynamic_stack: false
    .vgpr_count:     8
    .vgpr_spill_count: 0
    .wavefront_size: 32
    .workgroup_processor_mode: 1
  - .args:
      - .offset:         0
        .size:           4
        .value_kind:     by_value
      - .offset:         4
        .size:           4
        .value_kind:     by_value
      - .address_space:  global
        .offset:         8
        .size:           8
        .value_kind:     global_buffer
      - .offset:         16
        .size:           4
        .value_kind:     by_value
      - .offset:         20
        .size:           4
        .value_kind:     by_value
      - .offset:         24
        .size:           8
        .value_kind:     by_value
      - .address_space:  global
        .offset:         32
        .size:           8
        .value_kind:     global_buffer
      - .offset:         40
        .size:           4
        .value_kind:     hidden_block_count_x
      - .offset:         44
        .size:           4
        .value_kind:     hidden_block_count_y
      - .offset:         48
        .size:           4
        .value_kind:     hidden_block_count_z
      - .offset:         52
        .size:           2
        .value_kind:     hidden_group_size_x
      - .offset:         54
        .size:           2
        .value_kind:     hidden_group_size_y
      - .offset:         56
        .size:           2
        .value_kind:     hidden_group_size_z
      - .offset:         58
        .size:           2
        .value_kind:     hidden_remainder_x
      - .offset:         60
        .size:           2
        .value_kind:     hidden_remainder_y
      - .offset:         62
        .size:           2
        .value_kind:     hidden_remainder_z
      - .offset:         80
        .size:           8
        .value_kind:     hidden_global_offset_x
      - .offset:         88
        .size:           8
        .value_kind:     hidden_global_offset_y
      - .offset:         96
        .size:           8
        .value_kind:     hidden_global_offset_z
      - .offset:         104
        .size:           2
        .value_kind:     hidden_grid_dims
    .group_segment_fixed_size: 0
    .kernarg_segment_align: 8
    .kernarg_segment_size: 296
    .language:       OpenCL C
    .language_version:
      - 2
      - 0
    .max_flat_workgroup_size: 1024
    .name:           _ZN9rocsolver6v33100L8addmatA1I19rocblas_complex_numIfEPS3_EEviiT0_iilPT_
    .private_segment_fixed_size: 0
    .sgpr_count:     18
    .sgpr_spill_count: 0
    .symbol:         _ZN9rocsolver6v33100L8addmatA1I19rocblas_complex_numIfEPS3_EEviiT0_iilPT_.kd
    .uniform_work_group_size: 1
    .uses_dynamic_stack: false
    .vgpr_count:     6
    .vgpr_spill_count: 0
    .wavefront_size: 32
    .workgroup_processor_mode: 1
  - .args:
      - .offset:         0
        .size:           4
        .value_kind:     by_value
      - .address_space:  global
        .offset:         8
        .size:           8
        .value_kind:     global_buffer
      - .offset:         16
        .size:           8
        .value_kind:     by_value
      - .address_space:  global
        .offset:         24
        .size:           8
        .value_kind:     global_buffer
      - .offset:         32
        .size:           4
        .value_kind:     by_value
      - .offset:         40
        .size:           8
        .value_kind:     by_value
      - .address_space:  global
        .offset:         48
        .size:           8
        .value_kind:     global_buffer
      - .offset:         56
        .size:           4
        .value_kind:     by_value
      - .offset:         64
        .size:           8
        .value_kind:     by_value
      - .offset:         72
        .size:           4
        .value_kind:     hidden_block_count_x
      - .offset:         76
        .size:           4
        .value_kind:     hidden_block_count_y
      - .offset:         80
        .size:           4
        .value_kind:     hidden_block_count_z
      - .offset:         84
        .size:           2
        .value_kind:     hidden_group_size_x
      - .offset:         86
        .size:           2
        .value_kind:     hidden_group_size_y
      - .offset:         88
        .size:           2
        .value_kind:     hidden_group_size_z
      - .offset:         90
        .size:           2
        .value_kind:     hidden_remainder_x
      - .offset:         92
        .size:           2
        .value_kind:     hidden_remainder_y
      - .offset:         94
        .size:           2
        .value_kind:     hidden_remainder_z
      - .offset:         112
        .size:           8
        .value_kind:     hidden_global_offset_x
      - .offset:         120
        .size:           8
        .value_kind:     hidden_global_offset_y
      - .offset:         128
        .size:           8
        .value_kind:     hidden_global_offset_z
      - .offset:         136
        .size:           2
        .value_kind:     hidden_grid_dims
    .group_segment_fixed_size: 0
    .kernarg_segment_align: 8
    .kernarg_segment_size: 328
    .language:       OpenCL C
    .language_version:
      - 2
      - 0
    .max_flat_workgroup_size: 1024
    .name:           _ZN9rocsolver6v33100L15gesvdj_finalizeI19rocblas_complex_numIfEfEEviPT0_lPT_ilS7_il
    .private_segment_fixed_size: 0
    .sgpr_count:     24
    .sgpr_spill_count: 0
    .symbol:         _ZN9rocsolver6v33100L15gesvdj_finalizeI19rocblas_complex_numIfEfEEviPT0_lPT_ilS7_il.kd
    .uniform_work_group_size: 1
    .uses_dynamic_stack: false
    .vgpr_count:     6
    .vgpr_spill_count: 0
    .wavefront_size: 32
    .workgroup_processor_mode: 1
  - .args:
      - .offset:         0
        .size:           4
        .value_kind:     by_value
      - .offset:         4
        .size:           4
        .value_kind:     by_value
      - .offset:         8
        .size:           4
        .value_kind:     by_value
      - .address_space:  global
        .offset:         16
        .size:           8
        .value_kind:     global_buffer
      - .offset:         24
        .size:           4
        .value_kind:     by_value
      - .offset:         28
        .size:           4
        .value_kind:     by_value
      - .offset:         32
        .size:           8
        .value_kind:     by_value
      - .offset:         40
        .size:           4
        .value_kind:     hidden_block_count_x
      - .offset:         44
        .size:           4
        .value_kind:     hidden_block_count_y
      - .offset:         48
        .size:           4
        .value_kind:     hidden_block_count_z
      - .offset:         52
        .size:           2
        .value_kind:     hidden_group_size_x
      - .offset:         54
        .size:           2
        .value_kind:     hidden_group_size_y
      - .offset:         56
        .size:           2
        .value_kind:     hidden_group_size_z
      - .offset:         58
        .size:           2
        .value_kind:     hidden_remainder_x
      - .offset:         60
        .size:           2
        .value_kind:     hidden_remainder_y
      - .offset:         62
        .size:           2
        .value_kind:     hidden_remainder_z
      - .offset:         80
        .size:           8
        .value_kind:     hidden_global_offset_x
      - .offset:         88
        .size:           8
        .value_kind:     hidden_global_offset_y
      - .offset:         96
        .size:           8
        .value_kind:     hidden_global_offset_z
      - .offset:         104
        .size:           2
        .value_kind:     hidden_grid_dims
    .group_segment_fixed_size: 0
    .kernarg_segment_align: 8
    .kernarg_segment_size: 296
    .language:       OpenCL C
    .language_version:
      - 2
      - 0
    .max_flat_workgroup_size: 1024
    .name:           _ZN9rocsolver6v33100L16org2r_init_identI19rocblas_complex_numIfEPS3_EEviiiT0_iil
    .private_segment_fixed_size: 0
    .sgpr_count:     18
    .sgpr_spill_count: 0
    .symbol:         _ZN9rocsolver6v33100L16org2r_init_identI19rocblas_complex_numIfEPS3_EEviiiT0_iil.kd
    .uniform_work_group_size: 1
    .uses_dynamic_stack: false
    .vgpr_count:     7
    .vgpr_spill_count: 0
    .wavefront_size: 32
    .workgroup_processor_mode: 1
  - .args:
      - .offset:         0
        .size:           4
        .value_kind:     by_value
      - .offset:         4
        .size:           4
        .value_kind:     by_value
      - .address_space:  global
        .offset:         8
        .size:           8
        .value_kind:     global_buffer
      - .offset:         16
        .size:           4
        .value_kind:     by_value
      - .offset:         20
        .size:           4
        .value_kind:     by_value
      - .offset:         24
        .size:           8
        .value_kind:     by_value
      - .address_space:  global
        .offset:         32
        .size:           8
        .value_kind:     global_buffer
      - .offset:         40
        .size:           8
        .value_kind:     by_value
    .group_segment_fixed_size: 0
    .kernarg_segment_align: 8
    .kernarg_segment_size: 48
    .language:       OpenCL C
    .language_version:
      - 2
      - 0
    .max_flat_workgroup_size: 1024
    .name:           _ZN9rocsolver6v33100L12subtract_tauI19rocblas_complex_numIfEPS3_EEviiT0_iilPT_l
    .private_segment_fixed_size: 0
    .sgpr_count:     16
    .sgpr_spill_count: 0
    .symbol:         _ZN9rocsolver6v33100L12subtract_tauI19rocblas_complex_numIfEPS3_EEviiT0_iilPT_l.kd
    .uniform_work_group_size: 1
    .uses_dynamic_stack: false
    .vgpr_count:     3
    .vgpr_spill_count: 0
    .wavefront_size: 32
    .workgroup_processor_mode: 1
  - .args:
      - .offset:         0
        .size:           4
        .value_kind:     by_value
      - .address_space:  global
        .offset:         8
        .size:           8
        .value_kind:     global_buffer
      - .offset:         16
        .size:           8
        .value_kind:     by_value
      - .offset:         24
        .size:           4
        .value_kind:     hidden_block_count_x
      - .offset:         28
        .size:           4
        .value_kind:     hidden_block_count_y
      - .offset:         32
        .size:           4
        .value_kind:     hidden_block_count_z
      - .offset:         36
        .size:           2
        .value_kind:     hidden_group_size_x
      - .offset:         38
        .size:           2
        .value_kind:     hidden_group_size_y
      - .offset:         40
        .size:           2
        .value_kind:     hidden_group_size_z
      - .offset:         42
        .size:           2
        .value_kind:     hidden_remainder_x
      - .offset:         44
        .size:           2
        .value_kind:     hidden_remainder_y
      - .offset:         46
        .size:           2
        .value_kind:     hidden_remainder_z
      - .offset:         64
        .size:           8
        .value_kind:     hidden_global_offset_x
      - .offset:         72
        .size:           8
        .value_kind:     hidden_global_offset_y
      - .offset:         80
        .size:           8
        .value_kind:     hidden_global_offset_z
      - .offset:         88
        .size:           2
        .value_kind:     hidden_grid_dims
    .group_segment_fixed_size: 0
    .kernarg_segment_align: 8
    .kernarg_segment_size: 280
    .language:       OpenCL C
    .language_version:
      - 2
      - 0
    .max_flat_workgroup_size: 1024
    .name:           _ZN9rocsolver6v33100L6restauI19rocblas_complex_numIfEEEviPT_l
    .private_segment_fixed_size: 0
    .sgpr_count:     18
    .sgpr_spill_count: 0
    .symbol:         _ZN9rocsolver6v33100L6restauI19rocblas_complex_numIfEEEviPT_l.kd
    .uniform_work_group_size: 1
    .uses_dynamic_stack: false
    .vgpr_count:     4
    .vgpr_spill_count: 0
    .wavefront_size: 32
    .workgroup_processor_mode: 1
  - .args:
      - .offset:         0
        .size:           4
        .value_kind:     by_value
      - .offset:         4
        .size:           4
        .value_kind:     by_value
      - .address_space:  global
        .offset:         8
        .size:           8
        .value_kind:     global_buffer
      - .offset:         16
        .size:           4
        .value_kind:     by_value
      - .offset:         20
        .size:           4
        .value_kind:     by_value
      - .offset:         24
        .size:           8
        .value_kind:     by_value
      - .offset:         32
        .size:           4
        .value_kind:     by_value
      - .offset:         40
        .size:           4
        .value_kind:     hidden_block_count_x
      - .offset:         44
        .size:           4
        .value_kind:     hidden_block_count_y
      - .offset:         48
        .size:           4
        .value_kind:     hidden_block_count_z
      - .offset:         52
        .size:           2
        .value_kind:     hidden_group_size_x
      - .offset:         54
        .size:           2
        .value_kind:     hidden_group_size_y
      - .offset:         56
        .size:           2
        .value_kind:     hidden_group_size_z
      - .offset:         58
        .size:           2
        .value_kind:     hidden_remainder_x
      - .offset:         60
        .size:           2
        .value_kind:     hidden_remainder_y
      - .offset:         62
        .size:           2
        .value_kind:     hidden_remainder_z
      - .offset:         80
        .size:           8
        .value_kind:     hidden_global_offset_x
      - .offset:         88
        .size:           8
        .value_kind:     hidden_global_offset_y
      - .offset:         96
        .size:           8
        .value_kind:     hidden_global_offset_z
      - .offset:         104
        .size:           2
        .value_kind:     hidden_grid_dims
    .group_segment_fixed_size: 0
    .kernarg_segment_align: 8
    .kernarg_segment_size: 296
    .language:       OpenCL C
    .language_version:
      - 2
      - 0
    .max_flat_workgroup_size: 1024
    .name:           _ZN9rocsolver6v33100L8set_zeroI19rocblas_complex_numIfEPS3_EEviiT0_iil13rocblas_fill_
    .private_segment_fixed_size: 0
    .sgpr_count:     18
    .sgpr_spill_count: 0
    .symbol:         _ZN9rocsolver6v33100L8set_zeroI19rocblas_complex_numIfEPS3_EEviiT0_iil13rocblas_fill_.kd
    .uniform_work_group_size: 1
    .uses_dynamic_stack: false
    .vgpr_count:     5
    .vgpr_spill_count: 0
    .wavefront_size: 32
    .workgroup_processor_mode: 1
  - .args:
      - .address_space:  global
        .offset:         0
        .size:           8
        .value_kind:     global_buffer
      - .offset:         8
        .size:           4
        .value_kind:     by_value
      - .offset:         16
        .size:           16
        .value_kind:     by_value
    .group_segment_fixed_size: 0
    .kernarg_segment_align: 8
    .kernarg_segment_size: 32
    .language:       OpenCL C
    .language_version:
      - 2
      - 0
    .max_flat_workgroup_size: 32
    .name:           _ZN9rocsolver6v33100L6iota_nI19rocblas_complex_numIdEEEvPT_jS4_
    .private_segment_fixed_size: 0
    .sgpr_count:     10
    .sgpr_spill_count: 0
    .symbol:         _ZN9rocsolver6v33100L6iota_nI19rocblas_complex_numIdEEEvPT_jS4_.kd
    .uniform_work_group_size: 1
    .uses_dynamic_stack: false
    .vgpr_count:     5
    .vgpr_spill_count: 0
    .wavefront_size: 32
    .workgroup_processor_mode: 1
  - .args:
      - .offset:         0
        .size:           4
        .value_kind:     by_value
      - .address_space:  global
        .offset:         8
        .size:           8
        .value_kind:     global_buffer
      - .offset:         16
        .size:           8
        .value_kind:     by_value
      - .address_space:  global
        .offset:         24
        .size:           8
        .value_kind:     global_buffer
      - .offset:         32
        .size:           8
        .value_kind:     by_value
      - .offset:         40
        .size:           4
        .value_kind:     by_value
      - .offset:         48
        .size:           4
        .value_kind:     hidden_block_count_x
      - .offset:         52
        .size:           4
        .value_kind:     hidden_block_count_y
      - .offset:         56
        .size:           4
        .value_kind:     hidden_block_count_z
      - .offset:         60
        .size:           2
        .value_kind:     hidden_group_size_x
      - .offset:         62
        .size:           2
        .value_kind:     hidden_group_size_y
      - .offset:         64
        .size:           2
        .value_kind:     hidden_group_size_z
      - .offset:         66
        .size:           2
        .value_kind:     hidden_remainder_x
      - .offset:         68
        .size:           2
        .value_kind:     hidden_remainder_y
      - .offset:         70
        .size:           2
        .value_kind:     hidden_remainder_z
      - .offset:         88
        .size:           8
        .value_kind:     hidden_global_offset_x
      - .offset:         96
        .size:           8
        .value_kind:     hidden_global_offset_y
      - .offset:         104
        .size:           8
        .value_kind:     hidden_global_offset_z
      - .offset:         112
        .size:           2
        .value_kind:     hidden_grid_dims
    .group_segment_fixed_size: 0
    .kernarg_segment_align: 8
    .kernarg_segment_size: 304
    .language:       OpenCL C
    .language_version:
      - 2
      - 0
    .max_flat_workgroup_size: 1024
    .name:           _ZN9rocsolver6v33100L16syev_scalar_caseI19rocblas_complex_numIdEdPS3_TnNSt9enable_ifIX18rocblas_is_complexIT_EEiE4typeELi0EEEv14rocblas_evect_T1_lPT0_li
    .private_segment_fixed_size: 0
    .sgpr_count:     18
    .sgpr_spill_count: 0
    .symbol:         _ZN9rocsolver6v33100L16syev_scalar_caseI19rocblas_complex_numIdEdPS3_TnNSt9enable_ifIX18rocblas_is_complexIT_EEiE4typeELi0EEEv14rocblas_evect_T1_lPT0_li.kd
    .uniform_work_group_size: 1
    .uses_dynamic_stack: false
    .vgpr_count:     9
    .vgpr_spill_count: 0
    .wavefront_size: 32
    .workgroup_processor_mode: 1
  - .args:
      - .offset:         0
        .size:           4
        .value_kind:     by_value
      - .offset:         4
        .size:           4
        .value_kind:     by_value
      - .offset:         8
        .size:           4
        .value_kind:     by_value
      - .offset:         12
        .size:           4
        .value_kind:     by_value
      - .address_space:  global
        .offset:         16
        .size:           8
        .value_kind:     global_buffer
      - .offset:         24
        .size:           4
        .value_kind:     by_value
      - .offset:         28
        .size:           4
        .value_kind:     by_value
      - .offset:         32
        .size:           8
        .value_kind:     by_value
      - .offset:         40
        .size:           8
        .value_kind:     by_value
      - .offset:         48
        .size:           8
        .value_kind:     by_value
      - .address_space:  global
        .offset:         56
        .size:           8
        .value_kind:     global_buffer
      - .offset:         64
        .size:           4
        .value_kind:     by_value
      - .address_space:  global
        .offset:         72
        .size:           8
        .value_kind:     global_buffer
      - .address_space:  global
        .offset:         80
        .size:           8
        .value_kind:     global_buffer
      - .offset:         88
        .size:           8
        .value_kind:     by_value
      - .address_space:  global
        .offset:         96
        .size:           8
        .value_kind:     global_buffer
      - .address_space:  global
        .offset:         104
        .size:           8
        .value_kind:     global_buffer
    .group_segment_fixed_size: 0
    .kernarg_segment_align: 8
    .kernarg_segment_size: 112
    .language:       OpenCL C
    .language_version:
      - 2
      - 0
    .max_flat_workgroup_size: 1024
    .name:           _ZN9rocsolver6v33100L18syevj_small_kernelI19rocblas_complex_numIdEdPS3_EEv14rocblas_esort_14rocblas_evect_13rocblas_fill_iT1_iilT0_S9_PS9_iPiSA_lSB_PT_
    .private_segment_fixed_size: 24
    .sgpr_count:     69
    .sgpr_spill_count: 0
    .symbol:         _ZN9rocsolver6v33100L18syevj_small_kernelI19rocblas_complex_numIdEdPS3_EEv14rocblas_esort_14rocblas_evect_13rocblas_fill_iT1_iilT0_S9_PS9_iPiSA_lSB_PT_.kd
    .uniform_work_group_size: 1
    .uses_dynamic_stack: false
    .vgpr_count:     54
    .vgpr_spill_count: 0
    .wavefront_size: 32
    .workgroup_processor_mode: 1
  - .args:
      - .offset:         0
        .size:           4
        .value_kind:     by_value
      - .offset:         4
        .size:           4
        .value_kind:     by_value
      - .offset:         8
        .size:           4
        .value_kind:     by_value
      - .offset:         12
        .size:           4
        .value_kind:     by_value
      - .address_space:  global
        .offset:         16
        .size:           8
        .value_kind:     global_buffer
      - .offset:         24
        .size:           4
        .value_kind:     by_value
      - .offset:         28
        .size:           4
        .value_kind:     by_value
      - .offset:         32
        .size:           8
        .value_kind:     by_value
      - .offset:         40
        .size:           8
        .value_kind:     by_value
      - .address_space:  global
        .offset:         48
        .size:           8
        .value_kind:     global_buffer
      - .address_space:  global
        .offset:         56
        .size:           8
        .value_kind:     global_buffer
      - .address_space:  global
        .offset:         64
        .size:           8
        .value_kind:     global_buffer
      - .address_space:  global
        .offset:         72
        .size:           8
        .value_kind:     global_buffer
      - .address_space:  global
        .offset:         80
        .size:           8
        .value_kind:     global_buffer
      - .address_space:  global
        .offset:         88
        .size:           8
        .value_kind:     global_buffer
      - .offset:         96
        .size:           4
        .value_kind:     hidden_block_count_x
      - .offset:         100
        .size:           4
        .value_kind:     hidden_block_count_y
      - .offset:         104
        .size:           4
        .value_kind:     hidden_block_count_z
      - .offset:         108
        .size:           2
        .value_kind:     hidden_group_size_x
      - .offset:         110
        .size:           2
        .value_kind:     hidden_group_size_y
      - .offset:         112
        .size:           2
        .value_kind:     hidden_group_size_z
      - .offset:         114
        .size:           2
        .value_kind:     hidden_remainder_x
      - .offset:         116
        .size:           2
        .value_kind:     hidden_remainder_y
      - .offset:         118
        .size:           2
        .value_kind:     hidden_remainder_z
      - .offset:         136
        .size:           8
        .value_kind:     hidden_global_offset_x
      - .offset:         144
        .size:           8
        .value_kind:     hidden_global_offset_y
      - .offset:         152
        .size:           8
        .value_kind:     hidden_global_offset_z
      - .offset:         160
        .size:           2
        .value_kind:     hidden_grid_dims
      - .offset:         216
        .size:           4
        .value_kind:     hidden_dynamic_lds_size
    .group_segment_fixed_size: 0
    .kernarg_segment_align: 8
    .kernarg_segment_size: 352
    .language:       OpenCL C
    .language_version:
      - 2
      - 0
    .max_flat_workgroup_size: 1024
    .name:           _ZN9rocsolver6v33100L10syevj_initI19rocblas_complex_numIdEdPS3_EEv14rocblas_evect_13rocblas_fill_iiT1_iilT0_PS8_PT_S9_PiSC_SC_
    .private_segment_fixed_size: 0
    .sgpr_count:     52
    .sgpr_spill_count: 0
    .symbol:         _ZN9rocsolver6v33100L10syevj_initI19rocblas_complex_numIdEdPS3_EEv14rocblas_evect_13rocblas_fill_iiT1_iilT0_PS8_PT_S9_PiSC_SC_.kd
    .uniform_work_group_size: 1
    .uses_dynamic_stack: false
    .vgpr_count:     35
    .vgpr_spill_count: 0
    .wavefront_size: 32
    .workgroup_processor_mode: 1
  - .args:
      - .offset:         0
        .size:           4
        .value_kind:     by_value
      - .address_space:  global
        .offset:         8
        .size:           8
        .value_kind:     global_buffer
      - .offset:         16
        .size:           4
        .value_kind:     by_value
      - .offset:         20
        .size:           4
        .value_kind:     by_value
      - .offset:         24
        .size:           8
        .value_kind:     by_value
      - .offset:         32
        .size:           8
        .value_kind:     by_value
      - .address_space:  global
        .offset:         40
        .size:           8
        .value_kind:     global_buffer
      - .address_space:  global
        .offset:         48
        .size:           8
        .value_kind:     global_buffer
      - .offset:         56
        .size:           4
        .value_kind:     hidden_block_count_x
      - .offset:         60
        .size:           4
        .value_kind:     hidden_block_count_y
      - .offset:         64
        .size:           4
        .value_kind:     hidden_block_count_z
      - .offset:         68
        .size:           2
        .value_kind:     hidden_group_size_x
      - .offset:         70
        .size:           2
        .value_kind:     hidden_group_size_y
      - .offset:         72
        .size:           2
        .value_kind:     hidden_group_size_z
      - .offset:         74
        .size:           2
        .value_kind:     hidden_remainder_x
      - .offset:         76
        .size:           2
        .value_kind:     hidden_remainder_y
      - .offset:         78
        .size:           2
        .value_kind:     hidden_remainder_z
      - .offset:         96
        .size:           8
        .value_kind:     hidden_global_offset_x
      - .offset:         104
        .size:           8
        .value_kind:     hidden_global_offset_y
      - .offset:         112
        .size:           8
        .value_kind:     hidden_global_offset_z
      - .offset:         120
        .size:           2
        .value_kind:     hidden_grid_dims
      - .offset:         176
        .size:           4
        .value_kind:     hidden_dynamic_lds_size
    .group_segment_fixed_size: 0
    .kernarg_segment_align: 8
    .kernarg_segment_size: 312
    .language:       OpenCL C
    .language_version:
      - 2
      - 0
    .max_flat_workgroup_size: 1024
    .name:           _ZN9rocsolver6v33100L17syevj_diag_kernelI19rocblas_complex_numIdEdPS3_EEviT1_iilT0_PT_Pi
    .private_segment_fixed_size: 0
    .sgpr_count:     25
    .sgpr_spill_count: 0
    .symbol:         _ZN9rocsolver6v33100L17syevj_diag_kernelI19rocblas_complex_numIdEdPS3_EEviT1_iilT0_PT_Pi.kd
    .uniform_work_group_size: 1
    .uses_dynamic_stack: false
    .vgpr_count:     46
    .vgpr_spill_count: 0
    .wavefront_size: 32
    .workgroup_processor_mode: 1
  - .args:
      - .offset:         0
        .size:           1
        .value_kind:     by_value
      - .offset:         4
        .size:           4
        .value_kind:     by_value
      - .address_space:  global
        .offset:         8
        .size:           8
        .value_kind:     global_buffer
      - .offset:         16
        .size:           4
        .value_kind:     by_value
      - .offset:         20
        .size:           4
        .value_kind:     by_value
      - .offset:         24
        .size:           8
        .value_kind:     by_value
      - .address_space:  global
        .offset:         32
        .size:           8
        .value_kind:     global_buffer
      - .address_space:  global
        .offset:         40
        .size:           8
        .value_kind:     global_buffer
      - .offset:         48
        .size:           4
        .value_kind:     hidden_block_count_x
      - .offset:         52
        .size:           4
        .value_kind:     hidden_block_count_y
      - .offset:         56
        .size:           4
        .value_kind:     hidden_block_count_z
      - .offset:         60
        .size:           2
        .value_kind:     hidden_group_size_x
      - .offset:         62
        .size:           2
        .value_kind:     hidden_group_size_y
      - .offset:         64
        .size:           2
        .value_kind:     hidden_group_size_z
      - .offset:         66
        .size:           2
        .value_kind:     hidden_remainder_x
      - .offset:         68
        .size:           2
        .value_kind:     hidden_remainder_y
      - .offset:         70
        .size:           2
        .value_kind:     hidden_remainder_z
      - .offset:         88
        .size:           8
        .value_kind:     hidden_global_offset_x
      - .offset:         96
        .size:           8
        .value_kind:     hidden_global_offset_y
      - .offset:         104
        .size:           8
        .value_kind:     hidden_global_offset_z
      - .offset:         112
        .size:           2
        .value_kind:     hidden_grid_dims
    .group_segment_fixed_size: 0
    .kernarg_segment_align: 8
    .kernarg_segment_size: 304
    .language:       OpenCL C
    .language_version:
      - 2
      - 0
    .max_flat_workgroup_size: 1024
    .name:           _ZN9rocsolver6v33100L21syevj_diag_rotate_orgILb0E19rocblas_complex_numIdEdPS3_EEvbiT2_iilPT0_Pi
    .private_segment_fixed_size: 0
    .sgpr_count:     20
    .sgpr_spill_count: 0
    .symbol:         _ZN9rocsolver6v33100L21syevj_diag_rotate_orgILb0E19rocblas_complex_numIdEdPS3_EEvbiT2_iilPT0_Pi.kd
    .uniform_work_group_size: 1
    .uses_dynamic_stack: false
    .vgpr_count:     20
    .vgpr_spill_count: 0
    .wavefront_size: 32
    .workgroup_processor_mode: 1
  - .args:
      - .offset:         0
        .size:           1
        .value_kind:     by_value
      - .offset:         4
        .size:           4
        .value_kind:     by_value
      - .address_space:  global
        .offset:         8
        .size:           8
        .value_kind:     global_buffer
      - .offset:         16
        .size:           4
        .value_kind:     by_value
      - .offset:         20
        .size:           4
        .value_kind:     by_value
      - .offset:         24
        .size:           8
        .value_kind:     by_value
      - .address_space:  global
        .offset:         32
        .size:           8
        .value_kind:     global_buffer
      - .address_space:  global
        .offset:         40
        .size:           8
        .value_kind:     global_buffer
      - .offset:         48
        .size:           4
        .value_kind:     hidden_block_count_x
      - .offset:         52
        .size:           4
        .value_kind:     hidden_block_count_y
      - .offset:         56
        .size:           4
        .value_kind:     hidden_block_count_z
      - .offset:         60
        .size:           2
        .value_kind:     hidden_group_size_x
      - .offset:         62
        .size:           2
        .value_kind:     hidden_group_size_y
      - .offset:         64
        .size:           2
        .value_kind:     hidden_group_size_z
      - .offset:         66
        .size:           2
        .value_kind:     hidden_remainder_x
      - .offset:         68
        .size:           2
        .value_kind:     hidden_remainder_y
      - .offset:         70
        .size:           2
        .value_kind:     hidden_remainder_z
      - .offset:         88
        .size:           8
        .value_kind:     hidden_global_offset_x
      - .offset:         96
        .size:           8
        .value_kind:     hidden_global_offset_y
      - .offset:         104
        .size:           8
        .value_kind:     hidden_global_offset_z
      - .offset:         112
        .size:           2
        .value_kind:     hidden_grid_dims
    .group_segment_fixed_size: 0
    .kernarg_segment_align: 8
    .kernarg_segment_size: 304
    .language:       OpenCL C
    .language_version:
      - 2
      - 0
    .max_flat_workgroup_size: 1024
    .name:           _ZN9rocsolver6v33100L21syevj_diag_rotate_orgILb1E19rocblas_complex_numIdEdPS3_EEvbiT2_iilPT0_Pi
    .private_segment_fixed_size: 0
    .sgpr_count:     20
    .sgpr_spill_count: 0
    .symbol:         _ZN9rocsolver6v33100L21syevj_diag_rotate_orgILb1E19rocblas_complex_numIdEdPS3_EEvbiT2_iilPT0_Pi.kd
    .uniform_work_group_size: 1
    .uses_dynamic_stack: false
    .vgpr_count:     20
    .vgpr_spill_count: 0
    .wavefront_size: 32
    .workgroup_processor_mode: 1
  - .args:
      - .offset:         0
        .size:           1
        .value_kind:     by_value
      - .offset:         4
        .size:           4
        .value_kind:     by_value
      - .offset:         8
        .size:           4
        .value_kind:     by_value
      - .address_space:  global
        .offset:         16
        .size:           8
        .value_kind:     global_buffer
      - .offset:         24
        .size:           4
        .value_kind:     by_value
      - .offset:         28
        .size:           4
        .value_kind:     by_value
      - .offset:         32
        .size:           8
        .value_kind:     by_value
      - .address_space:  global
        .offset:         40
        .size:           8
        .value_kind:     global_buffer
      - .address_space:  global
        .offset:         48
        .size:           8
        .value_kind:     global_buffer
      - .offset:         56
        .size:           4
        .value_kind:     by_value
      - .offset:         64
        .size:           4
        .value_kind:     hidden_block_count_x
      - .offset:         68
        .size:           4
        .value_kind:     hidden_block_count_y
      - .offset:         72
        .size:           4
        .value_kind:     hidden_block_count_z
      - .offset:         76
        .size:           2
        .value_kind:     hidden_group_size_x
      - .offset:         78
        .size:           2
        .value_kind:     hidden_group_size_y
      - .offset:         80
        .size:           2
        .value_kind:     hidden_group_size_z
      - .offset:         82
        .size:           2
        .value_kind:     hidden_remainder_x
      - .offset:         84
        .size:           2
        .value_kind:     hidden_remainder_y
      - .offset:         86
        .size:           2
        .value_kind:     hidden_remainder_z
      - .offset:         104
        .size:           8
        .value_kind:     hidden_global_offset_x
      - .offset:         112
        .size:           8
        .value_kind:     hidden_global_offset_y
      - .offset:         120
        .size:           8
        .value_kind:     hidden_global_offset_z
      - .offset:         128
        .size:           2
        .value_kind:     hidden_grid_dims
      - .offset:         144
        .size:           8
        .value_kind:     hidden_hostcall_buffer
      - .offset:         184
        .size:           4
        .value_kind:     hidden_dynamic_lds_size
    .group_segment_fixed_size: 0
    .kernarg_segment_align: 8
    .kernarg_segment_size: 320
    .language:       OpenCL C
    .language_version:
      - 2
      - 0
    .max_flat_workgroup_size: 1024
    .name:           _ZN9rocsolver6v33100L17syevj_diag_rotateILb0E19rocblas_complex_numIdEdPS3_EEvbiiT2_iilPT0_Pii
    .private_segment_fixed_size: 64
    .sgpr_count:     62
    .sgpr_spill_count: 0
    .symbol:         _ZN9rocsolver6v33100L17syevj_diag_rotateILb0E19rocblas_complex_numIdEdPS3_EEvbiiT2_iilPT0_Pii.kd
    .uniform_work_group_size: 1
    .uses_dynamic_stack: false
    .vgpr_count:     42
    .vgpr_spill_count: 0
    .wavefront_size: 32
    .workgroup_processor_mode: 1
  - .args:
      - .offset:         0
        .size:           1
        .value_kind:     by_value
      - .offset:         4
        .size:           4
        .value_kind:     by_value
      - .offset:         8
        .size:           4
        .value_kind:     by_value
      - .address_space:  global
        .offset:         16
        .size:           8
        .value_kind:     global_buffer
      - .offset:         24
        .size:           4
        .value_kind:     by_value
      - .offset:         28
        .size:           4
        .value_kind:     by_value
      - .offset:         32
        .size:           8
        .value_kind:     by_value
      - .address_space:  global
        .offset:         40
        .size:           8
        .value_kind:     global_buffer
      - .address_space:  global
        .offset:         48
        .size:           8
        .value_kind:     global_buffer
      - .offset:         56
        .size:           4
        .value_kind:     by_value
      - .offset:         64
        .size:           4
        .value_kind:     hidden_block_count_x
      - .offset:         68
        .size:           4
        .value_kind:     hidden_block_count_y
      - .offset:         72
        .size:           4
        .value_kind:     hidden_block_count_z
      - .offset:         76
        .size:           2
        .value_kind:     hidden_group_size_x
      - .offset:         78
        .size:           2
        .value_kind:     hidden_group_size_y
      - .offset:         80
        .size:           2
        .value_kind:     hidden_group_size_z
      - .offset:         82
        .size:           2
        .value_kind:     hidden_remainder_x
      - .offset:         84
        .size:           2
        .value_kind:     hidden_remainder_y
      - .offset:         86
        .size:           2
        .value_kind:     hidden_remainder_z
      - .offset:         104
        .size:           8
        .value_kind:     hidden_global_offset_x
      - .offset:         112
        .size:           8
        .value_kind:     hidden_global_offset_y
      - .offset:         120
        .size:           8
        .value_kind:     hidden_global_offset_z
      - .offset:         128
        .size:           2
        .value_kind:     hidden_grid_dims
      - .offset:         144
        .size:           8
        .value_kind:     hidden_hostcall_buffer
      - .offset:         184
        .size:           4
        .value_kind:     hidden_dynamic_lds_size
    .group_segment_fixed_size: 0
    .kernarg_segment_align: 8
    .kernarg_segment_size: 320
    .language:       OpenCL C
    .language_version:
      - 2
      - 0
    .max_flat_workgroup_size: 1024
    .name:           _ZN9rocsolver6v33100L17syevj_diag_rotateILb1E19rocblas_complex_numIdEdPS3_EEvbiiT2_iilPT0_Pii
    .private_segment_fixed_size: 64
    .sgpr_count:     60
    .sgpr_spill_count: 0
    .symbol:         _ZN9rocsolver6v33100L17syevj_diag_rotateILb1E19rocblas_complex_numIdEdPS3_EEvbiiT2_iilPT0_Pii.kd
    .uniform_work_group_size: 1
    .uses_dynamic_stack: false
    .vgpr_count:     42
    .vgpr_spill_count: 0
    .wavefront_size: 32
    .workgroup_processor_mode: 1
  - .args:
      - .offset:         0
        .size:           4
        .value_kind:     by_value
      - .offset:         4
        .size:           4
        .value_kind:     by_value
      - .address_space:  global
        .offset:         8
        .size:           8
        .value_kind:     global_buffer
      - .offset:         16
        .size:           4
        .value_kind:     by_value
      - .offset:         20
        .size:           4
        .value_kind:     by_value
      - .offset:         24
        .size:           8
        .value_kind:     by_value
      - .offset:         32
        .size:           8
        .value_kind:     by_value
      - .address_space:  global
        .offset:         40
        .size:           8
        .value_kind:     global_buffer
      - .address_space:  global
        .offset:         48
        .size:           8
        .value_kind:     global_buffer
      - .address_space:  global
        .offset:         56
        .size:           8
        .value_kind:     global_buffer
      - .address_space:  global
        .offset:         64
        .size:           8
        .value_kind:     global_buffer
      - .offset:         72
        .size:           4
        .value_kind:     hidden_block_count_x
      - .offset:         76
        .size:           4
        .value_kind:     hidden_block_count_y
      - .offset:         80
        .size:           4
        .value_kind:     hidden_block_count_z
      - .offset:         84
        .size:           2
        .value_kind:     hidden_group_size_x
      - .offset:         86
        .size:           2
        .value_kind:     hidden_group_size_y
      - .offset:         88
        .size:           2
        .value_kind:     hidden_group_size_z
      - .offset:         90
        .size:           2
        .value_kind:     hidden_remainder_x
      - .offset:         92
        .size:           2
        .value_kind:     hidden_remainder_y
      - .offset:         94
        .size:           2
        .value_kind:     hidden_remainder_z
      - .offset:         112
        .size:           8
        .value_kind:     hidden_global_offset_x
      - .offset:         120
        .size:           8
        .value_kind:     hidden_global_offset_y
      - .offset:         128
        .size:           8
        .value_kind:     hidden_global_offset_z
      - .offset:         136
        .size:           2
        .value_kind:     hidden_grid_dims
      - .offset:         192
        .size:           4
        .value_kind:     hidden_dynamic_lds_size
    .group_segment_fixed_size: 0
    .kernarg_segment_align: 8
    .kernarg_segment_size: 328
    .language:       OpenCL C
    .language_version:
      - 2
      - 0
    .max_flat_workgroup_size: 1024
    .name:           _ZN9rocsolver6v33100L21syevj_offd_kernel_orgI19rocblas_complex_numIdEdPS3_EEviiT1_iilT0_PT_PiS9_S9_
    .private_segment_fixed_size: 0
    .sgpr_count:     26
    .sgpr_spill_count: 0
    .symbol:         _ZN9rocsolver6v33100L21syevj_offd_kernel_orgI19rocblas_complex_numIdEdPS3_EEviiT1_iilT0_PT_PiS9_S9_.kd
    .uniform_work_group_size: 1
    .uses_dynamic_stack: false
    .vgpr_count:     61
    .vgpr_spill_count: 0
    .wavefront_size: 32
    .workgroup_processor_mode: 1
  - .args:
      - .offset:         0
        .size:           4
        .value_kind:     by_value
      - .offset:         4
        .size:           4
        .value_kind:     by_value
      - .address_space:  global
        .offset:         8
        .size:           8
        .value_kind:     global_buffer
      - .offset:         16
        .size:           4
        .value_kind:     by_value
      - .offset:         20
        .size:           4
        .value_kind:     by_value
      - .offset:         24
        .size:           8
        .value_kind:     by_value
      - .offset:         32
        .size:           8
        .value_kind:     by_value
      - .address_space:  global
        .offset:         40
        .size:           8
        .value_kind:     global_buffer
      - .address_space:  global
        .offset:         48
        .size:           8
        .value_kind:     global_buffer
      - .address_space:  global
        .offset:         56
        .size:           8
        .value_kind:     global_buffer
      - .address_space:  global
        .offset:         64
        .size:           8
        .value_kind:     global_buffer
      - .offset:         72
        .size:           4
        .value_kind:     by_value
      - .offset:         80
        .size:           4
        .value_kind:     hidden_block_count_x
      - .offset:         84
        .size:           4
        .value_kind:     hidden_block_count_y
      - .offset:         88
        .size:           4
        .value_kind:     hidden_block_count_z
      - .offset:         92
        .size:           2
        .value_kind:     hidden_group_size_x
      - .offset:         94
        .size:           2
        .value_kind:     hidden_group_size_y
      - .offset:         96
        .size:           2
        .value_kind:     hidden_group_size_z
      - .offset:         98
        .size:           2
        .value_kind:     hidden_remainder_x
      - .offset:         100
        .size:           2
        .value_kind:     hidden_remainder_y
      - .offset:         102
        .size:           2
        .value_kind:     hidden_remainder_z
      - .offset:         120
        .size:           8
        .value_kind:     hidden_global_offset_x
      - .offset:         128
        .size:           8
        .value_kind:     hidden_global_offset_y
      - .offset:         136
        .size:           8
        .value_kind:     hidden_global_offset_z
      - .offset:         144
        .size:           2
        .value_kind:     hidden_grid_dims
      - .offset:         200
        .size:           4
        .value_kind:     hidden_dynamic_lds_size
    .group_segment_fixed_size: 0
    .kernarg_segment_align: 8
    .kernarg_segment_size: 336
    .language:       OpenCL C
    .language_version:
      - 2
      - 0
    .max_flat_workgroup_size: 1024
    .name:           _ZN9rocsolver6v33100L17syevj_offd_kernelI19rocblas_complex_numIdEdPS3_EEviiT1_iilT0_PT_PiS9_S9_i
    .private_segment_fixed_size: 0
    .sgpr_count:     67
    .sgpr_spill_count: 0
    .symbol:         _ZN9rocsolver6v33100L17syevj_offd_kernelI19rocblas_complex_numIdEdPS3_EEviiT1_iilT0_PT_PiS9_S9_i.kd
    .uniform_work_group_size: 1
    .uses_dynamic_stack: false
    .vgpr_count:     57
    .vgpr_spill_count: 0
    .wavefront_size: 32
    .workgroup_processor_mode: 1
  - .args:
      - .offset:         0
        .size:           1
        .value_kind:     by_value
      - .offset:         4
        .size:           4
        .value_kind:     by_value
      - .offset:         8
        .size:           4
        .value_kind:     by_value
      - .address_space:  global
        .offset:         16
        .size:           8
        .value_kind:     global_buffer
      - .offset:         24
        .size:           4
        .value_kind:     by_value
      - .offset:         28
        .size:           4
        .value_kind:     by_value
      - .offset:         32
        .size:           8
        .value_kind:     by_value
      - .address_space:  global
        .offset:         40
        .size:           8
        .value_kind:     global_buffer
      - .address_space:  global
        .offset:         48
        .size:           8
        .value_kind:     global_buffer
      - .address_space:  global
        .offset:         56
        .size:           8
        .value_kind:     global_buffer
      - .address_space:  global
        .offset:         64
        .size:           8
        .value_kind:     global_buffer
      - .offset:         72
        .size:           4
        .value_kind:     hidden_block_count_x
      - .offset:         76
        .size:           4
        .value_kind:     hidden_block_count_y
      - .offset:         80
        .size:           4
        .value_kind:     hidden_block_count_z
      - .offset:         84
        .size:           2
        .value_kind:     hidden_group_size_x
      - .offset:         86
        .size:           2
        .value_kind:     hidden_group_size_y
      - .offset:         88
        .size:           2
        .value_kind:     hidden_group_size_z
      - .offset:         90
        .size:           2
        .value_kind:     hidden_remainder_x
      - .offset:         92
        .size:           2
        .value_kind:     hidden_remainder_y
      - .offset:         94
        .size:           2
        .value_kind:     hidden_remainder_z
      - .offset:         112
        .size:           8
        .value_kind:     hidden_global_offset_x
      - .offset:         120
        .size:           8
        .value_kind:     hidden_global_offset_y
      - .offset:         128
        .size:           8
        .value_kind:     hidden_global_offset_z
      - .offset:         136
        .size:           2
        .value_kind:     hidden_grid_dims
    .group_segment_fixed_size: 0
    .kernarg_segment_align: 8
    .kernarg_segment_size: 328
    .language:       OpenCL C
    .language_version:
      - 2
      - 0
    .max_flat_workgroup_size: 1024
    .name:           _ZN9rocsolver6v33100L21syevj_offd_rotate_orgILb0E19rocblas_complex_numIdEdPS3_EEvbiiT2_iilPT0_PiS8_S8_
    .private_segment_fixed_size: 0
    .sgpr_count:     23
    .sgpr_spill_count: 0
    .symbol:         _ZN9rocsolver6v33100L21syevj_offd_rotate_orgILb0E19rocblas_complex_numIdEdPS3_EEvbiiT2_iilPT0_PiS8_S8_.kd
    .uniform_work_group_size: 1
    .uses_dynamic_stack: false
    .vgpr_count:     22
    .vgpr_spill_count: 0
    .wavefront_size: 32
    .workgroup_processor_mode: 1
  - .args:
      - .offset:         0
        .size:           1
        .value_kind:     by_value
      - .offset:         4
        .size:           4
        .value_kind:     by_value
      - .offset:         8
        .size:           4
        .value_kind:     by_value
      - .address_space:  global
        .offset:         16
        .size:           8
        .value_kind:     global_buffer
      - .offset:         24
        .size:           4
        .value_kind:     by_value
      - .offset:         28
        .size:           4
        .value_kind:     by_value
      - .offset:         32
        .size:           8
        .value_kind:     by_value
      - .address_space:  global
        .offset:         40
        .size:           8
        .value_kind:     global_buffer
      - .address_space:  global
        .offset:         48
        .size:           8
        .value_kind:     global_buffer
      - .address_space:  global
        .offset:         56
        .size:           8
        .value_kind:     global_buffer
      - .address_space:  global
        .offset:         64
        .size:           8
        .value_kind:     global_buffer
      - .offset:         72
        .size:           4
        .value_kind:     by_value
      - .offset:         80
        .size:           4
        .value_kind:     hidden_block_count_x
      - .offset:         84
        .size:           4
        .value_kind:     hidden_block_count_y
      - .offset:         88
        .size:           4
        .value_kind:     hidden_block_count_z
      - .offset:         92
        .size:           2
        .value_kind:     hidden_group_size_x
      - .offset:         94
        .size:           2
        .value_kind:     hidden_group_size_y
      - .offset:         96
        .size:           2
        .value_kind:     hidden_group_size_z
      - .offset:         98
        .size:           2
        .value_kind:     hidden_remainder_x
      - .offset:         100
        .size:           2
        .value_kind:     hidden_remainder_y
      - .offset:         102
        .size:           2
        .value_kind:     hidden_remainder_z
      - .offset:         120
        .size:           8
        .value_kind:     hidden_global_offset_x
      - .offset:         128
        .size:           8
        .value_kind:     hidden_global_offset_y
      - .offset:         136
        .size:           8
        .value_kind:     hidden_global_offset_z
      - .offset:         144
        .size:           2
        .value_kind:     hidden_grid_dims
      - .offset:         200
        .size:           4
        .value_kind:     hidden_dynamic_lds_size
    .group_segment_fixed_size: 0
    .kernarg_segment_align: 8
    .kernarg_segment_size: 336
    .language:       OpenCL C
    .language_version:
      - 2
      - 0
    .max_flat_workgroup_size: 1024
    .name:           _ZN9rocsolver6v33100L17syevj_offd_rotateILb0E19rocblas_complex_numIdEdPS3_EEvbiiT2_iilPT0_PiS8_S8_i
    .private_segment_fixed_size: 0
    .sgpr_count:     72
    .sgpr_spill_count: 0
    .symbol:         _ZN9rocsolver6v33100L17syevj_offd_rotateILb0E19rocblas_complex_numIdEdPS3_EEvbiiT2_iilPT0_PiS8_S8_i.kd
    .uniform_work_group_size: 1
    .uses_dynamic_stack: false
    .vgpr_count:     28
    .vgpr_spill_count: 0
    .wavefront_size: 32
    .workgroup_processor_mode: 1
  - .args:
      - .offset:         0
        .size:           1
        .value_kind:     by_value
      - .offset:         4
        .size:           4
        .value_kind:     by_value
      - .offset:         8
        .size:           4
        .value_kind:     by_value
      - .address_space:  global
        .offset:         16
        .size:           8
        .value_kind:     global_buffer
      - .offset:         24
        .size:           4
        .value_kind:     by_value
      - .offset:         28
        .size:           4
        .value_kind:     by_value
      - .offset:         32
        .size:           8
        .value_kind:     by_value
      - .address_space:  global
        .offset:         40
        .size:           8
        .value_kind:     global_buffer
      - .address_space:  global
        .offset:         48
        .size:           8
        .value_kind:     global_buffer
      - .address_space:  global
        .offset:         56
        .size:           8
        .value_kind:     global_buffer
      - .address_space:  global
        .offset:         64
        .size:           8
        .value_kind:     global_buffer
      - .offset:         72
        .size:           4
        .value_kind:     hidden_block_count_x
      - .offset:         76
        .size:           4
        .value_kind:     hidden_block_count_y
      - .offset:         80
        .size:           4
        .value_kind:     hidden_block_count_z
      - .offset:         84
        .size:           2
        .value_kind:     hidden_group_size_x
      - .offset:         86
        .size:           2
        .value_kind:     hidden_group_size_y
      - .offset:         88
        .size:           2
        .value_kind:     hidden_group_size_z
      - .offset:         90
        .size:           2
        .value_kind:     hidden_remainder_x
      - .offset:         92
        .size:           2
        .value_kind:     hidden_remainder_y
      - .offset:         94
        .size:           2
        .value_kind:     hidden_remainder_z
      - .offset:         112
        .size:           8
        .value_kind:     hidden_global_offset_x
      - .offset:         120
        .size:           8
        .value_kind:     hidden_global_offset_y
      - .offset:         128
        .size:           8
        .value_kind:     hidden_global_offset_z
      - .offset:         136
        .size:           2
        .value_kind:     hidden_grid_dims
    .group_segment_fixed_size: 0
    .kernarg_segment_align: 8
    .kernarg_segment_size: 328
    .language:       OpenCL C
    .language_version:
      - 2
      - 0
    .max_flat_workgroup_size: 1024
    .name:           _ZN9rocsolver6v33100L21syevj_offd_rotate_orgILb1E19rocblas_complex_numIdEdPS3_EEvbiiT2_iilPT0_PiS8_S8_
    .private_segment_fixed_size: 0
    .sgpr_count:     21
    .sgpr_spill_count: 0
    .symbol:         _ZN9rocsolver6v33100L21syevj_offd_rotate_orgILb1E19rocblas_complex_numIdEdPS3_EEvbiiT2_iilPT0_PiS8_S8_.kd
    .uniform_work_group_size: 1
    .uses_dynamic_stack: false
    .vgpr_count:     22
    .vgpr_spill_count: 0
    .wavefront_size: 32
    .workgroup_processor_mode: 1
  - .args:
      - .offset:         0
        .size:           1
        .value_kind:     by_value
      - .offset:         4
        .size:           4
        .value_kind:     by_value
      - .offset:         8
        .size:           4
        .value_kind:     by_value
      - .address_space:  global
        .offset:         16
        .size:           8
        .value_kind:     global_buffer
      - .offset:         24
        .size:           4
        .value_kind:     by_value
      - .offset:         28
        .size:           4
        .value_kind:     by_value
      - .offset:         32
        .size:           8
        .value_kind:     by_value
      - .address_space:  global
        .offset:         40
        .size:           8
        .value_kind:     global_buffer
      - .address_space:  global
        .offset:         48
        .size:           8
        .value_kind:     global_buffer
      - .address_space:  global
        .offset:         56
        .size:           8
        .value_kind:     global_buffer
      - .address_space:  global
        .offset:         64
        .size:           8
        .value_kind:     global_buffer
      - .offset:         72
        .size:           4
        .value_kind:     by_value
      - .offset:         80
        .size:           4
        .value_kind:     hidden_block_count_x
      - .offset:         84
        .size:           4
        .value_kind:     hidden_block_count_y
      - .offset:         88
        .size:           4
        .value_kind:     hidden_block_count_z
      - .offset:         92
        .size:           2
        .value_kind:     hidden_group_size_x
      - .offset:         94
        .size:           2
        .value_kind:     hidden_group_size_y
      - .offset:         96
        .size:           2
        .value_kind:     hidden_group_size_z
      - .offset:         98
        .size:           2
        .value_kind:     hidden_remainder_x
      - .offset:         100
        .size:           2
        .value_kind:     hidden_remainder_y
      - .offset:         102
        .size:           2
        .value_kind:     hidden_remainder_z
      - .offset:         120
        .size:           8
        .value_kind:     hidden_global_offset_x
      - .offset:         128
        .size:           8
        .value_kind:     hidden_global_offset_y
      - .offset:         136
        .size:           8
        .value_kind:     hidden_global_offset_z
      - .offset:         144
        .size:           2
        .value_kind:     hidden_grid_dims
      - .offset:         200
        .size:           4
        .value_kind:     hidden_dynamic_lds_size
    .group_segment_fixed_size: 0
    .kernarg_segment_align: 8
    .kernarg_segment_size: 336
    .language:       OpenCL C
    .language_version:
      - 2
      - 0
    .max_flat_workgroup_size: 1024
    .name:           _ZN9rocsolver6v33100L17syevj_offd_rotateILb1E19rocblas_complex_numIdEdPS3_EEvbiiT2_iilPT0_PiS8_S8_i
    .private_segment_fixed_size: 0
    .sgpr_count:     68
    .sgpr_spill_count: 0
    .symbol:         _ZN9rocsolver6v33100L17syevj_offd_rotateILb1E19rocblas_complex_numIdEdPS3_EEvbiiT2_iilPT0_PiS8_S8_i.kd
    .uniform_work_group_size: 1
    .uses_dynamic_stack: false
    .vgpr_count:     30
    .vgpr_spill_count: 0
    .wavefront_size: 32
    .workgroup_processor_mode: 1
  - .args:
      - .offset:         0
        .size:           4
        .value_kind:     by_value
      - .address_space:  global
        .offset:         8
        .size:           8
        .value_kind:     global_buffer
      - .address_space:  global
        .offset:         16
        .size:           8
        .value_kind:     global_buffer
      - .offset:         24
        .size:           4
        .value_kind:     hidden_block_count_x
      - .offset:         28
        .size:           4
        .value_kind:     hidden_block_count_y
      - .offset:         32
        .size:           4
        .value_kind:     hidden_block_count_z
      - .offset:         36
        .size:           2
        .value_kind:     hidden_group_size_x
      - .offset:         38
        .size:           2
        .value_kind:     hidden_group_size_y
      - .offset:         40
        .size:           2
        .value_kind:     hidden_group_size_z
      - .offset:         42
        .size:           2
        .value_kind:     hidden_remainder_x
      - .offset:         44
        .size:           2
        .value_kind:     hidden_remainder_y
      - .offset:         46
        .size:           2
        .value_kind:     hidden_remainder_z
      - .offset:         64
        .size:           8
        .value_kind:     hidden_global_offset_x
      - .offset:         72
        .size:           8
        .value_kind:     hidden_global_offset_y
      - .offset:         80
        .size:           8
        .value_kind:     hidden_global_offset_z
      - .offset:         88
        .size:           2
        .value_kind:     hidden_grid_dims
    .group_segment_fixed_size: 0
    .kernarg_segment_align: 8
    .kernarg_segment_size: 280
    .language:       OpenCL C
    .language_version:
      - 2
      - 0
    .max_flat_workgroup_size: 1024
    .name:           _ZN9rocsolver6v33100L17syevj_cycle_pairsI19rocblas_complex_numIdEEEviPiS4_
    .private_segment_fixed_size: 0
    .sgpr_count:     18
    .sgpr_spill_count: 0
    .symbol:         _ZN9rocsolver6v33100L17syevj_cycle_pairsI19rocblas_complex_numIdEEEviPiS4_.kd
    .uniform_work_group_size: 1
    .uses_dynamic_stack: false
    .vgpr_count:     9
    .vgpr_spill_count: 0
    .wavefront_size: 32
    .workgroup_processor_mode: 1
  - .args:
      - .offset:         0
        .size:           4
        .value_kind:     by_value
      - .offset:         4
        .size:           4
        .value_kind:     by_value
      - .address_space:  global
        .offset:         8
        .size:           8
        .value_kind:     global_buffer
      - .address_space:  global
        .offset:         16
        .size:           8
        .value_kind:     global_buffer
      - .address_space:  global
        .offset:         24
        .size:           8
        .value_kind:     global_buffer
      - .address_space:  global
        .offset:         32
        .size:           8
        .value_kind:     global_buffer
      - .offset:         40
        .size:           4
        .value_kind:     hidden_block_count_x
      - .offset:         44
        .size:           4
        .value_kind:     hidden_block_count_y
      - .offset:         48
        .size:           4
        .value_kind:     hidden_block_count_z
      - .offset:         52
        .size:           2
        .value_kind:     hidden_group_size_x
      - .offset:         54
        .size:           2
        .value_kind:     hidden_group_size_y
      - .offset:         56
        .size:           2
        .value_kind:     hidden_group_size_z
      - .offset:         58
        .size:           2
        .value_kind:     hidden_remainder_x
      - .offset:         60
        .size:           2
        .value_kind:     hidden_remainder_y
      - .offset:         62
        .size:           2
        .value_kind:     hidden_remainder_z
      - .offset:         80
        .size:           8
        .value_kind:     hidden_global_offset_x
      - .offset:         88
        .size:           8
        .value_kind:     hidden_global_offset_y
      - .offset:         96
        .size:           8
        .value_kind:     hidden_global_offset_z
      - .offset:         104
        .size:           2
        .value_kind:     hidden_grid_dims
      - .offset:         160
        .size:           4
        .value_kind:     hidden_dynamic_lds_size
    .group_segment_fixed_size: 0
    .kernarg_segment_align: 8
    .kernarg_segment_size: 296
    .language:       OpenCL C
    .language_version:
      - 2
      - 0
    .max_flat_workgroup_size: 1024
    .name:           _ZN9rocsolver6v33100L15syevj_calc_normI19rocblas_complex_numIdEdEEviiPT0_PT_S5_Pi
    .private_segment_fixed_size: 0
    .sgpr_count:     24
    .sgpr_spill_count: 0
    .symbol:         _ZN9rocsolver6v33100L15syevj_calc_normI19rocblas_complex_numIdEdEEviiPT0_PT_S5_Pi.kd
    .uniform_work_group_size: 1
    .uses_dynamic_stack: false
    .vgpr_count:     12
    .vgpr_spill_count: 0
    .wavefront_size: 32
    .workgroup_processor_mode: 1
  - .args:
      - .offset:         0
        .size:           4
        .value_kind:     by_value
      - .offset:         4
        .size:           4
        .value_kind:     by_value
      - .offset:         8
        .size:           4
        .value_kind:     by_value
      - .address_space:  global
        .offset:         16
        .size:           8
        .value_kind:     global_buffer
      - .offset:         24
        .size:           4
        .value_kind:     by_value
      - .offset:         28
        .size:           4
        .value_kind:     by_value
      - .offset:         32
        .size:           8
        .value_kind:     by_value
      - .address_space:  global
        .offset:         40
        .size:           8
        .value_kind:     global_buffer
      - .offset:         48
        .size:           4
        .value_kind:     by_value
      - .address_space:  global
        .offset:         56
        .size:           8
        .value_kind:     global_buffer
      - .address_space:  global
        .offset:         64
        .size:           8
        .value_kind:     global_buffer
      - .offset:         72
        .size:           8
        .value_kind:     by_value
      - .address_space:  global
        .offset:         80
        .size:           8
        .value_kind:     global_buffer
      - .address_space:  global
        .offset:         88
        .size:           8
        .value_kind:     global_buffer
      - .address_space:  global
        .offset:         96
        .size:           8
        .value_kind:     global_buffer
      - .offset:         104
        .size:           4
        .value_kind:     hidden_block_count_x
      - .offset:         108
        .size:           4
        .value_kind:     hidden_block_count_y
      - .offset:         112
        .size:           4
        .value_kind:     hidden_block_count_z
      - .offset:         116
        .size:           2
        .value_kind:     hidden_group_size_x
      - .offset:         118
        .size:           2
        .value_kind:     hidden_group_size_y
      - .offset:         120
        .size:           2
        .value_kind:     hidden_group_size_z
      - .offset:         122
        .size:           2
        .value_kind:     hidden_remainder_x
      - .offset:         124
        .size:           2
        .value_kind:     hidden_remainder_y
      - .offset:         126
        .size:           2
        .value_kind:     hidden_remainder_z
      - .offset:         144
        .size:           8
        .value_kind:     hidden_global_offset_x
      - .offset:         152
        .size:           8
        .value_kind:     hidden_global_offset_y
      - .offset:         160
        .size:           8
        .value_kind:     hidden_global_offset_z
      - .offset:         168
        .size:           2
        .value_kind:     hidden_grid_dims
    .group_segment_fixed_size: 16384
    .kernarg_segment_align: 8
    .kernarg_segment_size: 360
    .language:       OpenCL C
    .language_version:
      - 2
      - 0
    .max_flat_workgroup_size: 1024
    .name:           _ZN9rocsolver6v33100L14syevj_finalizeI19rocblas_complex_numIdEdPS3_EEv14rocblas_esort_14rocblas_evect_iT1_iilPT0_iPiS9_lSA_PT_SA_
    .private_segment_fixed_size: 0
    .sgpr_count:     32
    .sgpr_spill_count: 0
    .symbol:         _ZN9rocsolver6v33100L14syevj_finalizeI19rocblas_complex_numIdEdPS3_EEv14rocblas_esort_14rocblas_evect_iT1_iilPT0_iPiS9_lSA_PT_SA_.kd
    .uniform_work_group_size: 1
    .uses_dynamic_stack: false
    .vgpr_count:     17
    .vgpr_spill_count: 0
    .wavefront_size: 32
    .workgroup_processor_mode: 1
  - .args:
      - .offset:         0
        .size:           4
        .value_kind:     by_value
      - .offset:         4
        .size:           4
        .value_kind:     by_value
      - .address_space:  global
        .offset:         8
        .size:           8
        .value_kind:     global_buffer
      - .offset:         16
        .size:           8
        .value_kind:     by_value
      - .offset:         24
        .size:           4
        .value_kind:     by_value
      - .offset:         32
        .size:           8
        .value_kind:     by_value
      - .address_space:  global
        .offset:         40
        .size:           8
        .value_kind:     global_buffer
      - .offset:         48
        .size:           8
        .value_kind:     by_value
      - .address_space:  global
        .offset:         56
        .size:           8
        .value_kind:     global_buffer
      - .offset:         64
        .size:           8
        .value_kind:     by_value
    .group_segment_fixed_size: 0
    .kernarg_segment_align: 8
    .kernarg_segment_size: 72
    .language:       OpenCL C
    .language_version:
      - 2
      - 0
    .max_flat_workgroup_size: 256
    .name:           _ZN9rocsolver6v33100L18geqr2_kernel_smallILi256E19rocblas_complex_numIdEidPS3_EEvT1_S5_T3_lS5_lPT2_lPT0_l
    .private_segment_fixed_size: 0
    .sgpr_count:     42
    .sgpr_spill_count: 0
    .symbol:         _ZN9rocsolver6v33100L18geqr2_kernel_smallILi256E19rocblas_complex_numIdEidPS3_EEvT1_S5_T3_lS5_lPT2_lPT0_l.kd
    .uniform_work_group_size: 1
    .uses_dynamic_stack: false
    .vgpr_count:     56
    .vgpr_spill_count: 0
    .wavefront_size: 32
    .workgroup_processor_mode: 1
  - .args:
      - .address_space:  global
        .offset:         0
        .size:           8
        .value_kind:     global_buffer
      - .offset:         8
        .size:           8
        .value_kind:     by_value
      - .offset:         16
        .size:           4
        .value_kind:     by_value
      - .offset:         20
        .size:           4
        .value_kind:     by_value
      - .offset:         24
        .size:           4
        .value_kind:     hidden_block_count_x
      - .offset:         28
        .size:           4
        .value_kind:     hidden_block_count_y
      - .offset:         32
        .size:           4
        .value_kind:     hidden_block_count_z
      - .offset:         36
        .size:           2
        .value_kind:     hidden_group_size_x
      - .offset:         38
        .size:           2
        .value_kind:     hidden_group_size_y
      - .offset:         40
        .size:           2
        .value_kind:     hidden_group_size_z
      - .offset:         42
        .size:           2
        .value_kind:     hidden_remainder_x
      - .offset:         44
        .size:           2
        .value_kind:     hidden_remainder_y
      - .offset:         46
        .size:           2
        .value_kind:     hidden_remainder_z
      - .offset:         64
        .size:           8
        .value_kind:     hidden_global_offset_x
      - .offset:         72
        .size:           8
        .value_kind:     hidden_global_offset_y
      - .offset:         80
        .size:           8
        .value_kind:     hidden_global_offset_z
      - .offset:         88
        .size:           2
        .value_kind:     hidden_grid_dims
    .group_segment_fixed_size: 0
    .kernarg_segment_align: 8
    .kernarg_segment_size: 280
    .language:       OpenCL C
    .language_version:
      - 2
      - 0
    .max_flat_workgroup_size: 1024
    .name:           _ZN9rocsolver6v33100L16reset_batch_infoI19rocblas_complex_numIdEiiPS3_EEvT2_lT0_T1_
    .private_segment_fixed_size: 0
    .sgpr_count:     18
    .sgpr_spill_count: 0
    .symbol:         _ZN9rocsolver6v33100L16reset_batch_infoI19rocblas_complex_numIdEiiPS3_EEvT2_lT0_T1_.kd
    .uniform_work_group_size: 1
    .uses_dynamic_stack: false
    .vgpr_count:     7
    .vgpr_spill_count: 0
    .wavefront_size: 32
    .workgroup_processor_mode: 1
  - .args:
      - .address_space:  global
        .offset:         0
        .size:           8
        .value_kind:     global_buffer
      - .offset:         8
        .size:           8
        .value_kind:     by_value
      - .offset:         16
        .size:           8
        .value_kind:     by_value
      - .address_space:  global
        .offset:         24
        .size:           8
        .value_kind:     global_buffer
      - .offset:         32
        .size:           8
        .value_kind:     by_value
      - .offset:         40
        .size:           4
        .value_kind:     by_value
      - .offset:         48
        .size:           8
        .value_kind:     by_value
      - .offset:         56
        .size:           4
        .value_kind:     by_value
      - .offset:         60
        .size:           1
        .value_kind:     by_value
      - .offset:         64
        .size:           4
        .value_kind:     hidden_block_count_x
      - .offset:         68
        .size:           4
        .value_kind:     hidden_block_count_y
      - .offset:         72
        .size:           4
        .value_kind:     hidden_block_count_z
      - .offset:         76
        .size:           2
        .value_kind:     hidden_group_size_x
      - .offset:         78
        .size:           2
        .value_kind:     hidden_group_size_y
      - .offset:         80
        .size:           2
        .value_kind:     hidden_group_size_z
      - .offset:         82
        .size:           2
        .value_kind:     hidden_remainder_x
      - .offset:         84
        .size:           2
        .value_kind:     hidden_remainder_y
      - .offset:         86
        .size:           2
        .value_kind:     hidden_remainder_z
      - .offset:         104
        .size:           8
        .value_kind:     hidden_global_offset_x
      - .offset:         112
        .size:           8
        .value_kind:     hidden_global_offset_y
      - .offset:         120
        .size:           8
        .value_kind:     hidden_global_offset_z
      - .offset:         128
        .size:           2
        .value_kind:     hidden_grid_dims
    .group_segment_fixed_size: 0
    .kernarg_segment_align: 8
    .kernarg_segment_size: 320
    .language:       OpenCL C
    .language_version:
      - 2
      - 0
    .max_flat_workgroup_size: 1024
    .name:           _ZN9rocsolver6v33100L8set_diagI19rocblas_complex_numIdEidPS3_TnNSt9enable_ifIXaa18rocblas_is_complexIT_Ent18rocblas_is_complexIT1_EEiE4typeELi0EEEvPS7_llT2_lT0_lSC_b
    .private_segment_fixed_size: 0
    .sgpr_count:     19
    .sgpr_spill_count: 0
    .symbol:         _ZN9rocsolver6v33100L8set_diagI19rocblas_complex_numIdEidPS3_TnNSt9enable_ifIXaa18rocblas_is_complexIT_Ent18rocblas_is_complexIT1_EEiE4typeELi0EEEvPS7_llT2_lT0_lSC_b.kd
    .uniform_work_group_size: 1
    .uses_dynamic_stack: false
    .vgpr_count:     6
    .vgpr_spill_count: 0
    .wavefront_size: 32
    .workgroup_processor_mode: 1
  - .args:
      - .address_space:  global
        .offset:         0
        .size:           8
        .value_kind:     global_buffer
      - .offset:         8
        .size:           8
        .value_kind:     by_value
      - .address_space:  global
        .offset:         16
        .size:           8
        .value_kind:     global_buffer
      - .address_space:  global
        .offset:         24
        .size:           8
        .value_kind:     global_buffer
      - .offset:         32
        .size:           8
        .value_kind:     by_value
      - .offset:         40
        .size:           8
        .value_kind:     by_value
      - .address_space:  global
        .offset:         48
        .size:           8
        .value_kind:     global_buffer
      - .offset:         56
        .size:           8
        .value_kind:     by_value
      - .offset:         64
        .size:           8
        .value_kind:     by_value
    .group_segment_fixed_size: 0
    .kernarg_segment_align: 8
    .kernarg_segment_size: 72
    .language:       OpenCL C
    .language_version:
      - 2
      - 0
    .max_flat_workgroup_size: 1024
    .name:           _ZN9rocsolver6v33100L11set_taubetaI19rocblas_complex_numIdEidPS3_EEvPT_lS6_T2_llPT1_ll
    .private_segment_fixed_size: 0
    .sgpr_count:     24
    .sgpr_spill_count: 0
    .symbol:         _ZN9rocsolver6v33100L11set_taubetaI19rocblas_complex_numIdEidPS3_EEvPT_lS6_T2_llPT1_ll.kd
    .uniform_work_group_size: 1
    .uses_dynamic_stack: false
    .vgpr_count:     40
    .vgpr_spill_count: 0
    .wavefront_size: 32
    .workgroup_processor_mode: 1
  - .args:
      - .offset:         0
        .size:           4
        .value_kind:     by_value
      - .offset:         4
        .size:           4
        .value_kind:     by_value
      - .address_space:  global
        .offset:         8
        .size:           8
        .value_kind:     global_buffer
      - .offset:         16
        .size:           8
        .value_kind:     by_value
      - .offset:         24
        .size:           4
        .value_kind:     by_value
      - .offset:         32
        .size:           8
        .value_kind:     by_value
      - .offset:         40
        .size:           4
        .value_kind:     hidden_block_count_x
      - .offset:         44
        .size:           4
        .value_kind:     hidden_block_count_y
      - .offset:         48
        .size:           4
        .value_kind:     hidden_block_count_z
      - .offset:         52
        .size:           2
        .value_kind:     hidden_group_size_x
      - .offset:         54
        .size:           2
        .value_kind:     hidden_group_size_y
      - .offset:         56
        .size:           2
        .value_kind:     hidden_group_size_z
      - .offset:         58
        .size:           2
        .value_kind:     hidden_remainder_x
      - .offset:         60
        .size:           2
        .value_kind:     hidden_remainder_y
      - .offset:         62
        .size:           2
        .value_kind:     hidden_remainder_z
      - .offset:         80
        .size:           8
        .value_kind:     hidden_global_offset_x
      - .offset:         88
        .size:           8
        .value_kind:     hidden_global_offset_y
      - .offset:         96
        .size:           8
        .value_kind:     hidden_global_offset_z
      - .offset:         104
        .size:           2
        .value_kind:     hidden_grid_dims
    .group_segment_fixed_size: 0
    .kernarg_segment_align: 8
    .kernarg_segment_size: 296
    .language:       OpenCL C
    .language_version:
      - 2
      - 0
    .max_flat_workgroup_size: 1024
    .name:           _ZN9rocsolver6v33100L13conj_in_placeI19rocblas_complex_numIdEiPS3_TnNSt9enable_ifIX18rocblas_is_complexIT_EEiE4typeELi0EEEvT0_S9_T1_lS9_l
    .private_segment_fixed_size: 0
    .sgpr_count:     18
    .sgpr_spill_count: 0
    .symbol:         _ZN9rocsolver6v33100L13conj_in_placeI19rocblas_complex_numIdEiPS3_TnNSt9enable_ifIX18rocblas_is_complexIT_EEiE4typeELi0EEEvT0_S9_T1_lS9_l.kd
    .uniform_work_group_size: 1
    .uses_dynamic_stack: false
    .vgpr_count:     8
    .vgpr_spill_count: 0
    .wavefront_size: 32
    .workgroup_processor_mode: 1
  - .args:
      - .offset:         0
        .size:           4
        .value_kind:     by_value
      - .offset:         4
        .size:           4
        .value_kind:     by_value
      - .address_space:  global
        .offset:         8
        .size:           8
        .value_kind:     global_buffer
      - .offset:         16
        .size:           8
        .value_kind:     by_value
      - .offset:         24
        .size:           4
        .value_kind:     by_value
      - .offset:         32
        .size:           8
        .value_kind:     by_value
      - .address_space:  global
        .offset:         40
        .size:           8
        .value_kind:     global_buffer
      - .offset:         48
        .size:           8
        .value_kind:     by_value
      - .address_space:  global
        .offset:         56
        .size:           8
        .value_kind:     global_buffer
      - .offset:         64
        .size:           8
        .value_kind:     by_value
      - .offset:         72
        .size:           4
        .value_kind:     by_value
      - .offset:         80
        .size:           8
        .value_kind:     by_value
    .group_segment_fixed_size: 0
    .kernarg_segment_align: 8
    .kernarg_segment_size: 88
    .language:       OpenCL C
    .language_version:
      - 2
      - 0
    .max_flat_workgroup_size: 1024
    .name:           _ZN9rocsolver6v33100L16larf_left_kernelILi1024E19rocblas_complex_numIdEiPS3_EEvT1_S5_T2_lS5_lPKT0_lS6_lS5_l
    .private_segment_fixed_size: 0
    .sgpr_count:     32
    .sgpr_spill_count: 0
    .symbol:         _ZN9rocsolver6v33100L16larf_left_kernelILi1024E19rocblas_complex_numIdEiPS3_EEvT1_S5_T2_lS5_lPKT0_lS6_lS5_l.kd
    .uniform_work_group_size: 1
    .uses_dynamic_stack: false
    .vgpr_count:     20
    .vgpr_spill_count: 0
    .wavefront_size: 32
    .workgroup_processor_mode: 1
  - .args:
      - .offset:         0
        .size:           4
        .value_kind:     by_value
      - .offset:         4
        .size:           4
        .value_kind:     by_value
      - .address_space:  global
        .offset:         8
        .size:           8
        .value_kind:     global_buffer
      - .offset:         16
        .size:           8
        .value_kind:     by_value
      - .offset:         24
        .size:           4
        .value_kind:     by_value
      - .offset:         32
        .size:           8
        .value_kind:     by_value
      - .address_space:  global
        .offset:         40
        .size:           8
        .value_kind:     global_buffer
      - .offset:         48
        .size:           8
        .value_kind:     by_value
      - .address_space:  global
        .offset:         56
        .size:           8
        .value_kind:     global_buffer
      - .offset:         64
        .size:           8
        .value_kind:     by_value
      - .offset:         72
        .size:           4
        .value_kind:     by_value
      - .offset:         80
        .size:           8
        .value_kind:     by_value
    .group_segment_fixed_size: 0
    .kernarg_segment_align: 8
    .kernarg_segment_size: 88
    .language:       OpenCL C
    .language_version:
      - 2
      - 0
    .max_flat_workgroup_size: 1024
    .name:           _ZN9rocsolver6v33100L17larf_right_kernelILi1024E19rocblas_complex_numIdEiPS3_EEvT1_S5_T2_lS5_lPKT0_lS6_lS5_l
    .private_segment_fixed_size: 0
    .sgpr_count:     36
    .sgpr_spill_count: 0
    .symbol:         _ZN9rocsolver6v33100L17larf_right_kernelILi1024E19rocblas_complex_numIdEiPS3_EEvT1_S5_T2_lS5_lPKT0_lS6_lS5_l.kd
    .uniform_work_group_size: 1
    .uses_dynamic_stack: false
    .vgpr_count:     20
    .vgpr_spill_count: 0
    .wavefront_size: 32
    .workgroup_processor_mode: 1
  - .args:
      - .address_space:  global
        .offset:         0
        .size:           8
        .value_kind:     global_buffer
      - .offset:         8
        .size:           8
        .value_kind:     by_value
      - .offset:         16
        .size:           8
        .value_kind:     by_value
      - .address_space:  global
        .offset:         24
        .size:           8
        .value_kind:     global_buffer
      - .offset:         32
        .size:           8
        .value_kind:     by_value
      - .offset:         40
        .size:           4
        .value_kind:     by_value
      - .offset:         48
        .size:           8
        .value_kind:     by_value
      - .offset:         56
        .size:           4
        .value_kind:     by_value
      - .offset:         64
        .size:           4
        .value_kind:     hidden_block_count_x
      - .offset:         68
        .size:           4
        .value_kind:     hidden_block_count_y
      - .offset:         72
        .size:           4
        .value_kind:     hidden_block_count_z
      - .offset:         76
        .size:           2
        .value_kind:     hidden_group_size_x
      - .offset:         78
        .size:           2
        .value_kind:     hidden_group_size_y
      - .offset:         80
        .size:           2
        .value_kind:     hidden_group_size_z
      - .offset:         82
        .size:           2
        .value_kind:     hidden_remainder_x
      - .offset:         84
        .size:           2
        .value_kind:     hidden_remainder_y
      - .offset:         86
        .size:           2
        .value_kind:     hidden_remainder_z
      - .offset:         104
        .size:           8
        .value_kind:     hidden_global_offset_x
      - .offset:         112
        .size:           8
        .value_kind:     hidden_global_offset_y
      - .offset:         120
        .size:           8
        .value_kind:     hidden_global_offset_z
      - .offset:         128
        .size:           2
        .value_kind:     hidden_grid_dims
    .group_segment_fixed_size: 0
    .kernarg_segment_align: 8
    .kernarg_segment_size: 320
    .language:       OpenCL C
    .language_version:
      - 2
      - 0
    .max_flat_workgroup_size: 1024
    .name:           _ZN9rocsolver6v33100L12restore_diagI19rocblas_complex_numIdEidPS3_EEvPT1_llT2_lT0_lS8_
    .private_segment_fixed_size: 0
    .sgpr_count:     19
    .sgpr_spill_count: 0
    .symbol:         _ZN9rocsolver6v33100L12restore_diagI19rocblas_complex_numIdEidPS3_EEvPT1_llT2_lT0_lS8_.kd
    .uniform_work_group_size: 1
    .uses_dynamic_stack: false
    .vgpr_count:     7
    .vgpr_spill_count: 0
    .wavefront_size: 32
    .workgroup_processor_mode: 1
  - .args:
      - .offset:         0
        .size:           4
        .value_kind:     by_value
      - .offset:         4
        .size:           4
        .value_kind:     by_value
      - .address_space:  global
        .offset:         8
        .size:           8
        .value_kind:     global_buffer
      - .offset:         16
        .size:           4
        .value_kind:     by_value
      - .offset:         20
        .size:           4
        .value_kind:     by_value
      - .offset:         24
        .size:           8
        .value_kind:     by_value
      - .address_space:  global
        .offset:         32
        .size:           8
        .value_kind:     global_buffer
      - .offset:         40
        .size:           8
        .value_kind:     by_value
      - .address_space:  global
        .offset:         48
        .size:           8
        .value_kind:     global_buffer
      - .offset:         56
        .size:           4
        .value_kind:     by_value
      - .offset:         64
        .size:           8
        .value_kind:     by_value
      - .offset:         72
        .size:           4
        .value_kind:     by_value
      - .offset:         76
        .size:           4
        .value_kind:     by_value
      - .offset:         80
        .size:           1
        .value_kind:     by_value
      - .offset:         88
        .size:           4
        .value_kind:     hidden_block_count_x
      - .offset:         92
        .size:           4
        .value_kind:     hidden_block_count_y
      - .offset:         96
        .size:           4
        .value_kind:     hidden_block_count_z
      - .offset:         100
        .size:           2
        .value_kind:     hidden_group_size_x
      - .offset:         102
        .size:           2
        .value_kind:     hidden_group_size_y
      - .offset:         104
        .size:           2
        .value_kind:     hidden_group_size_z
      - .offset:         106
        .size:           2
        .value_kind:     hidden_remainder_x
      - .offset:         108
        .size:           2
        .value_kind:     hidden_remainder_y
      - .offset:         110
        .size:           2
        .value_kind:     hidden_remainder_z
      - .offset:         128
        .size:           8
        .value_kind:     hidden_global_offset_x
      - .offset:         136
        .size:           8
        .value_kind:     hidden_global_offset_y
      - .offset:         144
        .size:           8
        .value_kind:     hidden_global_offset_z
      - .offset:         152
        .size:           2
        .value_kind:     hidden_grid_dims
    .group_segment_fixed_size: 0
    .kernarg_segment_align: 8
    .kernarg_segment_size: 344
    .language:       OpenCL C
    .language_version:
      - 2
      - 0
    .max_flat_workgroup_size: 1024
    .name:           _ZN9rocsolver6v33100L14set_triangularI19rocblas_complex_numIdEPS3_TnNSt9enable_ifIX18rocblas_is_complexIT_EEiE4typeELi0EEEviiT0_iilPS6_lSA_il15rocblas_direct_15rocblas_storev_b
    .private_segment_fixed_size: 0
    .sgpr_count:     24
    .sgpr_spill_count: 0
    .symbol:         _ZN9rocsolver6v33100L14set_triangularI19rocblas_complex_numIdEPS3_TnNSt9enable_ifIX18rocblas_is_complexIT_EEiE4typeELi0EEEviiT0_iilPS6_lSA_il15rocblas_direct_15rocblas_storev_b.kd
    .uniform_work_group_size: 1
    .uses_dynamic_stack: false
    .vgpr_count:     21
    .vgpr_spill_count: 0
    .wavefront_size: 32
    .workgroup_processor_mode: 1
  - .args:
      - .offset:         0
        .size:           4
        .value_kind:     by_value
      - .address_space:  global
        .offset:         8
        .size:           8
        .value_kind:     global_buffer
      - .offset:         16
        .size:           8
        .value_kind:     by_value
      - .offset:         24
        .size:           4
        .value_kind:     hidden_block_count_x
      - .offset:         28
        .size:           4
        .value_kind:     hidden_block_count_y
      - .offset:         32
        .size:           4
        .value_kind:     hidden_block_count_z
      - .offset:         36
        .size:           2
        .value_kind:     hidden_group_size_x
      - .offset:         38
        .size:           2
        .value_kind:     hidden_group_size_y
      - .offset:         40
        .size:           2
        .value_kind:     hidden_group_size_z
      - .offset:         42
        .size:           2
        .value_kind:     hidden_remainder_x
      - .offset:         44
        .size:           2
        .value_kind:     hidden_remainder_y
      - .offset:         46
        .size:           2
        .value_kind:     hidden_remainder_z
      - .offset:         64
        .size:           8
        .value_kind:     hidden_global_offset_x
      - .offset:         72
        .size:           8
        .value_kind:     hidden_global_offset_y
      - .offset:         80
        .size:           8
        .value_kind:     hidden_global_offset_z
      - .offset:         88
        .size:           2
        .value_kind:     hidden_grid_dims
    .group_segment_fixed_size: 0
    .kernarg_segment_align: 8
    .kernarg_segment_size: 280
    .language:       OpenCL C
    .language_version:
      - 2
      - 0
    .max_flat_workgroup_size: 1024
    .name:           _ZN9rocsolver6v33100L7set_tauI19rocblas_complex_numIdEEEviPT_l
    .private_segment_fixed_size: 0
    .sgpr_count:     18
    .sgpr_spill_count: 0
    .symbol:         _ZN9rocsolver6v33100L7set_tauI19rocblas_complex_numIdEEEviPT_l.kd
    .uniform_work_group_size: 1
    .uses_dynamic_stack: false
    .vgpr_count:     6
    .vgpr_spill_count: 0
    .wavefront_size: 32
    .workgroup_processor_mode: 1
  - .args:
      - .offset:         0
        .size:           4
        .value_kind:     by_value
      - .offset:         4
        .size:           4
        .value_kind:     by_value
      - .offset:         8
        .size:           4
        .value_kind:     by_value
      - .address_space:  global
        .offset:         16
        .size:           8
        .value_kind:     global_buffer
      - .offset:         24
        .size:           4
        .value_kind:     by_value
      - .offset:         28
        .size:           4
        .value_kind:     by_value
      - .offset:         32
        .size:           8
        .value_kind:     by_value
      - .address_space:  global
        .offset:         40
        .size:           8
        .value_kind:     global_buffer
      - .offset:         48
        .size:           8
        .value_kind:     by_value
      - .address_space:  global
        .offset:         56
        .size:           8
        .value_kind:     global_buffer
      - .offset:         64
        .size:           4
        .value_kind:     by_value
      - .offset:         72
        .size:           8
        .value_kind:     by_value
      - .offset:         80
        .size:           4
        .value_kind:     hidden_block_count_x
      - .offset:         84
        .size:           4
        .value_kind:     hidden_block_count_y
      - .offset:         88
        .size:           4
        .value_kind:     hidden_block_count_z
      - .offset:         92
        .size:           2
        .value_kind:     hidden_group_size_x
      - .offset:         94
        .size:           2
        .value_kind:     hidden_group_size_y
      - .offset:         96
        .size:           2
        .value_kind:     hidden_group_size_z
      - .offset:         98
        .size:           2
        .value_kind:     hidden_remainder_x
      - .offset:         100
        .size:           2
        .value_kind:     hidden_remainder_y
      - .offset:         102
        .size:           2
        .value_kind:     hidden_remainder_z
      - .offset:         120
        .size:           8
        .value_kind:     hidden_global_offset_x
      - .offset:         128
        .size:           8
        .value_kind:     hidden_global_offset_y
      - .offset:         136
        .size:           8
        .value_kind:     hidden_global_offset_z
      - .offset:         144
        .size:           2
        .value_kind:     hidden_grid_dims
      - .offset:         200
        .size:           4
        .value_kind:     hidden_dynamic_lds_size
    .group_segment_fixed_size: 0
    .kernarg_segment_align: 8
    .kernarg_segment_size: 336
    .language:       OpenCL C
    .language_version:
      - 2
      - 0
    .max_flat_workgroup_size: 1024
    .name:           _ZN9rocsolver6v33100L20larft_kernel_forwardI19rocblas_complex_numIdEPS3_EEv15rocblas_storev_iiT0_iilPT_lS8_il
    .private_segment_fixed_size: 0
    .sgpr_count:     50
    .sgpr_spill_count: 0
    .symbol:         _ZN9rocsolver6v33100L20larft_kernel_forwardI19rocblas_complex_numIdEPS3_EEv15rocblas_storev_iiT0_iilPT_lS8_il.kd
    .uniform_work_group_size: 1
    .uses_dynamic_stack: false
    .vgpr_count:     27
    .vgpr_spill_count: 0
    .wavefront_size: 32
    .workgroup_processor_mode: 1
  - .args:
      - .offset:         0
        .size:           4
        .value_kind:     by_value
      - .offset:         4
        .size:           4
        .value_kind:     by_value
      - .offset:         8
        .size:           4
        .value_kind:     by_value
      - .address_space:  global
        .offset:         16
        .size:           8
        .value_kind:     global_buffer
      - .offset:         24
        .size:           4
        .value_kind:     by_value
      - .offset:         28
        .size:           4
        .value_kind:     by_value
      - .offset:         32
        .size:           8
        .value_kind:     by_value
      - .address_space:  global
        .offset:         40
        .size:           8
        .value_kind:     global_buffer
      - .offset:         48
        .size:           8
        .value_kind:     by_value
      - .address_space:  global
        .offset:         56
        .size:           8
        .value_kind:     global_buffer
      - .offset:         64
        .size:           4
        .value_kind:     by_value
      - .offset:         72
        .size:           8
        .value_kind:     by_value
      - .offset:         80
        .size:           4
        .value_kind:     hidden_block_count_x
      - .offset:         84
        .size:           4
        .value_kind:     hidden_block_count_y
      - .offset:         88
        .size:           4
        .value_kind:     hidden_block_count_z
      - .offset:         92
        .size:           2
        .value_kind:     hidden_group_size_x
      - .offset:         94
        .size:           2
        .value_kind:     hidden_group_size_y
      - .offset:         96
        .size:           2
        .value_kind:     hidden_group_size_z
      - .offset:         98
        .size:           2
        .value_kind:     hidden_remainder_x
      - .offset:         100
        .size:           2
        .value_kind:     hidden_remainder_y
      - .offset:         102
        .size:           2
        .value_kind:     hidden_remainder_z
      - .offset:         120
        .size:           8
        .value_kind:     hidden_global_offset_x
      - .offset:         128
        .size:           8
        .value_kind:     hidden_global_offset_y
      - .offset:         136
        .size:           8
        .value_kind:     hidden_global_offset_z
      - .offset:         144
        .size:           2
        .value_kind:     hidden_grid_dims
      - .offset:         200
        .size:           4
        .value_kind:     hidden_dynamic_lds_size
    .group_segment_fixed_size: 0
    .kernarg_segment_align: 8
    .kernarg_segment_size: 336
    .language:       OpenCL C
    .language_version:
      - 2
      - 0
    .max_flat_workgroup_size: 1024
    .name:           _ZN9rocsolver6v33100L21larft_kernel_backwardI19rocblas_complex_numIdEPS3_EEv15rocblas_storev_iiT0_iilPT_lS8_il
    .private_segment_fixed_size: 0
    .sgpr_count:     54
    .sgpr_spill_count: 0
    .symbol:         _ZN9rocsolver6v33100L21larft_kernel_backwardI19rocblas_complex_numIdEPS3_EEv15rocblas_storev_iiT0_iilPT_lS8_il.kd
    .uniform_work_group_size: 1
    .uses_dynamic_stack: false
    .vgpr_count:     24
    .vgpr_spill_count: 0
    .wavefront_size: 32
    .workgroup_processor_mode: 1
  - .args:
      - .offset:         0
        .size:           4
        .value_kind:     by_value
      - .offset:         4
        .size:           4
        .value_kind:     by_value
      - .address_space:  global
        .offset:         8
        .size:           8
        .value_kind:     global_buffer
      - .offset:         16
        .size:           4
        .value_kind:     by_value
      - .offset:         20
        .size:           4
        .value_kind:     by_value
      - .offset:         24
        .size:           8
        .value_kind:     by_value
      - .address_space:  global
        .offset:         32
        .size:           8
        .value_kind:     global_buffer
      - .offset:         40
        .size:           4
        .value_kind:     hidden_block_count_x
      - .offset:         44
        .size:           4
        .value_kind:     hidden_block_count_y
      - .offset:         48
        .size:           4
        .value_kind:     hidden_block_count_z
      - .offset:         52
        .size:           2
        .value_kind:     hidden_group_size_x
      - .offset:         54
        .size:           2
        .value_kind:     hidden_group_size_y
      - .offset:         56
        .size:           2
        .value_kind:     hidden_group_size_z
      - .offset:         58
        .size:           2
        .value_kind:     hidden_remainder_x
      - .offset:         60
        .size:           2
        .value_kind:     hidden_remainder_y
      - .offset:         62
        .size:           2
        .value_kind:     hidden_remainder_z
      - .offset:         80
        .size:           8
        .value_kind:     hidden_global_offset_x
      - .offset:         88
        .size:           8
        .value_kind:     hidden_global_offset_y
      - .offset:         96
        .size:           8
        .value_kind:     hidden_global_offset_z
      - .offset:         104
        .size:           2
        .value_kind:     hidden_grid_dims
    .group_segment_fixed_size: 0
    .kernarg_segment_align: 8
    .kernarg_segment_size: 296
    .language:       OpenCL C
    .language_version:
      - 2
      - 0
    .max_flat_workgroup_size: 1024
    .name:           _ZN9rocsolver6v33100L9copymatA1I19rocblas_complex_numIdEPS3_EEviiT0_iilPT_
    .private_segment_fixed_size: 0
    .sgpr_count:     18
    .sgpr_spill_count: 0
    .symbol:         _ZN9rocsolver6v33100L9copymatA1I19rocblas_complex_numIdEPS3_EEviiT0_iilPT_.kd
    .uniform_work_group_size: 1
    .uses_dynamic_stack: false
    .vgpr_count:     9
    .vgpr_spill_count: 0
    .wavefront_size: 32
    .workgroup_processor_mode: 1
  - .args:
      - .offset:         0
        .size:           4
        .value_kind:     by_value
      - .offset:         4
        .size:           4
        .value_kind:     by_value
      - .address_space:  global
        .offset:         8
        .size:           8
        .value_kind:     global_buffer
      - .offset:         16
        .size:           4
        .value_kind:     by_value
      - .offset:         20
        .size:           4
        .value_kind:     by_value
      - .offset:         24
        .size:           8
        .value_kind:     by_value
      - .address_space:  global
        .offset:         32
        .size:           8
        .value_kind:     global_buffer
      - .offset:         40
        .size:           4
        .value_kind:     hidden_block_count_x
      - .offset:         44
        .size:           4
        .value_kind:     hidden_block_count_y
      - .offset:         48
        .size:           4
        .value_kind:     hidden_block_count_z
      - .offset:         52
        .size:           2
        .value_kind:     hidden_group_size_x
      - .offset:         54
        .size:           2
        .value_kind:     hidden_group_size_y
      - .offset:         56
        .size:           2
        .value_kind:     hidden_group_size_z
      - .offset:         58
        .size:           2
        .value_kind:     hidden_remainder_x
      - .offset:         60
        .size:           2
        .value_kind:     hidden_remainder_y
      - .offset:         62
        .size:           2
        .value_kind:     hidden_remainder_z
      - .offset:         80
        .size:           8
        .value_kind:     hidden_global_offset_x
      - .offset:         88
        .size:           8
        .value_kind:     hidden_global_offset_y
      - .offset:         96
        .size:           8
        .value_kind:     hidden_global_offset_z
      - .offset:         104
        .size:           2
        .value_kind:     hidden_grid_dims
    .group_segment_fixed_size: 0
    .kernarg_segment_align: 8
    .kernarg_segment_size: 296
    .language:       OpenCL C
    .language_version:
      - 2
      - 0
    .max_flat_workgroup_size: 1024
    .name:           _ZN9rocsolver6v33100L8addmatA1I19rocblas_complex_numIdEPS3_EEviiT0_iilPT_
    .private_segment_fixed_size: 0
    .sgpr_count:     18
    .sgpr_spill_count: 0
    .symbol:         _ZN9rocsolver6v33100L8addmatA1I19rocblas_complex_numIdEPS3_EEviiT0_iilPT_.kd
    .uniform_work_group_size: 1
    .uses_dynamic_stack: false
    .vgpr_count:     10
    .vgpr_spill_count: 0
    .wavefront_size: 32
    .workgroup_processor_mode: 1
  - .args:
      - .offset:         0
        .size:           4
        .value_kind:     by_value
      - .address_space:  global
        .offset:         8
        .size:           8
        .value_kind:     global_buffer
      - .offset:         16
        .size:           8
        .value_kind:     by_value
      - .address_space:  global
        .offset:         24
        .size:           8
        .value_kind:     global_buffer
      - .offset:         32
        .size:           4
        .value_kind:     by_value
      - .offset:         40
        .size:           8
        .value_kind:     by_value
      - .address_space:  global
        .offset:         48
        .size:           8
        .value_kind:     global_buffer
      - .offset:         56
        .size:           4
        .value_kind:     by_value
      - .offset:         64
        .size:           8
        .value_kind:     by_value
      - .offset:         72
        .size:           4
        .value_kind:     hidden_block_count_x
      - .offset:         76
        .size:           4
        .value_kind:     hidden_block_count_y
      - .offset:         80
        .size:           4
        .value_kind:     hidden_block_count_z
      - .offset:         84
        .size:           2
        .value_kind:     hidden_group_size_x
      - .offset:         86
        .size:           2
        .value_kind:     hidden_group_size_y
      - .offset:         88
        .size:           2
        .value_kind:     hidden_group_size_z
      - .offset:         90
        .size:           2
        .value_kind:     hidden_remainder_x
      - .offset:         92
        .size:           2
        .value_kind:     hidden_remainder_y
      - .offset:         94
        .size:           2
        .value_kind:     hidden_remainder_z
      - .offset:         112
        .size:           8
        .value_kind:     hidden_global_offset_x
      - .offset:         120
        .size:           8
        .value_kind:     hidden_global_offset_y
      - .offset:         128
        .size:           8
        .value_kind:     hidden_global_offset_z
      - .offset:         136
        .size:           2
        .value_kind:     hidden_grid_dims
    .group_segment_fixed_size: 0
    .kernarg_segment_align: 8
    .kernarg_segment_size: 328
    .language:       OpenCL C
    .language_version:
      - 2
      - 0
    .max_flat_workgroup_size: 1024
    .name:           _ZN9rocsolver6v33100L15gesvdj_finalizeI19rocblas_complex_numIdEdEEviPT0_lPT_ilS7_il
    .private_segment_fixed_size: 0
    .sgpr_count:     24
    .sgpr_spill_count: 0
    .symbol:         _ZN9rocsolver6v33100L15gesvdj_finalizeI19rocblas_complex_numIdEdEEviPT0_lPT_ilS7_il.kd
    .uniform_work_group_size: 1
    .uses_dynamic_stack: false
    .vgpr_count:     8
    .vgpr_spill_count: 0
    .wavefront_size: 32
    .workgroup_processor_mode: 1
  - .args:
      - .offset:         0
        .size:           4
        .value_kind:     by_value
      - .offset:         4
        .size:           4
        .value_kind:     by_value
      - .offset:         8
        .size:           4
        .value_kind:     by_value
      - .address_space:  global
        .offset:         16
        .size:           8
        .value_kind:     global_buffer
      - .offset:         24
        .size:           4
        .value_kind:     by_value
      - .offset:         28
        .size:           4
        .value_kind:     by_value
      - .offset:         32
        .size:           8
        .value_kind:     by_value
      - .offset:         40
        .size:           4
        .value_kind:     hidden_block_count_x
      - .offset:         44
        .size:           4
        .value_kind:     hidden_block_count_y
      - .offset:         48
        .size:           4
        .value_kind:     hidden_block_count_z
      - .offset:         52
        .size:           2
        .value_kind:     hidden_group_size_x
      - .offset:         54
        .size:           2
        .value_kind:     hidden_group_size_y
      - .offset:         56
        .size:           2
        .value_kind:     hidden_group_size_z
      - .offset:         58
        .size:           2
        .value_kind:     hidden_remainder_x
      - .offset:         60
        .size:           2
        .value_kind:     hidden_remainder_y
      - .offset:         62
        .size:           2
        .value_kind:     hidden_remainder_z
      - .offset:         80
        .size:           8
        .value_kind:     hidden_global_offset_x
      - .offset:         88
        .size:           8
        .value_kind:     hidden_global_offset_y
      - .offset:         96
        .size:           8
        .value_kind:     hidden_global_offset_z
      - .offset:         104
        .size:           2
        .value_kind:     hidden_grid_dims
    .group_segment_fixed_size: 0
    .kernarg_segment_align: 8
    .kernarg_segment_size: 296
    .language:       OpenCL C
    .language_version:
      - 2
      - 0
    .max_flat_workgroup_size: 1024
    .name:           _ZN9rocsolver6v33100L16org2r_init_identI19rocblas_complex_numIdEPS3_EEviiiT0_iil
    .private_segment_fixed_size: 0
    .sgpr_count:     18
    .sgpr_spill_count: 0
    .symbol:         _ZN9rocsolver6v33100L16org2r_init_identI19rocblas_complex_numIdEPS3_EEviiiT0_iil.kd
    .uniform_work_group_size: 1
    .uses_dynamic_stack: false
    .vgpr_count:     7
    .vgpr_spill_count: 0
    .wavefront_size: 32
    .workgroup_processor_mode: 1
  - .args:
      - .offset:         0
        .size:           4
        .value_kind:     by_value
      - .offset:         4
        .size:           4
        .value_kind:     by_value
      - .address_space:  global
        .offset:         8
        .size:           8
        .value_kind:     global_buffer
      - .offset:         16
        .size:           4
        .value_kind:     by_value
      - .offset:         20
        .size:           4
        .value_kind:     by_value
      - .offset:         24
        .size:           8
        .value_kind:     by_value
      - .address_space:  global
        .offset:         32
        .size:           8
        .value_kind:     global_buffer
      - .offset:         40
        .size:           8
        .value_kind:     by_value
    .group_segment_fixed_size: 0
    .kernarg_segment_align: 8
    .kernarg_segment_size: 48
    .language:       OpenCL C
    .language_version:
      - 2
      - 0
    .max_flat_workgroup_size: 1024
    .name:           _ZN9rocsolver6v33100L12subtract_tauI19rocblas_complex_numIdEPS3_EEviiT0_iilPT_l
    .private_segment_fixed_size: 0
    .sgpr_count:     16
    .sgpr_spill_count: 0
    .symbol:         _ZN9rocsolver6v33100L12subtract_tauI19rocblas_complex_numIdEPS3_EEviiT0_iilPT_l.kd
    .uniform_work_group_size: 1
    .uses_dynamic_stack: false
    .vgpr_count:     5
    .vgpr_spill_count: 0
    .wavefront_size: 32
    .workgroup_processor_mode: 1
  - .args:
      - .offset:         0
        .size:           4
        .value_kind:     by_value
      - .address_space:  global
        .offset:         8
        .size:           8
        .value_kind:     global_buffer
      - .offset:         16
        .size:           8
        .value_kind:     by_value
      - .offset:         24
        .size:           4
        .value_kind:     hidden_block_count_x
      - .offset:         28
        .size:           4
        .value_kind:     hidden_block_count_y
      - .offset:         32
        .size:           4
        .value_kind:     hidden_block_count_z
      - .offset:         36
        .size:           2
        .value_kind:     hidden_group_size_x
      - .offset:         38
        .size:           2
        .value_kind:     hidden_group_size_y
      - .offset:         40
        .size:           2
        .value_kind:     hidden_group_size_z
      - .offset:         42
        .size:           2
        .value_kind:     hidden_remainder_x
      - .offset:         44
        .size:           2
        .value_kind:     hidden_remainder_y
      - .offset:         46
        .size:           2
        .value_kind:     hidden_remainder_z
      - .offset:         64
        .size:           8
        .value_kind:     hidden_global_offset_x
      - .offset:         72
        .size:           8
        .value_kind:     hidden_global_offset_y
      - .offset:         80
        .size:           8
        .value_kind:     hidden_global_offset_z
      - .offset:         88
        .size:           2
        .value_kind:     hidden_grid_dims
    .group_segment_fixed_size: 0
    .kernarg_segment_align: 8
    .kernarg_segment_size: 280
    .language:       OpenCL C
    .language_version:
      - 2
      - 0
    .max_flat_workgroup_size: 1024
    .name:           _ZN9rocsolver6v33100L6restauI19rocblas_complex_numIdEEEviPT_l
    .private_segment_fixed_size: 0
    .sgpr_count:     18
    .sgpr_spill_count: 0
    .symbol:         _ZN9rocsolver6v33100L6restauI19rocblas_complex_numIdEEEviPT_l.kd
    .uniform_work_group_size: 1
    .uses_dynamic_stack: false
    .vgpr_count:     6
    .vgpr_spill_count: 0
    .wavefront_size: 32
    .workgroup_processor_mode: 1
  - .args:
      - .offset:         0
        .size:           4
        .value_kind:     by_value
      - .offset:         4
        .size:           4
        .value_kind:     by_value
      - .address_space:  global
        .offset:         8
        .size:           8
        .value_kind:     global_buffer
      - .offset:         16
        .size:           4
        .value_kind:     by_value
      - .offset:         20
        .size:           4
        .value_kind:     by_value
      - .offset:         24
        .size:           8
        .value_kind:     by_value
      - .offset:         32
        .size:           4
        .value_kind:     by_value
      - .offset:         40
        .size:           4
        .value_kind:     hidden_block_count_x
      - .offset:         44
        .size:           4
        .value_kind:     hidden_block_count_y
      - .offset:         48
        .size:           4
        .value_kind:     hidden_block_count_z
      - .offset:         52
        .size:           2
        .value_kind:     hidden_group_size_x
      - .offset:         54
        .size:           2
        .value_kind:     hidden_group_size_y
      - .offset:         56
        .size:           2
        .value_kind:     hidden_group_size_z
      - .offset:         58
        .size:           2
        .value_kind:     hidden_remainder_x
      - .offset:         60
        .size:           2
        .value_kind:     hidden_remainder_y
      - .offset:         62
        .size:           2
        .value_kind:     hidden_remainder_z
      - .offset:         80
        .size:           8
        .value_kind:     hidden_global_offset_x
      - .offset:         88
        .size:           8
        .value_kind:     hidden_global_offset_y
      - .offset:         96
        .size:           8
        .value_kind:     hidden_global_offset_z
      - .offset:         104
        .size:           2
        .value_kind:     hidden_grid_dims
    .group_segment_fixed_size: 0
    .kernarg_segment_align: 8
    .kernarg_segment_size: 296
    .language:       OpenCL C
    .language_version:
      - 2
      - 0
    .max_flat_workgroup_size: 1024
    .name:           _ZN9rocsolver6v33100L8set_zeroI19rocblas_complex_numIdEPS3_EEviiT0_iil13rocblas_fill_
    .private_segment_fixed_size: 0
    .sgpr_count:     18
    .sgpr_spill_count: 0
    .symbol:         _ZN9rocsolver6v33100L8set_zeroI19rocblas_complex_numIdEPS3_EEviiT0_iil13rocblas_fill_.kd
    .uniform_work_group_size: 1
    .uses_dynamic_stack: false
    .vgpr_count:     6
    .vgpr_spill_count: 0
    .wavefront_size: 32
    .workgroup_processor_mode: 1
amdhsa.target:   amdgcn-amd-amdhsa--gfx1100
amdhsa.version:
  - 1
  - 2
...

	.end_amdgpu_metadata
